;; amdgpu-corpus repo=ROCm/rocBLAS kind=compiled arch=gfx906 opt=O3
	.amdgcn_target "amdgcn-amd-amdhsa--gfx906"
	.amdhsa_code_object_version 6
	.section	.text._ZL23rocblas_set_matrix_trsmILi128ELi8EfPfEvlliT2_llT1_li,"axG",@progbits,_ZL23rocblas_set_matrix_trsmILi128ELi8EfPfEvlliT2_llT1_li,comdat
	.globl	_ZL23rocblas_set_matrix_trsmILi128ELi8EfPfEvlliT2_llT1_li ; -- Begin function _ZL23rocblas_set_matrix_trsmILi128ELi8EfPfEvlliT2_llT1_li
	.p2align	8
	.type	_ZL23rocblas_set_matrix_trsmILi128ELi8EfPfEvlliT2_llT1_li,@function
_ZL23rocblas_set_matrix_trsmILi128ELi8EfPfEvlliT2_llT1_li: ; @_ZL23rocblas_set_matrix_trsmILi128ELi8EfPfEvlliT2_llT1_li
; %bb.0:
	s_load_dwordx4 s[0:3], s[4:5], 0x0
	v_mov_b32_e32 v3, 0
	v_lshl_add_u32 v2, s6, 7, v0
	v_lshl_add_u32 v0, s7, 3, v1
	v_mov_b32_e32 v1, v3
	s_waitcnt lgkmcnt(0)
	v_cmp_gt_u64_e32 vcc, s[0:1], v[2:3]
	v_cmp_gt_u64_e64 s[0:1], s[2:3], v[0:1]
	s_and_b64 s[0:1], vcc, s[0:1]
	s_and_saveexec_b64 s[2:3], s[0:1]
	s_cbranch_execz .LBB0_2
; %bb.1:
	s_load_dwordx2 s[6:7], s[4:5], 0x28
	s_load_dwordx4 s[0:3], s[4:5], 0x18
	s_load_dwordx2 s[10:11], s[4:5], 0x38
	s_waitcnt lgkmcnt(0)
	s_mul_i32 s5, s7, s8
	s_mul_hi_u32 s7, s6, s8
	s_mul_i32 s4, s6, s8
	s_add_i32 s5, s7, s5
	v_mad_u64_u32 v[4:5], s[6:7], s2, v0, 0
	s_lshl_b64 s[4:5], s[4:5], 2
	s_add_u32 s2, s0, s4
	v_mov_b32_e32 v1, v5
	s_addc_u32 s4, s1, s5
	v_mad_u64_u32 v[0:1], s[0:1], s3, v0, v[1:2]
	s_lshl_b64 s[0:1], s[10:11], 2
	s_add_u32 s0, s2, s0
	v_mov_b32_e32 v5, v0
	v_lshlrev_b64 v[0:1], 2, v[4:5]
	s_addc_u32 s1, s4, s1
	v_mov_b32_e32 v4, s1
	v_add_co_u32_e32 v5, vcc, s0, v0
	v_addc_co_u32_e32 v4, vcc, v4, v1, vcc
	v_lshlrev_b64 v[0:1], 2, v[2:3]
	v_add_co_u32_e32 v0, vcc, v5, v0
	v_addc_co_u32_e32 v1, vcc, v4, v1, vcc
	global_store_dword v[0:1], v3, off
.LBB0_2:
	s_endpgm
	.section	.rodata,"a",@progbits
	.p2align	6, 0x0
	.amdhsa_kernel _ZL23rocblas_set_matrix_trsmILi128ELi8EfPfEvlliT2_llT1_li
		.amdhsa_group_segment_fixed_size 0
		.amdhsa_private_segment_fixed_size 0
		.amdhsa_kernarg_size 68
		.amdhsa_user_sgpr_count 6
		.amdhsa_user_sgpr_private_segment_buffer 1
		.amdhsa_user_sgpr_dispatch_ptr 0
		.amdhsa_user_sgpr_queue_ptr 0
		.amdhsa_user_sgpr_kernarg_segment_ptr 1
		.amdhsa_user_sgpr_dispatch_id 0
		.amdhsa_user_sgpr_flat_scratch_init 0
		.amdhsa_user_sgpr_private_segment_size 0
		.amdhsa_uses_dynamic_stack 0
		.amdhsa_system_sgpr_private_segment_wavefront_offset 0
		.amdhsa_system_sgpr_workgroup_id_x 1
		.amdhsa_system_sgpr_workgroup_id_y 1
		.amdhsa_system_sgpr_workgroup_id_z 1
		.amdhsa_system_sgpr_workgroup_info 0
		.amdhsa_system_vgpr_workitem_id 1
		.amdhsa_next_free_vgpr 6
		.amdhsa_next_free_sgpr 12
		.amdhsa_reserve_vcc 1
		.amdhsa_reserve_flat_scratch 0
		.amdhsa_float_round_mode_32 0
		.amdhsa_float_round_mode_16_64 0
		.amdhsa_float_denorm_mode_32 3
		.amdhsa_float_denorm_mode_16_64 3
		.amdhsa_dx10_clamp 1
		.amdhsa_ieee_mode 1
		.amdhsa_fp16_overflow 0
		.amdhsa_exception_fp_ieee_invalid_op 0
		.amdhsa_exception_fp_denorm_src 0
		.amdhsa_exception_fp_ieee_div_zero 0
		.amdhsa_exception_fp_ieee_overflow 0
		.amdhsa_exception_fp_ieee_underflow 0
		.amdhsa_exception_fp_ieee_inexact 0
		.amdhsa_exception_int_div_zero 0
	.end_amdhsa_kernel
	.section	.text._ZL23rocblas_set_matrix_trsmILi128ELi8EfPfEvlliT2_llT1_li,"axG",@progbits,_ZL23rocblas_set_matrix_trsmILi128ELi8EfPfEvlliT2_llT1_li,comdat
.Lfunc_end0:
	.size	_ZL23rocblas_set_matrix_trsmILi128ELi8EfPfEvlliT2_llT1_li, .Lfunc_end0-_ZL23rocblas_set_matrix_trsmILi128ELi8EfPfEvlliT2_llT1_li
                                        ; -- End function
	.set _ZL23rocblas_set_matrix_trsmILi128ELi8EfPfEvlliT2_llT1_li.num_vgpr, 6
	.set _ZL23rocblas_set_matrix_trsmILi128ELi8EfPfEvlliT2_llT1_li.num_agpr, 0
	.set _ZL23rocblas_set_matrix_trsmILi128ELi8EfPfEvlliT2_llT1_li.numbered_sgpr, 12
	.set _ZL23rocblas_set_matrix_trsmILi128ELi8EfPfEvlliT2_llT1_li.num_named_barrier, 0
	.set _ZL23rocblas_set_matrix_trsmILi128ELi8EfPfEvlliT2_llT1_li.private_seg_size, 0
	.set _ZL23rocblas_set_matrix_trsmILi128ELi8EfPfEvlliT2_llT1_li.uses_vcc, 1
	.set _ZL23rocblas_set_matrix_trsmILi128ELi8EfPfEvlliT2_llT1_li.uses_flat_scratch, 0
	.set _ZL23rocblas_set_matrix_trsmILi128ELi8EfPfEvlliT2_llT1_li.has_dyn_sized_stack, 0
	.set _ZL23rocblas_set_matrix_trsmILi128ELi8EfPfEvlliT2_llT1_li.has_recursion, 0
	.set _ZL23rocblas_set_matrix_trsmILi128ELi8EfPfEvlliT2_llT1_li.has_indirect_call, 0
	.section	.AMDGPU.csdata,"",@progbits
; Kernel info:
; codeLenInByte = 200
; TotalNumSgprs: 16
; NumVgprs: 6
; ScratchSize: 0
; MemoryBound: 0
; FloatMode: 240
; IeeeMode: 1
; LDSByteSize: 0 bytes/workgroup (compile time only)
; SGPRBlocks: 1
; VGPRBlocks: 1
; NumSGPRsForWavesPerEU: 16
; NumVGPRsForWavesPerEU: 6
; Occupancy: 10
; WaveLimiterHint : 0
; COMPUTE_PGM_RSRC2:SCRATCH_EN: 0
; COMPUTE_PGM_RSRC2:USER_SGPR: 6
; COMPUTE_PGM_RSRC2:TRAP_HANDLER: 0
; COMPUTE_PGM_RSRC2:TGID_X_EN: 1
; COMPUTE_PGM_RSRC2:TGID_Y_EN: 1
; COMPUTE_PGM_RSRC2:TGID_Z_EN: 1
; COMPUTE_PGM_RSRC2:TIDIG_COMP_CNT: 1
	.section	.text._ZL38rocblas_trsm_small_left_device_sharedBILi4ELi4ELb0EffPKfPfEv13rocblas_fill_18rocblas_operation_17rocblas_diagonal_iiT3_T4_lilT5_lili,"axG",@progbits,_ZL38rocblas_trsm_small_left_device_sharedBILi4ELi4ELb0EffPKfPfEv13rocblas_fill_18rocblas_operation_17rocblas_diagonal_iiT3_T4_lilT5_lili,comdat
	.globl	_ZL38rocblas_trsm_small_left_device_sharedBILi4ELi4ELb0EffPKfPfEv13rocblas_fill_18rocblas_operation_17rocblas_diagonal_iiT3_T4_lilT5_lili ; -- Begin function _ZL38rocblas_trsm_small_left_device_sharedBILi4ELi4ELb0EffPKfPfEv13rocblas_fill_18rocblas_operation_17rocblas_diagonal_iiT3_T4_lilT5_lili
	.p2align	8
	.type	_ZL38rocblas_trsm_small_left_device_sharedBILi4ELi4ELb0EffPKfPfEv13rocblas_fill_18rocblas_operation_17rocblas_diagonal_iiT3_T4_lilT5_lili,@function
_ZL38rocblas_trsm_small_left_device_sharedBILi4ELi4ELb0EffPKfPfEv13rocblas_fill_18rocblas_operation_17rocblas_diagonal_iiT3_T4_lilT5_lili: ; @_ZL38rocblas_trsm_small_left_device_sharedBILi4ELi4ELb0EffPKfPfEv13rocblas_fill_18rocblas_operation_17rocblas_diagonal_iiT3_T4_lilT5_lili
; %bb.0:
	s_load_dwordx4 s[8:11], s[4:5], 0x4
	s_load_dword s17, s[4:5], 0x14
	s_load_dwordx4 s[0:3], s[4:5], 0x30
	s_load_dwordx2 s[12:13], s[4:5], 0x40
	s_waitcnt lgkmcnt(0)
	s_min_i32 s16, s10, 4
	v_cmp_gt_i32_e32 vcc, s16, v0
	s_and_saveexec_b64 s[14:15], vcc
	s_cbranch_execz .LBB1_6
; %bb.1:
	s_load_dword s18, s[4:5], 0x28
	s_load_dwordx4 s[20:23], s[4:5], 0x18
	s_mul_i32 s1, s1, s7
	s_mul_hi_u32 s19, s0, s7
	s_add_i32 s1, s19, s1
	s_mul_i32 s0, s0, s7
	s_waitcnt lgkmcnt(0)
	s_ashr_i32 s19, s18, 31
	s_lshl_b64 s[0:1], s[0:1], 2
	s_add_u32 s20, s20, s0
	s_addc_u32 s21, s21, s1
	s_lshl_b64 s[0:1], s[22:23], 2
	s_add_u32 s0, s20, s0
	s_addc_u32 s1, s21, s1
	v_lshlrev_b32_e32 v3, 2, v0
	v_mov_b32_e32 v2, s1
	v_add_co_u32_e32 v1, vcc, s0, v3
	s_lshl_b64 s[0:1], s[18:19], 2
	v_addc_co_u32_e32 v2, vcc, 0, v2, vcc
	v_mov_b32_e32 v4, s1
	v_mov_b32_e32 v5, v3
	s_mov_b32 s1, s16
.LBB1_2:                                ; =>This Inner Loop Header: Depth=1
	global_load_dword v6, v[1:2], off
	v_add_co_u32_e32 v1, vcc, s0, v1
	s_add_i32 s1, s1, -1
	v_addc_co_u32_e32 v2, vcc, v2, v4, vcc
	s_cmp_eq_u32 s1, 0
	s_waitcnt vmcnt(0)
	ds_write_b32 v5, v6
	v_add_u32_e32 v5, 16, v5
	s_cbranch_scc0 .LBB1_2
; %bb.3:
	v_lshlrev_b32_e32 v1, 4, v0
	s_cmpk_lg_i32 s9, 0x84
	v_mov_b32_e32 v2, 1.0
	v_add_u32_e32 v1, v3, v1
	s_cbranch_scc0 .LBB1_5
; %bb.4:
	ds_read_b32 v2, v1
	s_waitcnt lgkmcnt(0)
	v_div_scale_f32 v3, s[0:1], v2, v2, 1.0
	v_div_scale_f32 v4, vcc, 1.0, v2, 1.0
	v_rcp_f32_e32 v5, v3
	v_fma_f32 v6, -v3, v5, 1.0
	v_fmac_f32_e32 v5, v6, v5
	v_mul_f32_e32 v6, v4, v5
	v_fma_f32 v7, -v3, v6, v4
	v_fmac_f32_e32 v6, v7, v5
	v_fma_f32 v3, -v3, v6, v4
	v_div_fmas_f32 v3, v3, v5, v6
	v_div_fixup_f32 v2, v3, v2, 1.0
.LBB1_5:
	ds_write_b32 v1, v2
.LBB1_6:
	s_or_b64 exec, exec, s[14:15]
	s_load_dword s0, s[4:5], 0x60
	s_load_dwordx2 s[14:15], s[4:5], 0x50
	s_load_dword s9, s[4:5], 0x48
	v_lshl_or_b32 v3, v0, 2, 64
	s_waitcnt lgkmcnt(0)
	s_mul_i32 s1, s15, s7
	s_mul_hi_u32 s5, s14, s7
	s_mul_i32 s4, s14, s7
	s_add_i32 s5, s5, s1
	s_lshl_b64 s[4:5], s[4:5], 2
	s_add_u32 s1, s2, s4
	s_addc_u32 s4, s3, s5
	s_lshl_b64 s[2:3], s[12:13], 2
	s_add_u32 s2, s1, s2
	s_addc_u32 s3, s4, s3
	s_lshl_b32 s4, s6, 2
	s_add_i32 s0, s0, -1
	s_sub_i32 s1, s11, s4
	s_cmp_ge_u32 s6, s0
	s_cselect_b32 s5, s1, 4
	s_mul_hi_i32 s1, s9, s4
	s_mul_i32 s0, s9, s4
	s_lshl_b64 s[0:1], s[0:1], 2
	s_add_u32 s6, s2, s0
	s_addc_u32 s7, s3, s1
	s_cmp_gt_i32 s10, 0
	v_cmp_gt_i32_e64 s[0:1], s5, v0
	s_cselect_b64 s[2:3], -1, 0
	s_and_b64 s[12:13], s[0:1], s[2:3]
	s_and_saveexec_b64 s[4:5], s[12:13]
	s_cbranch_execz .LBB1_9
; %bb.7:
	v_mad_i64_i32 v[1:2], s[12:13], s9, v0, 0
	v_mov_b32_e32 v4, s7
	s_mov_b32 s11, s16
	v_lshlrev_b64 v[1:2], 2, v[1:2]
	v_add_co_u32_e32 v1, vcc, s6, v1
	v_addc_co_u32_e32 v2, vcc, v4, v2, vcc
	v_lshl_or_b32 v4, v0, 2, 64
.LBB1_8:                                ; =>This Inner Loop Header: Depth=1
	global_load_dword v5, v[1:2], off
	s_add_i32 s11, s11, -1
	v_add_co_u32_e32 v1, vcc, 4, v1
	v_addc_co_u32_e32 v2, vcc, 0, v2, vcc
	s_cmp_lg_u32 s11, 0
	s_waitcnt vmcnt(0)
	v_mul_f32_e32 v5, s17, v5
	ds_write_b32 v4, v5
	v_add_u32_e32 v4, 16, v4
	s_cbranch_scc1 .LBB1_8
.LBB1_9:
	s_or_b64 exec, exec, s[4:5]
	s_cmpk_eq_i32 s8, 0x6f
	s_mov_b64 s[4:5], -1
	s_waitcnt lgkmcnt(0)
	; wave barrier
	s_cbranch_scc1 .LBB1_18
; %bb.10:
	s_cmp_gt_i32 s10, 3
	s_cbranch_scc0 .LBB1_12
; %bb.11:
	ds_read2_b32 v[1:2], v3 offset1:4
	v_mov_b32_e32 v4, 0
	ds_read_b32 v15, v4
	ds_read_b64 v[11:12], v4 offset:16
	ds_read2_b32 v[13:14], v3 offset0:8 offset1:12
	ds_read_b96 v[8:10], v4 offset:32
	ds_read_b128 v[4:7], v4 offset:48
	s_mov_b32 s4, 4
	s_waitcnt lgkmcnt(4)
	v_mul_f32_e32 v1, v1, v15
	s_waitcnt lgkmcnt(3)
	v_fma_f32 v2, -v1, v11, v2
	v_mul_f32_e32 v2, v2, v12
	s_waitcnt lgkmcnt(1)
	v_fma_f32 v8, -v1, v8, v13
	ds_write2_b32 v3, v1, v2 offset1:4
	v_fma_f32 v8, -v2, v9, v8
	s_waitcnt lgkmcnt(1)
	v_fma_f32 v1, -v1, v4, v14
	v_mul_f32_e32 v8, v8, v10
	v_fma_f32 v1, -v2, v5, v1
	v_fma_f32 v1, -v8, v6, v1
	v_mul_f32_e32 v1, v1, v7
	ds_write2_b32 v3, v8, v1 offset0:8 offset1:12
	s_cmp_ge_i32 s4, s16
	s_cbranch_scc0 .LBB1_13
	s_branch .LBB1_17
.LBB1_12:
	s_mov_b32 s4, 0
	s_cmp_ge_i32 s4, s16
	s_cbranch_scc1 .LBB1_17
.LBB1_13:
	s_lshl_b32 s5, s4, 4
	v_lshl_or_b32 v1, v0, 2, 64
	s_branch .LBB1_15
.LBB1_14:                               ;   in Loop: Header=BB1_15 Depth=1
	s_mul_i32 s8, s4, 20
	v_mov_b32_e32 v5, s8
	ds_read_b32 v5, v5
	s_add_i32 s4, s4, 1
	s_add_i32 s5, s5, 16
	s_cmp_ge_i32 s4, s16
	s_waitcnt lgkmcnt(0)
	v_mul_f32_e32 v4, v4, v5
	ds_write_b32 v2, v4
	s_cbranch_scc1 .LBB1_17
.LBB1_15:                               ; =>This Loop Header: Depth=1
                                        ;     Child Loop BB1_16 Depth 2
	s_lshl_b32 s8, s4, 4
	v_add_u32_e32 v2, s8, v3
	ds_read_b32 v4, v2
	s_cmp_eq_u32 s4, 0
	v_mov_b32_e32 v5, v1
	s_mov_b32 s8, s4
	s_mov_b32 s11, s5
	s_cbranch_scc1 .LBB1_14
.LBB1_16:                               ;   Parent Loop BB1_15 Depth=1
                                        ; =>  This Inner Loop Header: Depth=2
	v_mov_b32_e32 v7, s11
	ds_read_b32 v6, v5
	ds_read_b32 v7, v7
	s_add_i32 s11, s11, 4
	s_add_i32 s8, s8, -1
	v_add_u32_e32 v5, 16, v5
	s_cmp_lg_u32 s8, 0
	s_waitcnt lgkmcnt(0)
	v_fma_f32 v4, -v6, v7, v4
	s_cbranch_scc1 .LBB1_16
	s_branch .LBB1_14
.LBB1_17:
	s_mov_b64 s[4:5], 0
.LBB1_18:
	s_and_b64 vcc, exec, s[4:5]
	s_cbranch_vccz .LBB1_38
; %bb.19:
	s_add_i32 s4, s16, -1
	s_cmp_gt_i32 s10, 3
	s_mov_b32 s8, -1
	s_cbranch_scc0 .LBB1_21
; %bb.20:
	ds_read2_b32 v[1:2], v3 offset0:8 offset1:12
	v_mov_b32_e32 v11, 0
	ds_read_b128 v[4:7], v11 offset:48
	ds_read_b32 v15, v11
	ds_read_b96 v[8:10], v11 offset:32
	ds_read_b64 v[11:12], v11 offset:16
	ds_read2_b32 v[13:14], v3 offset1:4
	s_waitcnt lgkmcnt(4)
	v_mul_f32_e32 v2, v2, v7
	v_fma_f32 v1, -v2, v6, v1
	s_waitcnt lgkmcnt(2)
	v_mul_f32_e32 v1, v1, v10
	s_waitcnt lgkmcnt(0)
	v_fma_f32 v5, -v2, v5, v14
	ds_write2_b32 v3, v1, v2 offset0:8 offset1:12
	v_fma_f32 v5, -v1, v9, v5
	v_fma_f32 v2, -v2, v4, v13
	v_mul_f32_e32 v5, v5, v12
	v_fma_f32 v1, -v1, v8, v2
	v_fma_f32 v1, -v5, v11, v1
	v_mul_f32_e32 v1, v1, v15
	ds_write2_b32 v3, v1, v5 offset1:4
	s_cmp_lt_i32 s8, 0
	s_cbranch_scc0 .LBB1_22
	s_branch .LBB1_38
.LBB1_21:
	s_mov_b32 s8, s4
	s_cmp_lt_i32 s8, 0
	s_cbranch_scc1 .LBB1_38
.LBB1_22:
	s_and_b32 s5, s8, 3
	s_cmp_eq_u32 s5, 3
	s_mov_b32 s5, s8
	s_cbranch_scc1 .LBB1_27
; %bb.23:
	s_add_i32 s5, s8, 1
	s_and_b32 s10, s5, 3
	s_lshl_b32 s5, s16, 4
	s_lshl_b32 s11, s8, 2
	s_add_i32 s11, s5, s11
	v_lshl_or_b32 v1, v0, 2, s5
	s_add_i32 s11, s11, -16
	v_add_u32_e32 v1, 48, v1
	s_mov_b32 s12, 0
	s_mov_b32 s5, s8
	s_branch .LBB1_25
.LBB1_24:                               ;   in Loop: Header=BB1_25 Depth=1
	s_mul_i32 s13, s5, 20
	v_mov_b32_e32 v5, s13
	ds_read_b32 v5, v5
	s_add_i32 s5, s5, -1
	s_add_i32 s12, s12, 1
	s_add_i32 s11, s11, -4
	s_cmp_lg_u32 s12, s10
	s_waitcnt lgkmcnt(0)
	v_mul_f32_e32 v4, v4, v5
	ds_write_b32 v2, v4
	s_cbranch_scc0 .LBB1_27
.LBB1_25:                               ; =>This Loop Header: Depth=1
                                        ;     Child Loop BB1_26 Depth 2
	s_lshl_b32 s13, s5, 4
	v_add_u32_e32 v2, s13, v3
	ds_read_b32 v4, v2
	s_cmp_le_i32 s4, s5
	v_mov_b32_e32 v5, v1
	s_mov_b32 s13, s11
	s_mov_b32 s14, s4
	s_cbranch_scc1 .LBB1_24
.LBB1_26:                               ;   Parent Loop BB1_25 Depth=1
                                        ; =>  This Inner Loop Header: Depth=2
	v_mov_b32_e32 v7, s13
	ds_read_b32 v6, v5
	ds_read_b32 v7, v7
	s_add_i32 s14, s14, -1
	s_add_i32 s13, s13, -16
	v_add_u32_e32 v5, -16, v5
	s_cmp_gt_i32 s14, s5
	s_waitcnt lgkmcnt(0)
	v_fma_f32 v4, -v6, v7, v4
	s_cbranch_scc1 .LBB1_26
	s_branch .LBB1_24
.LBB1_27:
	s_cmp_lt_u32 s8, 3
	s_cbranch_scc1 .LBB1_38
; %bb.28:
	s_lshl_b32 s10, s16, 4
	s_lshl_b32 s8, s5, 2
	s_add_i32 s12, s10, s8
	v_lshl_or_b32 v1, v0, 2, s10
	s_add_i32 s8, s12, -16
	v_add_u32_e32 v1, 48, v1
	s_sub_i32 s10, s12, 20
	s_sub_i32 s11, s12, 24
	;; [unrolled: 1-line block ×3, first 2 shown]
	s_branch .LBB1_30
.LBB1_29:                               ;   in Loop: Header=BB1_30 Depth=1
	s_sub_i32 s13, s13, 20
	v_mov_b32_e32 v4, s13
	ds_read_b32 v4, v4
	s_add_i32 s13, s5, -4
	s_add_i32 s8, s8, -16
	;; [unrolled: 1-line block ×5, first 2 shown]
	s_waitcnt lgkmcnt(0)
	v_mul_f32_e32 v4, v6, v4
	s_cmp_lt_i32 s5, 4
	s_mov_b32 s5, s13
	ds_write_b32 v2, v4
	s_cbranch_scc1 .LBB1_38
.LBB1_30:                               ; =>This Loop Header: Depth=1
                                        ;     Child Loop BB1_31 Depth 2
                                        ;     Child Loop BB1_33 Depth 2
	;; [unrolled: 1-line block ×4, first 2 shown]
	s_lshl_b32 s14, s5, 4
	v_add_u32_e32 v4, s14, v3
	ds_read_b32 v5, v4
	s_cmp_le_i32 s4, s5
	v_mov_b32_e32 v2, v1
	s_mov_b32 s13, s8
	s_mov_b32 s15, s4
	s_cbranch_scc1 .LBB1_32
.LBB1_31:                               ;   Parent Loop BB1_30 Depth=1
                                        ; =>  This Inner Loop Header: Depth=2
	v_mov_b32_e32 v7, s13
	ds_read_b32 v6, v2
	ds_read_b32 v7, v7
	s_add_i32 s15, s15, -1
	s_add_i32 s13, s13, -16
	v_add_u32_e32 v2, -16, v2
	s_cmp_gt_i32 s15, s5
	s_waitcnt lgkmcnt(0)
	v_fma_f32 v5, -v6, v7, v5
	s_cbranch_scc1 .LBB1_31
.LBB1_32:                               ;   in Loop: Header=BB1_30 Depth=1
	s_mul_i32 s13, s5, 20
	v_mov_b32_e32 v2, s13
	ds_read_b32 v7, v2
	s_add_i32 s14, s14, -16
	v_add_u32_e32 v2, s14, v3
	ds_read_b32 v6, v2
	s_cmp_le_i32 s16, s5
	s_waitcnt lgkmcnt(1)
	v_mul_f32_e32 v5, v5, v7
	ds_write_b32 v4, v5
	v_mov_b32_e32 v4, v1
	s_mov_b32 s14, s10
	s_mov_b32 s15, s16
	s_cbranch_scc1 .LBB1_34
.LBB1_33:                               ;   Parent Loop BB1_30 Depth=1
                                        ; =>  This Inner Loop Header: Depth=2
	v_mov_b32_e32 v7, s14
	ds_read_b32 v5, v4
	ds_read_b32 v7, v7
	s_add_i32 s15, s15, -1
	s_add_i32 s14, s14, -16
	v_add_u32_e32 v4, -16, v4
	s_cmp_gt_i32 s15, s5
	s_waitcnt lgkmcnt(0)
	v_fma_f32 v6, -v5, v7, v6
	s_cbranch_scc1 .LBB1_33
.LBB1_34:                               ;   in Loop: Header=BB1_30 Depth=1
	s_sub_i32 s13, s13, 20
	v_mov_b32_e32 v4, s13
	s_add_i32 s14, s5, -2
	ds_read_b32 v7, v4
	s_lshl_b32 s15, s14, 4
	v_add_u32_e32 v4, s15, v3
	ds_read_b32 v5, v4
	s_cmp_le_i32 s4, s14
	s_waitcnt lgkmcnt(1)
	v_mul_f32_e32 v6, v6, v7
	ds_write_b32 v2, v6
	v_mov_b32_e32 v2, v1
	s_mov_b32 s15, s11
	s_mov_b32 s17, s4
	s_cbranch_scc1 .LBB1_36
.LBB1_35:                               ;   Parent Loop BB1_30 Depth=1
                                        ; =>  This Inner Loop Header: Depth=2
	v_mov_b32_e32 v7, s15
	ds_read_b32 v6, v2
	ds_read_b32 v7, v7
	s_add_i32 s17, s17, -1
	s_add_i32 s15, s15, -16
	v_add_u32_e32 v2, -16, v2
	s_cmp_gt_i32 s17, s14
	s_waitcnt lgkmcnt(0)
	v_fma_f32 v5, -v6, v7, v5
	s_cbranch_scc1 .LBB1_35
.LBB1_36:                               ;   in Loop: Header=BB1_30 Depth=1
	s_sub_i32 s13, s13, 20
	v_mov_b32_e32 v2, s13
	s_add_i32 s14, s5, -3
	ds_read_b32 v7, v2
	s_lshl_b32 s15, s14, 4
	v_add_u32_e32 v2, s15, v3
	ds_read_b32 v6, v2
	s_cmp_le_i32 s4, s14
	s_waitcnt lgkmcnt(1)
	v_mul_f32_e32 v5, v5, v7
	ds_write_b32 v4, v5
	v_mov_b32_e32 v4, v1
	s_mov_b32 s15, s12
	s_mov_b32 s17, s4
	s_cbranch_scc1 .LBB1_29
.LBB1_37:                               ;   Parent Loop BB1_30 Depth=1
                                        ; =>  This Inner Loop Header: Depth=2
	v_mov_b32_e32 v7, s15
	ds_read_b32 v5, v4
	ds_read_b32 v7, v7
	s_add_i32 s17, s17, -1
	s_add_i32 s15, s15, -16
	v_add_u32_e32 v4, -16, v4
	s_cmp_gt_i32 s17, s14
	s_waitcnt lgkmcnt(0)
	v_fma_f32 v6, -v5, v7, v6
	s_cbranch_scc1 .LBB1_37
	s_branch .LBB1_29
.LBB1_38:
	s_waitcnt lgkmcnt(0)
	; wave barrier
	s_and_saveexec_b64 s[4:5], s[0:1]
	s_cbranch_execz .LBB1_42
; %bb.39:
	s_andn2_b64 vcc, exec, s[2:3]
	s_cbranch_vccnz .LBB1_42
; %bb.40:
	v_mad_i64_i32 v[0:1], s[0:1], s9, v0, 0
	v_mov_b32_e32 v2, s7
	v_lshlrev_b64 v[0:1], 2, v[0:1]
	v_add_co_u32_e32 v0, vcc, s6, v0
	v_addc_co_u32_e32 v1, vcc, v2, v1, vcc
.LBB1_41:                               ; =>This Inner Loop Header: Depth=1
	ds_read_b32 v2, v3
	s_add_i32 s16, s16, -1
	v_add_u32_e32 v3, 16, v3
	s_cmp_lg_u32 s16, 0
	s_waitcnt lgkmcnt(0)
	global_store_dword v[0:1], v2, off
	v_add_co_u32_e32 v0, vcc, 4, v0
	v_addc_co_u32_e32 v1, vcc, 0, v1, vcc
	s_cbranch_scc1 .LBB1_41
.LBB1_42:
	s_endpgm
	.section	.rodata,"a",@progbits
	.p2align	6, 0x0
	.amdhsa_kernel _ZL38rocblas_trsm_small_left_device_sharedBILi4ELi4ELb0EffPKfPfEv13rocblas_fill_18rocblas_operation_17rocblas_diagonal_iiT3_T4_lilT5_lili
		.amdhsa_group_segment_fixed_size 128
		.amdhsa_private_segment_fixed_size 0
		.amdhsa_kernarg_size 352
		.amdhsa_user_sgpr_count 6
		.amdhsa_user_sgpr_private_segment_buffer 1
		.amdhsa_user_sgpr_dispatch_ptr 0
		.amdhsa_user_sgpr_queue_ptr 0
		.amdhsa_user_sgpr_kernarg_segment_ptr 1
		.amdhsa_user_sgpr_dispatch_id 0
		.amdhsa_user_sgpr_flat_scratch_init 0
		.amdhsa_user_sgpr_private_segment_size 0
		.amdhsa_uses_dynamic_stack 0
		.amdhsa_system_sgpr_private_segment_wavefront_offset 0
		.amdhsa_system_sgpr_workgroup_id_x 1
		.amdhsa_system_sgpr_workgroup_id_y 0
		.amdhsa_system_sgpr_workgroup_id_z 1
		.amdhsa_system_sgpr_workgroup_info 0
		.amdhsa_system_vgpr_workitem_id 0
		.amdhsa_next_free_vgpr 16
		.amdhsa_next_free_sgpr 24
		.amdhsa_reserve_vcc 1
		.amdhsa_reserve_flat_scratch 0
		.amdhsa_float_round_mode_32 0
		.amdhsa_float_round_mode_16_64 0
		.amdhsa_float_denorm_mode_32 3
		.amdhsa_float_denorm_mode_16_64 3
		.amdhsa_dx10_clamp 1
		.amdhsa_ieee_mode 1
		.amdhsa_fp16_overflow 0
		.amdhsa_exception_fp_ieee_invalid_op 0
		.amdhsa_exception_fp_denorm_src 0
		.amdhsa_exception_fp_ieee_div_zero 0
		.amdhsa_exception_fp_ieee_overflow 0
		.amdhsa_exception_fp_ieee_underflow 0
		.amdhsa_exception_fp_ieee_inexact 0
		.amdhsa_exception_int_div_zero 0
	.end_amdhsa_kernel
	.section	.text._ZL38rocblas_trsm_small_left_device_sharedBILi4ELi4ELb0EffPKfPfEv13rocblas_fill_18rocblas_operation_17rocblas_diagonal_iiT3_T4_lilT5_lili,"axG",@progbits,_ZL38rocblas_trsm_small_left_device_sharedBILi4ELi4ELb0EffPKfPfEv13rocblas_fill_18rocblas_operation_17rocblas_diagonal_iiT3_T4_lilT5_lili,comdat
.Lfunc_end1:
	.size	_ZL38rocblas_trsm_small_left_device_sharedBILi4ELi4ELb0EffPKfPfEv13rocblas_fill_18rocblas_operation_17rocblas_diagonal_iiT3_T4_lilT5_lili, .Lfunc_end1-_ZL38rocblas_trsm_small_left_device_sharedBILi4ELi4ELb0EffPKfPfEv13rocblas_fill_18rocblas_operation_17rocblas_diagonal_iiT3_T4_lilT5_lili
                                        ; -- End function
	.set _ZL38rocblas_trsm_small_left_device_sharedBILi4ELi4ELb0EffPKfPfEv13rocblas_fill_18rocblas_operation_17rocblas_diagonal_iiT3_T4_lilT5_lili.num_vgpr, 16
	.set _ZL38rocblas_trsm_small_left_device_sharedBILi4ELi4ELb0EffPKfPfEv13rocblas_fill_18rocblas_operation_17rocblas_diagonal_iiT3_T4_lilT5_lili.num_agpr, 0
	.set _ZL38rocblas_trsm_small_left_device_sharedBILi4ELi4ELb0EffPKfPfEv13rocblas_fill_18rocblas_operation_17rocblas_diagonal_iiT3_T4_lilT5_lili.numbered_sgpr, 24
	.set _ZL38rocblas_trsm_small_left_device_sharedBILi4ELi4ELb0EffPKfPfEv13rocblas_fill_18rocblas_operation_17rocblas_diagonal_iiT3_T4_lilT5_lili.num_named_barrier, 0
	.set _ZL38rocblas_trsm_small_left_device_sharedBILi4ELi4ELb0EffPKfPfEv13rocblas_fill_18rocblas_operation_17rocblas_diagonal_iiT3_T4_lilT5_lili.private_seg_size, 0
	.set _ZL38rocblas_trsm_small_left_device_sharedBILi4ELi4ELb0EffPKfPfEv13rocblas_fill_18rocblas_operation_17rocblas_diagonal_iiT3_T4_lilT5_lili.uses_vcc, 1
	.set _ZL38rocblas_trsm_small_left_device_sharedBILi4ELi4ELb0EffPKfPfEv13rocblas_fill_18rocblas_operation_17rocblas_diagonal_iiT3_T4_lilT5_lili.uses_flat_scratch, 0
	.set _ZL38rocblas_trsm_small_left_device_sharedBILi4ELi4ELb0EffPKfPfEv13rocblas_fill_18rocblas_operation_17rocblas_diagonal_iiT3_T4_lilT5_lili.has_dyn_sized_stack, 0
	.set _ZL38rocblas_trsm_small_left_device_sharedBILi4ELi4ELb0EffPKfPfEv13rocblas_fill_18rocblas_operation_17rocblas_diagonal_iiT3_T4_lilT5_lili.has_recursion, 0
	.set _ZL38rocblas_trsm_small_left_device_sharedBILi4ELi4ELb0EffPKfPfEv13rocblas_fill_18rocblas_operation_17rocblas_diagonal_iiT3_T4_lilT5_lili.has_indirect_call, 0
	.section	.AMDGPU.csdata,"",@progbits
; Kernel info:
; codeLenInByte = 1976
; TotalNumSgprs: 28
; NumVgprs: 16
; ScratchSize: 0
; MemoryBound: 0
; FloatMode: 240
; IeeeMode: 1
; LDSByteSize: 128 bytes/workgroup (compile time only)
; SGPRBlocks: 3
; VGPRBlocks: 3
; NumSGPRsForWavesPerEU: 28
; NumVGPRsForWavesPerEU: 16
; Occupancy: 10
; WaveLimiterHint : 0
; COMPUTE_PGM_RSRC2:SCRATCH_EN: 0
; COMPUTE_PGM_RSRC2:USER_SGPR: 6
; COMPUTE_PGM_RSRC2:TRAP_HANDLER: 0
; COMPUTE_PGM_RSRC2:TGID_X_EN: 1
; COMPUTE_PGM_RSRC2:TGID_Y_EN: 0
; COMPUTE_PGM_RSRC2:TGID_Z_EN: 1
; COMPUTE_PGM_RSRC2:TIDIG_COMP_CNT: 0
	.section	.text._ZL30rocblas_trsm_small_left_deviceILi4ELi4ELb0EffPKfPfEv13rocblas_fill_18rocblas_operation_17rocblas_diagonal_iiT3_T4_lilT5_lili,"axG",@progbits,_ZL30rocblas_trsm_small_left_deviceILi4ELi4ELb0EffPKfPfEv13rocblas_fill_18rocblas_operation_17rocblas_diagonal_iiT3_T4_lilT5_lili,comdat
	.globl	_ZL30rocblas_trsm_small_left_deviceILi4ELi4ELb0EffPKfPfEv13rocblas_fill_18rocblas_operation_17rocblas_diagonal_iiT3_T4_lilT5_lili ; -- Begin function _ZL30rocblas_trsm_small_left_deviceILi4ELi4ELb0EffPKfPfEv13rocblas_fill_18rocblas_operation_17rocblas_diagonal_iiT3_T4_lilT5_lili
	.p2align	8
	.type	_ZL30rocblas_trsm_small_left_deviceILi4ELi4ELb0EffPKfPfEv13rocblas_fill_18rocblas_operation_17rocblas_diagonal_iiT3_T4_lilT5_lili,@function
_ZL30rocblas_trsm_small_left_deviceILi4ELi4ELb0EffPKfPfEv13rocblas_fill_18rocblas_operation_17rocblas_diagonal_iiT3_T4_lilT5_lili: ; @_ZL30rocblas_trsm_small_left_deviceILi4ELi4ELb0EffPKfPfEv13rocblas_fill_18rocblas_operation_17rocblas_diagonal_iiT3_T4_lilT5_lili
; %bb.0:
	s_load_dwordx4 s[0:3], s[4:5], 0x4
	s_load_dword s16, s[4:5], 0x14
	s_load_dwordx4 s[8:11], s[4:5], 0x30
	s_load_dwordx2 s[12:13], s[4:5], 0x40
	s_waitcnt lgkmcnt(0)
	s_min_i32 s17, s2, 4
	v_cmp_gt_i32_e32 vcc, s17, v0
	s_and_saveexec_b64 s[14:15], vcc
	s_cbranch_execz .LBB2_6
; %bb.1:
	s_load_dword s18, s[4:5], 0x28
	s_load_dwordx4 s[20:23], s[4:5], 0x18
	s_mul_i32 s9, s9, s7
	s_mul_hi_u32 s19, s8, s7
	s_add_i32 s9, s19, s9
	s_mul_i32 s8, s8, s7
	s_waitcnt lgkmcnt(0)
	s_ashr_i32 s19, s18, 31
	s_lshl_b64 s[8:9], s[8:9], 2
	s_add_u32 s20, s20, s8
	s_addc_u32 s21, s21, s9
	s_lshl_b64 s[8:9], s[22:23], 2
	s_add_u32 s8, s20, s8
	s_addc_u32 s9, s21, s9
	v_lshlrev_b32_e32 v3, 2, v0
	v_mov_b32_e32 v2, s9
	v_add_co_u32_e32 v1, vcc, s8, v3
	s_lshl_b64 s[8:9], s[18:19], 2
	v_addc_co_u32_e32 v2, vcc, 0, v2, vcc
	v_mov_b32_e32 v4, s9
	v_mov_b32_e32 v5, v3
	s_mov_b32 s9, s17
.LBB2_2:                                ; =>This Inner Loop Header: Depth=1
	global_load_dword v6, v[1:2], off
	v_add_co_u32_e32 v1, vcc, s8, v1
	s_add_i32 s9, s9, -1
	v_addc_co_u32_e32 v2, vcc, v2, v4, vcc
	s_cmp_eq_u32 s9, 0
	s_waitcnt vmcnt(0)
	ds_write_b32 v5, v6
	v_add_u32_e32 v5, 16, v5
	s_cbranch_scc0 .LBB2_2
; %bb.3:
	v_lshlrev_b32_e32 v1, 4, v0
	s_cmpk_lg_i32 s1, 0x84
	v_mov_b32_e32 v2, 1.0
	v_add_u32_e32 v1, v3, v1
	s_cbranch_scc0 .LBB2_5
; %bb.4:
	ds_read_b32 v2, v1
	s_waitcnt lgkmcnt(0)
	v_div_scale_f32 v3, s[8:9], v2, v2, 1.0
	v_div_scale_f32 v4, vcc, 1.0, v2, 1.0
	v_rcp_f32_e32 v5, v3
	v_fma_f32 v6, -v3, v5, 1.0
	v_fmac_f32_e32 v5, v6, v5
	v_mul_f32_e32 v6, v4, v5
	v_fma_f32 v7, -v3, v6, v4
	v_fmac_f32_e32 v6, v7, v5
	v_fma_f32 v3, -v3, v6, v4
	v_div_fmas_f32 v3, v3, v5, v6
	v_div_fixup_f32 v2, v3, v2, 1.0
.LBB2_5:
	ds_write_b32 v1, v2
.LBB2_6:
	s_or_b64 exec, exec, s[14:15]
	s_load_dword s1, s[4:5], 0x60
	s_waitcnt lgkmcnt(0)
	; wave barrier
	s_add_i32 s8, s1, -1
	s_lshl_b32 s1, s6, 2
	s_sub_i32 s3, s3, s1
	s_cmp_ge_u32 s6, s8
	s_cselect_b32 s3, s3, 4
	v_cmp_gt_i32_e32 vcc, s3, v0
	s_and_saveexec_b64 s[8:9], vcc
	s_cbranch_execz .LBB2_36
; %bb.7:
	s_load_dwordx2 s[8:9], s[4:5], 0x50
	s_load_dword s3, s[4:5], 0x48
	v_add_u32_e32 v0, s1, v0
	s_waitcnt lgkmcnt(0)
	s_mul_i32 s1, s9, s7
	s_mul_hi_u32 s5, s8, s7
	s_mul_i32 s4, s8, s7
	s_add_i32 s5, s5, s1
	s_lshl_b64 s[4:5], s[4:5], 2
	s_add_u32 s1, s10, s4
	s_addc_u32 s6, s11, s5
	v_mad_i64_i32 v[0:1], s[4:5], s3, v0, 0
	s_lshl_b64 s[4:5], s[12:13], 2
	s_add_u32 s1, s1, s4
	v_lshlrev_b64 v[0:1], 2, v[0:1]
	s_addc_u32 s3, s6, s5
	v_mov_b32_e32 v2, s3
	v_add_co_u32_e32 v0, vcc, s1, v0
	v_addc_co_u32_e32 v1, vcc, v2, v1, vcc
	s_cmpk_eq_i32 s0, 0x6f
	s_mov_b64 s[0:1], -1
	s_cbranch_scc1 .LBB2_16
; %bb.8:
	s_cmp_gt_i32 s2, 3
	s_cbranch_scc0 .LBB2_10
; %bb.9:
	global_load_dwordx4 v[2:5], v[0:1], off
	v_mov_b32_e32 v6, 0
	ds_read_b32 v7, v6
	ds_read_b64 v[12:13], v6 offset:16
	ds_read_b96 v[9:11], v6 offset:32
	s_mov_b32 s0, 4
	s_waitcnt vmcnt(0)
	v_mul_f32_e32 v2, s16, v2
	s_waitcnt lgkmcnt(2)
	v_mul_f32_e32 v2, v2, v7
	s_waitcnt lgkmcnt(1)
	;; [unrolled: 2-line block ×3, first 2 shown]
	v_mul_f32_e32 v8, v2, v9
	v_fma_f32 v3, s16, v3, -v7
	v_fma_f32 v4, s16, v4, -v8
	ds_read_b128 v[6:9], v6 offset:48
	v_mul_f32_e32 v3, v3, v13
	v_fma_f32 v4, -v3, v10, v4
	v_mul_f32_e32 v4, v4, v11
	s_waitcnt lgkmcnt(0)
	v_mul_f32_e32 v6, v2, v6
	v_fma_f32 v5, s16, v5, -v6
	v_fma_f32 v5, -v3, v7, v5
	v_fma_f32 v5, -v4, v8, v5
	v_mul_f32_e32 v5, v5, v9
	global_store_dwordx4 v[0:1], v[2:5], off
	s_cmp_ge_i32 s0, s17
	s_cbranch_scc0 .LBB2_11
	s_branch .LBB2_15
.LBB2_10:
	s_mov_b32 s0, 0
	s_cmp_ge_i32 s0, s17
	s_cbranch_scc1 .LBB2_15
.LBB2_11:
	s_lshl_b32 s3, s0, 4
	s_mov_b32 s1, 0
	s_branch .LBB2_13
.LBB2_12:                               ;   in Loop: Header=BB2_13 Depth=1
	s_mul_i32 s4, s0, 20
	v_mov_b32_e32 v4, s4
	ds_read_b32 v4, v4
	s_add_i32 s0, s0, 1
	s_add_i32 s3, s3, 16
	s_cmp_ge_i32 s0, s17
	s_waitcnt lgkmcnt(0)
	v_mul_f32_e32 v4, v6, v4
	global_store_dword v[2:3], v4, off
	s_cbranch_scc1 .LBB2_15
.LBB2_13:                               ; =>This Loop Header: Depth=1
                                        ;     Child Loop BB2_14 Depth 2
	s_lshl_b64 s[4:5], s[0:1], 2
	v_mov_b32_e32 v3, s5
	v_add_co_u32_e32 v2, vcc, s4, v0
	v_addc_co_u32_e32 v3, vcc, v1, v3, vcc
	global_load_dword v6, v[2:3], off
	v_mov_b32_e32 v5, v1
	v_mov_b32_e32 v4, v0
	s_mov_b32 s4, s0
	s_cmp_eq_u32 s0, 0
	s_mov_b32 s5, s3
	s_waitcnt vmcnt(0)
	v_mul_f32_e32 v6, s16, v6
	s_cbranch_scc1 .LBB2_12
.LBB2_14:                               ;   Parent Loop BB2_13 Depth=1
                                        ; =>  This Inner Loop Header: Depth=2
	global_load_dword v7, v[4:5], off
	v_mov_b32_e32 v8, s5
	ds_read_b32 v8, v8
	s_add_i32 s5, s5, 4
	s_add_i32 s4, s4, -1
	v_add_co_u32_e32 v4, vcc, 4, v4
	v_addc_co_u32_e32 v5, vcc, 0, v5, vcc
	s_cmp_lg_u32 s4, 0
	s_waitcnt vmcnt(0) lgkmcnt(0)
	v_fma_f32 v6, -v7, v8, v6
	s_cbranch_scc1 .LBB2_14
	s_branch .LBB2_12
.LBB2_15:
	s_mov_b64 s[0:1], 0
.LBB2_16:
	s_and_b64 vcc, exec, s[0:1]
	s_cbranch_vccz .LBB2_36
; %bb.17:
	s_add_i32 s6, s17, -1
	s_cmp_gt_i32 s2, 3
	s_mov_b32 s4, -1
	s_cbranch_scc0 .LBB2_19
; %bb.18:
	global_load_dwordx4 v[2:5], v[0:1], off
	v_mov_b32_e32 v10, 0
	ds_read_b128 v[6:9], v10 offset:48
	s_waitcnt vmcnt(0)
	v_mul_f32_e32 v5, s16, v5
	s_waitcnt lgkmcnt(0)
	v_mul_f32_e32 v5, v5, v9
	v_mul_f32_e32 v11, v5, v8
	;; [unrolled: 1-line block ×4, first 2 shown]
	ds_read_b32 v14, v10
	ds_read_b96 v[6:8], v10 offset:32
	ds_read_b64 v[9:10], v10 offset:16
	v_fma_f32 v4, s16, v4, -v11
	v_fma_f32 v3, s16, v3, -v12
	;; [unrolled: 1-line block ×3, first 2 shown]
	s_waitcnt lgkmcnt(1)
	v_mul_f32_e32 v4, v4, v8
	v_fma_f32 v3, -v4, v7, v3
	s_waitcnt lgkmcnt(0)
	v_mul_f32_e32 v3, v3, v10
	v_fma_f32 v2, -v4, v6, v2
	v_fma_f32 v2, -v3, v9, v2
	v_mul_f32_e32 v2, v2, v14
	global_store_dwordx4 v[0:1], v[2:5], off
	s_cmp_lt_i32 s4, 0
	s_cbranch_scc0 .LBB2_20
	s_branch .LBB2_36
.LBB2_19:
	s_mov_b32 s4, s6
	s_cmp_lt_i32 s4, 0
	s_cbranch_scc1 .LBB2_36
.LBB2_20:
	s_and_b32 s0, s4, 3
	s_cmp_eq_u32 s0, 3
	s_mov_b32 s0, s4
	s_cbranch_scc1 .LBB2_25
; %bb.21:
	s_add_i32 s0, s4, 1
	s_and_b32 s5, s0, 3
	s_lshl_b32 s0, s17, 4
	s_lshl_b32 s1, s4, 2
	s_add_i32 s0, s0, s1
	s_add_i32 s7, s0, -16
	s_mov_b32 s3, 0
	s_mov_b32 s0, s4
	;; [unrolled: 1-line block ×3, first 2 shown]
	s_branch .LBB2_23
.LBB2_22:                               ;   in Loop: Header=BB2_23 Depth=1
	s_mul_i32 s1, s0, 20
	v_mov_b32_e32 v5, s1
	ds_read_b32 v5, v5
	s_add_i32 s0, s0, -1
	s_add_i32 s8, s8, 1
	s_add_i32 s7, s7, -4
	s_cmp_lg_u32 s8, s5
	s_waitcnt lgkmcnt(0)
	v_mul_f32_e32 v4, v4, v5
	global_store_dword v[2:3], v4, off
	s_cbranch_scc0 .LBB2_25
.LBB2_23:                               ; =>This Loop Header: Depth=1
                                        ;     Child Loop BB2_24 Depth 2
	s_mov_b32 s1, s3
	s_lshl_b64 s[10:11], s[0:1], 2
	v_mov_b32_e32 v3, s11
	v_add_co_u32_e32 v2, vcc, s10, v0
	v_addc_co_u32_e32 v3, vcc, v1, v3, vcc
	global_load_dword v4, v[2:3], off
	s_mov_b32 s1, s7
	s_cmp_le_i32 s6, s0
	s_mov_b32 s2, s6
	s_waitcnt vmcnt(0)
	v_mul_f32_e32 v4, s16, v4
	s_cbranch_scc1 .LBB2_22
.LBB2_24:                               ;   Parent Loop BB2_23 Depth=1
                                        ; =>  This Inner Loop Header: Depth=2
	s_lshl_b64 s[10:11], s[2:3], 2
	v_mov_b32_e32 v6, s11
	v_add_co_u32_e32 v5, vcc, s10, v0
	v_addc_co_u32_e32 v6, vcc, v1, v6, vcc
	global_load_dword v5, v[5:6], off
	v_mov_b32_e32 v6, s1
	ds_read_b32 v6, v6
	s_add_i32 s2, s2, -1
	s_add_i32 s1, s1, -16
	s_cmp_gt_i32 s2, s0
	s_waitcnt vmcnt(0) lgkmcnt(0)
	v_fma_f32 v4, -v5, v6, v4
	s_cbranch_scc1 .LBB2_24
	s_branch .LBB2_22
.LBB2_25:
	s_cmp_lt_u32 s4, 3
	s_cbranch_scc1 .LBB2_36
; %bb.26:
	s_lshl_b32 s1, s17, 4
	s_lshl_b32 s2, s0, 2
	s_add_i32 s1, s1, s2
	s_add_i32 s7, s1, -16
	s_sub_i32 s8, s1, 20
	s_sub_i32 s9, s1, 24
	;; [unrolled: 1-line block ×3, first 2 shown]
	s_mov_b32 s3, 0
	s_branch .LBB2_28
.LBB2_27:                               ;   in Loop: Header=BB2_28 Depth=1
	s_sub_i32 s1, s1, 20
	v_mov_b32_e32 v5, s1
	ds_read_b32 v5, v5
	s_add_i32 s1, s0, -4
	s_add_i32 s7, s7, -16
	;; [unrolled: 1-line block ×5, first 2 shown]
	s_waitcnt lgkmcnt(0)
	v_mul_f32_e32 v4, v4, v5
	s_cmp_lt_i32 s0, 4
	s_mov_b32 s0, s1
	global_store_dword v[2:3], v4, off
	s_cbranch_scc1 .LBB2_36
.LBB2_28:                               ; =>This Loop Header: Depth=1
                                        ;     Child Loop BB2_29 Depth 2
                                        ;     Child Loop BB2_31 Depth 2
	;; [unrolled: 1-line block ×4, first 2 shown]
	s_mov_b32 s1, s3
	s_lshl_b64 s[4:5], s[0:1], 2
	v_mov_b32_e32 v2, s5
	v_add_co_u32_e32 v4, vcc, s4, v0
	v_addc_co_u32_e32 v5, vcc, v1, v2, vcc
	global_load_dword v2, v[4:5], off
	s_mov_b32 s1, s7
	s_cmp_le_i32 s6, s0
	s_mov_b32 s2, s6
	s_waitcnt vmcnt(0)
	v_mul_f32_e32 v6, s16, v2
	s_cbranch_scc1 .LBB2_30
.LBB2_29:                               ;   Parent Loop BB2_28 Depth=1
                                        ; =>  This Inner Loop Header: Depth=2
	s_lshl_b64 s[4:5], s[2:3], 2
	v_mov_b32_e32 v3, s5
	v_add_co_u32_e32 v2, vcc, s4, v0
	v_addc_co_u32_e32 v3, vcc, v1, v3, vcc
	global_load_dword v2, v[2:3], off
	v_mov_b32_e32 v3, s1
	ds_read_b32 v3, v3
	s_add_i32 s2, s2, -1
	s_add_i32 s1, s1, -16
	s_cmp_gt_i32 s2, s0
	s_waitcnt vmcnt(0) lgkmcnt(0)
	v_fma_f32 v6, -v2, v3, v6
	s_cbranch_scc1 .LBB2_29
.LBB2_30:                               ;   in Loop: Header=BB2_28 Depth=1
	s_add_i32 s2, s0, -1
	s_lshl_b64 s[4:5], s[2:3], 2
	v_mov_b32_e32 v3, s5
	v_add_co_u32_e32 v2, vcc, s4, v0
	v_addc_co_u32_e32 v3, vcc, v1, v3, vcc
	global_load_dword v7, v[2:3], off
	s_mul_i32 s1, s0, 20
	v_mov_b32_e32 v8, s1
	ds_read_b32 v8, v8
	s_mov_b32 s4, s8
	s_cmp_le_i32 s17, s0
	s_mov_b32 s2, s17
	s_waitcnt lgkmcnt(0)
	v_mul_f32_e32 v6, v6, v8
	global_store_dword v[4:5], v6, off
	s_waitcnt vmcnt(1)
	v_mul_f32_e32 v6, s16, v7
	s_cbranch_scc1 .LBB2_32
.LBB2_31:                               ;   Parent Loop BB2_28 Depth=1
                                        ; =>  This Inner Loop Header: Depth=2
	s_add_i32 s2, s2, -1
	s_lshl_b64 s[12:13], s[2:3], 2
	v_mov_b32_e32 v5, s13
	v_add_co_u32_e32 v4, vcc, s12, v0
	v_addc_co_u32_e32 v5, vcc, v1, v5, vcc
	global_load_dword v4, v[4:5], off
	v_mov_b32_e32 v5, s4
	ds_read_b32 v5, v5
	s_add_i32 s4, s4, -16
	s_cmp_gt_i32 s2, s0
	s_waitcnt vmcnt(0) lgkmcnt(0)
	v_fma_f32 v6, -v4, v5, v6
	s_cbranch_scc1 .LBB2_31
.LBB2_32:                               ;   in Loop: Header=BB2_28 Depth=1
	s_add_i32 s4, s0, -2
	s_mov_b32 s5, s3
	s_lshl_b64 s[12:13], s[4:5], 2
	v_mov_b32_e32 v5, s13
	v_add_co_u32_e32 v4, vcc, s12, v0
	v_addc_co_u32_e32 v5, vcc, v1, v5, vcc
	global_load_dword v7, v[4:5], off
	s_sub_i32 s1, s1, 20
	v_mov_b32_e32 v8, s1
	ds_read_b32 v8, v8
	s_mov_b32 s5, s9
	s_cmp_le_i32 s6, s4
	s_mov_b32 s2, s6
	s_waitcnt lgkmcnt(0)
	v_mul_f32_e32 v6, v6, v8
	global_store_dword v[2:3], v6, off
	s_waitcnt vmcnt(1)
	v_mul_f32_e32 v6, s16, v7
	s_cbranch_scc1 .LBB2_34
.LBB2_33:                               ;   Parent Loop BB2_28 Depth=1
                                        ; =>  This Inner Loop Header: Depth=2
	s_lshl_b64 s[12:13], s[2:3], 2
	v_mov_b32_e32 v3, s13
	v_add_co_u32_e32 v2, vcc, s12, v0
	v_addc_co_u32_e32 v3, vcc, v1, v3, vcc
	global_load_dword v2, v[2:3], off
	v_mov_b32_e32 v3, s5
	ds_read_b32 v3, v3
	s_add_i32 s2, s2, -1
	s_add_i32 s5, s5, -16
	s_cmp_gt_i32 s2, s4
	s_waitcnt vmcnt(0) lgkmcnt(0)
	v_fma_f32 v6, -v2, v3, v6
	s_cbranch_scc1 .LBB2_33
.LBB2_34:                               ;   in Loop: Header=BB2_28 Depth=1
	s_add_i32 s4, s0, -3
	s_mov_b32 s5, s3
	s_lshl_b64 s[12:13], s[4:5], 2
	v_mov_b32_e32 v3, s13
	v_add_co_u32_e32 v2, vcc, s12, v0
	v_addc_co_u32_e32 v3, vcc, v1, v3, vcc
	global_load_dword v7, v[2:3], off
	s_sub_i32 s1, s1, 20
	v_mov_b32_e32 v8, s1
	ds_read_b32 v8, v8
	s_mov_b32 s5, s10
	s_cmp_le_i32 s6, s4
	s_mov_b32 s2, s6
	s_waitcnt lgkmcnt(0)
	v_mul_f32_e32 v6, v6, v8
	global_store_dword v[4:5], v6, off
	s_waitcnt vmcnt(1)
	v_mul_f32_e32 v4, s16, v7
	s_cbranch_scc1 .LBB2_27
.LBB2_35:                               ;   Parent Loop BB2_28 Depth=1
                                        ; =>  This Inner Loop Header: Depth=2
	s_lshl_b64 s[12:13], s[2:3], 2
	v_mov_b32_e32 v6, s13
	v_add_co_u32_e32 v5, vcc, s12, v0
	v_addc_co_u32_e32 v6, vcc, v1, v6, vcc
	global_load_dword v5, v[5:6], off
	v_mov_b32_e32 v6, s5
	ds_read_b32 v6, v6
	s_add_i32 s2, s2, -1
	s_add_i32 s5, s5, -16
	s_cmp_gt_i32 s2, s4
	s_waitcnt vmcnt(0) lgkmcnt(0)
	v_fma_f32 v4, -v5, v6, v4
	s_cbranch_scc1 .LBB2_35
	s_branch .LBB2_27
.LBB2_36:
	s_endpgm
	.section	.rodata,"a",@progbits
	.p2align	6, 0x0
	.amdhsa_kernel _ZL30rocblas_trsm_small_left_deviceILi4ELi4ELb0EffPKfPfEv13rocblas_fill_18rocblas_operation_17rocblas_diagonal_iiT3_T4_lilT5_lili
		.amdhsa_group_segment_fixed_size 64
		.amdhsa_private_segment_fixed_size 0
		.amdhsa_kernarg_size 352
		.amdhsa_user_sgpr_count 6
		.amdhsa_user_sgpr_private_segment_buffer 1
		.amdhsa_user_sgpr_dispatch_ptr 0
		.amdhsa_user_sgpr_queue_ptr 0
		.amdhsa_user_sgpr_kernarg_segment_ptr 1
		.amdhsa_user_sgpr_dispatch_id 0
		.amdhsa_user_sgpr_flat_scratch_init 0
		.amdhsa_user_sgpr_private_segment_size 0
		.amdhsa_uses_dynamic_stack 0
		.amdhsa_system_sgpr_private_segment_wavefront_offset 0
		.amdhsa_system_sgpr_workgroup_id_x 1
		.amdhsa_system_sgpr_workgroup_id_y 0
		.amdhsa_system_sgpr_workgroup_id_z 1
		.amdhsa_system_sgpr_workgroup_info 0
		.amdhsa_system_vgpr_workitem_id 0
		.amdhsa_next_free_vgpr 15
		.amdhsa_next_free_sgpr 24
		.amdhsa_reserve_vcc 1
		.amdhsa_reserve_flat_scratch 0
		.amdhsa_float_round_mode_32 0
		.amdhsa_float_round_mode_16_64 0
		.amdhsa_float_denorm_mode_32 3
		.amdhsa_float_denorm_mode_16_64 3
		.amdhsa_dx10_clamp 1
		.amdhsa_ieee_mode 1
		.amdhsa_fp16_overflow 0
		.amdhsa_exception_fp_ieee_invalid_op 0
		.amdhsa_exception_fp_denorm_src 0
		.amdhsa_exception_fp_ieee_div_zero 0
		.amdhsa_exception_fp_ieee_overflow 0
		.amdhsa_exception_fp_ieee_underflow 0
		.amdhsa_exception_fp_ieee_inexact 0
		.amdhsa_exception_int_div_zero 0
	.end_amdhsa_kernel
	.section	.text._ZL30rocblas_trsm_small_left_deviceILi4ELi4ELb0EffPKfPfEv13rocblas_fill_18rocblas_operation_17rocblas_diagonal_iiT3_T4_lilT5_lili,"axG",@progbits,_ZL30rocblas_trsm_small_left_deviceILi4ELi4ELb0EffPKfPfEv13rocblas_fill_18rocblas_operation_17rocblas_diagonal_iiT3_T4_lilT5_lili,comdat
.Lfunc_end2:
	.size	_ZL30rocblas_trsm_small_left_deviceILi4ELi4ELb0EffPKfPfEv13rocblas_fill_18rocblas_operation_17rocblas_diagonal_iiT3_T4_lilT5_lili, .Lfunc_end2-_ZL30rocblas_trsm_small_left_deviceILi4ELi4ELb0EffPKfPfEv13rocblas_fill_18rocblas_operation_17rocblas_diagonal_iiT3_T4_lilT5_lili
                                        ; -- End function
	.set _ZL30rocblas_trsm_small_left_deviceILi4ELi4ELb0EffPKfPfEv13rocblas_fill_18rocblas_operation_17rocblas_diagonal_iiT3_T4_lilT5_lili.num_vgpr, 15
	.set _ZL30rocblas_trsm_small_left_deviceILi4ELi4ELb0EffPKfPfEv13rocblas_fill_18rocblas_operation_17rocblas_diagonal_iiT3_T4_lilT5_lili.num_agpr, 0
	.set _ZL30rocblas_trsm_small_left_deviceILi4ELi4ELb0EffPKfPfEv13rocblas_fill_18rocblas_operation_17rocblas_diagonal_iiT3_T4_lilT5_lili.numbered_sgpr, 24
	.set _ZL30rocblas_trsm_small_left_deviceILi4ELi4ELb0EffPKfPfEv13rocblas_fill_18rocblas_operation_17rocblas_diagonal_iiT3_T4_lilT5_lili.num_named_barrier, 0
	.set _ZL30rocblas_trsm_small_left_deviceILi4ELi4ELb0EffPKfPfEv13rocblas_fill_18rocblas_operation_17rocblas_diagonal_iiT3_T4_lilT5_lili.private_seg_size, 0
	.set _ZL30rocblas_trsm_small_left_deviceILi4ELi4ELb0EffPKfPfEv13rocblas_fill_18rocblas_operation_17rocblas_diagonal_iiT3_T4_lilT5_lili.uses_vcc, 1
	.set _ZL30rocblas_trsm_small_left_deviceILi4ELi4ELb0EffPKfPfEv13rocblas_fill_18rocblas_operation_17rocblas_diagonal_iiT3_T4_lilT5_lili.uses_flat_scratch, 0
	.set _ZL30rocblas_trsm_small_left_deviceILi4ELi4ELb0EffPKfPfEv13rocblas_fill_18rocblas_operation_17rocblas_diagonal_iiT3_T4_lilT5_lili.has_dyn_sized_stack, 0
	.set _ZL30rocblas_trsm_small_left_deviceILi4ELi4ELb0EffPKfPfEv13rocblas_fill_18rocblas_operation_17rocblas_diagonal_iiT3_T4_lilT5_lili.has_recursion, 0
	.set _ZL30rocblas_trsm_small_left_deviceILi4ELi4ELb0EffPKfPfEv13rocblas_fill_18rocblas_operation_17rocblas_diagonal_iiT3_T4_lilT5_lili.has_indirect_call, 0
	.section	.AMDGPU.csdata,"",@progbits
; Kernel info:
; codeLenInByte = 1932
; TotalNumSgprs: 28
; NumVgprs: 15
; ScratchSize: 0
; MemoryBound: 0
; FloatMode: 240
; IeeeMode: 1
; LDSByteSize: 64 bytes/workgroup (compile time only)
; SGPRBlocks: 3
; VGPRBlocks: 3
; NumSGPRsForWavesPerEU: 28
; NumVGPRsForWavesPerEU: 15
; Occupancy: 10
; WaveLimiterHint : 0
; COMPUTE_PGM_RSRC2:SCRATCH_EN: 0
; COMPUTE_PGM_RSRC2:USER_SGPR: 6
; COMPUTE_PGM_RSRC2:TRAP_HANDLER: 0
; COMPUTE_PGM_RSRC2:TGID_X_EN: 1
; COMPUTE_PGM_RSRC2:TGID_Y_EN: 0
; COMPUTE_PGM_RSRC2:TGID_Z_EN: 1
; COMPUTE_PGM_RSRC2:TIDIG_COMP_CNT: 0
	.section	.text._ZL38rocblas_trsm_small_left_device_sharedBILi4ELi4ELb1EffPKfPfEv13rocblas_fill_18rocblas_operation_17rocblas_diagonal_iiT3_T4_lilT5_lili,"axG",@progbits,_ZL38rocblas_trsm_small_left_device_sharedBILi4ELi4ELb1EffPKfPfEv13rocblas_fill_18rocblas_operation_17rocblas_diagonal_iiT3_T4_lilT5_lili,comdat
	.globl	_ZL38rocblas_trsm_small_left_device_sharedBILi4ELi4ELb1EffPKfPfEv13rocblas_fill_18rocblas_operation_17rocblas_diagonal_iiT3_T4_lilT5_lili ; -- Begin function _ZL38rocblas_trsm_small_left_device_sharedBILi4ELi4ELb1EffPKfPfEv13rocblas_fill_18rocblas_operation_17rocblas_diagonal_iiT3_T4_lilT5_lili
	.p2align	8
	.type	_ZL38rocblas_trsm_small_left_device_sharedBILi4ELi4ELb1EffPKfPfEv13rocblas_fill_18rocblas_operation_17rocblas_diagonal_iiT3_T4_lilT5_lili,@function
_ZL38rocblas_trsm_small_left_device_sharedBILi4ELi4ELb1EffPKfPfEv13rocblas_fill_18rocblas_operation_17rocblas_diagonal_iiT3_T4_lilT5_lili: ; @_ZL38rocblas_trsm_small_left_device_sharedBILi4ELi4ELb1EffPKfPfEv13rocblas_fill_18rocblas_operation_17rocblas_diagonal_iiT3_T4_lilT5_lili
; %bb.0:
	s_load_dwordx4 s[8:11], s[4:5], 0x4
	s_load_dword s17, s[4:5], 0x14
	s_load_dwordx4 s[0:3], s[4:5], 0x30
	s_load_dwordx2 s[12:13], s[4:5], 0x40
	s_waitcnt lgkmcnt(0)
	s_min_i32 s16, s10, 4
	v_cmp_gt_i32_e32 vcc, s16, v0
	s_and_saveexec_b64 s[14:15], vcc
	s_cbranch_execz .LBB3_6
; %bb.1:
	s_load_dword s18, s[4:5], 0x28
	s_load_dwordx4 s[20:23], s[4:5], 0x18
	s_mul_i32 s1, s1, s7
	s_mul_hi_u32 s19, s0, s7
	s_add_i32 s1, s19, s1
	s_mul_i32 s0, s0, s7
	s_waitcnt lgkmcnt(0)
	s_ashr_i32 s19, s18, 31
	s_lshl_b64 s[0:1], s[0:1], 2
	s_add_u32 s20, s20, s0
	s_addc_u32 s21, s21, s1
	s_lshl_b64 s[0:1], s[22:23], 2
	s_add_u32 s0, s20, s0
	s_addc_u32 s1, s21, s1
	v_lshlrev_b32_e32 v3, 2, v0
	v_mov_b32_e32 v2, s1
	v_add_co_u32_e32 v1, vcc, s0, v3
	s_lshl_b64 s[0:1], s[18:19], 2
	v_addc_co_u32_e32 v2, vcc, 0, v2, vcc
	v_mov_b32_e32 v4, s1
	v_mov_b32_e32 v5, v3
	s_mov_b32 s1, s16
.LBB3_2:                                ; =>This Inner Loop Header: Depth=1
	global_load_dword v6, v[1:2], off
	v_add_co_u32_e32 v1, vcc, s0, v1
	s_add_i32 s1, s1, -1
	v_addc_co_u32_e32 v2, vcc, v2, v4, vcc
	s_cmp_eq_u32 s1, 0
	s_waitcnt vmcnt(0)
	ds_write_b32 v5, v6
	v_add_u32_e32 v5, 16, v5
	s_cbranch_scc0 .LBB3_2
; %bb.3:
	v_lshlrev_b32_e32 v1, 4, v0
	s_cmpk_lg_i32 s9, 0x84
	v_mov_b32_e32 v2, 1.0
	v_add_u32_e32 v1, v3, v1
	s_cbranch_scc0 .LBB3_5
; %bb.4:
	ds_read_b32 v2, v1
	s_waitcnt lgkmcnt(0)
	v_div_scale_f32 v3, s[0:1], v2, v2, 1.0
	v_div_scale_f32 v4, vcc, 1.0, v2, 1.0
	v_rcp_f32_e32 v5, v3
	v_fma_f32 v6, -v3, v5, 1.0
	v_fmac_f32_e32 v5, v6, v5
	v_mul_f32_e32 v6, v4, v5
	v_fma_f32 v7, -v3, v6, v4
	v_fmac_f32_e32 v6, v7, v5
	v_fma_f32 v3, -v3, v6, v4
	v_div_fmas_f32 v3, v3, v5, v6
	v_div_fixup_f32 v2, v3, v2, 1.0
.LBB3_5:
	ds_write_b32 v1, v2
.LBB3_6:
	s_or_b64 exec, exec, s[14:15]
	s_load_dword s0, s[4:5], 0x60
	s_load_dwordx2 s[14:15], s[4:5], 0x50
	s_load_dword s9, s[4:5], 0x48
	v_lshl_or_b32 v3, v0, 2, 64
	s_waitcnt lgkmcnt(0)
	s_mul_i32 s1, s15, s7
	s_mul_hi_u32 s5, s14, s7
	s_mul_i32 s4, s14, s7
	s_add_i32 s5, s5, s1
	s_lshl_b64 s[4:5], s[4:5], 2
	s_add_u32 s1, s2, s4
	s_addc_u32 s4, s3, s5
	s_lshl_b64 s[2:3], s[12:13], 2
	s_add_u32 s2, s1, s2
	s_addc_u32 s3, s4, s3
	s_lshl_b32 s4, s6, 2
	s_add_i32 s0, s0, -1
	s_sub_i32 s1, s11, s4
	s_cmp_ge_u32 s6, s0
	s_cselect_b32 s5, s1, 4
	s_mul_hi_i32 s1, s9, s4
	s_mul_i32 s0, s9, s4
	s_lshl_b64 s[0:1], s[0:1], 2
	s_add_u32 s6, s2, s0
	s_addc_u32 s7, s3, s1
	s_cmp_gt_i32 s10, 0
	v_cmp_gt_i32_e64 s[0:1], s5, v0
	s_cselect_b64 s[2:3], -1, 0
	s_and_b64 s[12:13], s[0:1], s[2:3]
	s_and_saveexec_b64 s[4:5], s[12:13]
	s_cbranch_execz .LBB3_9
; %bb.7:
	v_mad_i64_i32 v[1:2], s[12:13], s9, v0, 0
	v_mov_b32_e32 v4, s7
	s_mov_b32 s11, s16
	v_lshlrev_b64 v[1:2], 2, v[1:2]
	v_add_co_u32_e32 v1, vcc, s6, v1
	v_addc_co_u32_e32 v2, vcc, v4, v2, vcc
	v_lshl_or_b32 v4, v0, 2, 64
.LBB3_8:                                ; =>This Inner Loop Header: Depth=1
	global_load_dword v5, v[1:2], off
	s_add_i32 s11, s11, -1
	v_add_co_u32_e32 v1, vcc, 4, v1
	v_addc_co_u32_e32 v2, vcc, 0, v2, vcc
	s_cmp_lg_u32 s11, 0
	s_waitcnt vmcnt(0)
	v_mul_f32_e32 v5, s17, v5
	ds_write_b32 v4, v5
	v_add_u32_e32 v4, 16, v4
	s_cbranch_scc1 .LBB3_8
.LBB3_9:
	s_or_b64 exec, exec, s[4:5]
	s_cmpk_eq_i32 s8, 0x6f
	s_mov_b64 s[4:5], -1
	s_waitcnt lgkmcnt(0)
	; wave barrier
	s_cbranch_scc1 .LBB3_30
; %bb.10:
	s_add_i32 s4, s16, -1
	s_cmp_gt_i32 s10, 3
	s_mov_b32 s8, -1
	s_cbranch_scc0 .LBB3_12
; %bb.11:
	ds_read2_b32 v[1:2], v3 offset0:8 offset1:12
	v_mov_b32_e32 v12, 0
	ds_read_b32 v4, v12 offset:60
	ds_read_b32 v14, v12 offset:28
	ds_read_b64 v[8:9], v12 offset:40
	ds_read2_b32 v[10:11], v3 offset1:4
	s_waitcnt lgkmcnt(3)
	v_mul_f32_e32 v2, v2, v4
	ds_read_b128 v[4:7], v12
	ds_read2_b32 v[12:13], v12 offset0:5 offset1:6
	s_waitcnt lgkmcnt(3)
	v_fma_f32 v1, -v2, v9, v1
	v_mul_f32_e32 v1, v1, v8
	s_waitcnt lgkmcnt(2)
	v_fma_f32 v8, -v2, v14, v11
	ds_write2_b32 v3, v1, v2 offset0:8 offset1:12
	s_waitcnt lgkmcnt(1)
	v_fma_f32 v8, -v1, v13, v8
	v_fma_f32 v2, -v2, v7, v10
	v_mul_f32_e32 v8, v8, v12
	v_fma_f32 v1, -v1, v6, v2
	v_fma_f32 v1, -v8, v5, v1
	v_mul_f32_e32 v1, v1, v4
	ds_write2_b32 v3, v1, v8 offset1:4
	s_cmp_lt_i32 s8, 0
	s_cbranch_scc0 .LBB3_13
	s_branch .LBB3_29
.LBB3_12:
	s_mov_b32 s8, s4
	s_cmp_lt_i32 s8, 0
	s_cbranch_scc1 .LBB3_29
.LBB3_13:
	s_and_b32 s5, s8, 3
	s_cmp_eq_u32 s5, 3
	v_lshlrev_b32_e32 v1, 2, v0
	s_mov_b32 s5, s8
	s_cbranch_scc1 .LBB3_18
; %bb.14:
	s_add_i32 s5, s8, 1
	s_and_b32 s11, s5, 3
	s_lshl_b32 s5, s8, 4
	s_lshl_b32 s12, s16, 2
	s_add_i32 s5, s5, s12
	v_lshl_or_b32 v2, s16, 4, v1
	s_add_i32 s12, s5, -4
	v_add_u32_e32 v2, 48, v2
	s_mov_b32 s13, 0
	s_mov_b32 s5, s8
	s_branch .LBB3_16
.LBB3_15:                               ;   in Loop: Header=BB3_16 Depth=1
	s_mul_i32 s14, s5, 20
	v_mov_b32_e32 v6, s14
	ds_read_b32 v6, v6
	s_add_i32 s5, s5, -1
	s_add_i32 s13, s13, 1
	s_add_i32 s12, s12, -16
	s_cmp_lg_u32 s13, s11
	s_waitcnt lgkmcnt(0)
	v_mul_f32_e32 v5, v5, v6
	ds_write_b32 v4, v5
	s_cbranch_scc0 .LBB3_18
.LBB3_16:                               ; =>This Loop Header: Depth=1
                                        ;     Child Loop BB3_17 Depth 2
	s_lshl_b32 s14, s5, 4
	v_add_u32_e32 v4, s14, v3
	ds_read_b32 v5, v4
	s_cmp_le_i32 s4, s5
	v_mov_b32_e32 v6, v2
	s_mov_b32 s14, s12
	s_mov_b32 s15, s4
	s_cbranch_scc1 .LBB3_15
.LBB3_17:                               ;   Parent Loop BB3_16 Depth=1
                                        ; =>  This Inner Loop Header: Depth=2
	v_mov_b32_e32 v8, s14
	ds_read_b32 v7, v6
	ds_read_b32 v8, v8
	s_add_i32 s15, s15, -1
	s_add_i32 s14, s14, -4
	v_add_u32_e32 v6, -16, v6
	s_cmp_gt_i32 s15, s5
	s_waitcnt lgkmcnt(0)
	v_fma_f32 v5, -v7, v8, v5
	s_cbranch_scc1 .LBB3_17
	s_branch .LBB3_15
.LBB3_18:
	s_cmp_lt_u32 s8, 3
	s_cbranch_scc1 .LBB3_29
; %bb.19:
	s_lshl_b32 s8, s5, 4
	s_lshl_b32 s11, s16, 2
	s_add_i32 s13, s8, s11
	v_lshl_or_b32 v1, s16, 4, v1
	s_add_i32 s8, s13, -4
	v_add_u32_e32 v1, 48, v1
	s_sub_i32 s11, s13, 20
	s_sub_i32 s12, s13, 36
	;; [unrolled: 1-line block ×3, first 2 shown]
	s_branch .LBB3_21
.LBB3_20:                               ;   in Loop: Header=BB3_21 Depth=1
	s_sub_i32 s14, s14, 20
	v_mov_b32_e32 v4, s14
	ds_read_b32 v4, v4
	s_add_i32 s14, s5, -4
	s_sub_i32 s8, s8, 64
	s_sub_i32 s11, s11, 64
	s_sub_i32 s12, s12, 64
	s_sub_i32 s13, s13, 64
	s_waitcnt lgkmcnt(0)
	v_mul_f32_e32 v4, v6, v4
	s_cmp_lt_i32 s5, 4
	s_mov_b32 s5, s14
	ds_write_b32 v2, v4
	s_cbranch_scc1 .LBB3_29
.LBB3_21:                               ; =>This Loop Header: Depth=1
                                        ;     Child Loop BB3_22 Depth 2
                                        ;     Child Loop BB3_24 Depth 2
	;; [unrolled: 1-line block ×4, first 2 shown]
	s_lshl_b32 s15, s5, 4
	v_add_u32_e32 v4, s15, v3
	ds_read_b32 v5, v4
	s_cmp_le_i32 s4, s5
	v_mov_b32_e32 v2, v1
	s_mov_b32 s14, s8
	s_mov_b32 s17, s4
	s_cbranch_scc1 .LBB3_23
.LBB3_22:                               ;   Parent Loop BB3_21 Depth=1
                                        ; =>  This Inner Loop Header: Depth=2
	v_mov_b32_e32 v7, s14
	ds_read_b32 v6, v2
	ds_read_b32 v7, v7
	s_add_i32 s17, s17, -1
	s_add_i32 s14, s14, -4
	v_add_u32_e32 v2, -16, v2
	s_cmp_gt_i32 s17, s5
	s_waitcnt lgkmcnt(0)
	v_fma_f32 v5, -v6, v7, v5
	s_cbranch_scc1 .LBB3_22
.LBB3_23:                               ;   in Loop: Header=BB3_21 Depth=1
	s_mul_i32 s14, s5, 20
	v_mov_b32_e32 v2, s14
	ds_read_b32 v7, v2
	s_add_i32 s15, s15, -16
	v_add_u32_e32 v2, s15, v3
	ds_read_b32 v6, v2
	s_cmp_le_i32 s16, s5
	s_waitcnt lgkmcnt(1)
	v_mul_f32_e32 v5, v5, v7
	ds_write_b32 v4, v5
	v_mov_b32_e32 v4, v1
	s_mov_b32 s15, s11
	s_mov_b32 s17, s16
	s_cbranch_scc1 .LBB3_25
.LBB3_24:                               ;   Parent Loop BB3_21 Depth=1
                                        ; =>  This Inner Loop Header: Depth=2
	v_mov_b32_e32 v7, s15
	ds_read_b32 v5, v4
	ds_read_b32 v7, v7
	s_add_i32 s17, s17, -1
	s_add_i32 s15, s15, -4
	v_add_u32_e32 v4, -16, v4
	s_cmp_gt_i32 s17, s5
	s_waitcnt lgkmcnt(0)
	v_fma_f32 v6, -v5, v7, v6
	s_cbranch_scc1 .LBB3_24
.LBB3_25:                               ;   in Loop: Header=BB3_21 Depth=1
	s_sub_i32 s14, s14, 20
	v_mov_b32_e32 v4, s14
	s_add_i32 s15, s5, -2
	ds_read_b32 v7, v4
	s_lshl_b32 s17, s15, 4
	v_add_u32_e32 v4, s17, v3
	ds_read_b32 v5, v4
	s_cmp_le_i32 s4, s15
	s_waitcnt lgkmcnt(1)
	v_mul_f32_e32 v6, v6, v7
	ds_write_b32 v2, v6
	v_mov_b32_e32 v2, v1
	s_mov_b32 s17, s12
	s_mov_b32 s18, s4
	s_cbranch_scc1 .LBB3_27
.LBB3_26:                               ;   Parent Loop BB3_21 Depth=1
                                        ; =>  This Inner Loop Header: Depth=2
	v_mov_b32_e32 v7, s17
	ds_read_b32 v6, v2
	ds_read_b32 v7, v7
	s_add_i32 s18, s18, -1
	s_add_i32 s17, s17, -4
	v_add_u32_e32 v2, -16, v2
	s_cmp_gt_i32 s18, s15
	s_waitcnt lgkmcnt(0)
	v_fma_f32 v5, -v6, v7, v5
	s_cbranch_scc1 .LBB3_26
.LBB3_27:                               ;   in Loop: Header=BB3_21 Depth=1
	s_sub_i32 s14, s14, 20
	v_mov_b32_e32 v2, s14
	s_add_i32 s15, s5, -3
	ds_read_b32 v7, v2
	s_lshl_b32 s17, s15, 4
	v_add_u32_e32 v2, s17, v3
	ds_read_b32 v6, v2
	s_cmp_le_i32 s4, s15
	s_waitcnt lgkmcnt(1)
	v_mul_f32_e32 v5, v5, v7
	ds_write_b32 v4, v5
	v_mov_b32_e32 v4, v1
	s_mov_b32 s17, s13
	s_mov_b32 s18, s4
	s_cbranch_scc1 .LBB3_20
.LBB3_28:                               ;   Parent Loop BB3_21 Depth=1
                                        ; =>  This Inner Loop Header: Depth=2
	v_mov_b32_e32 v7, s17
	ds_read_b32 v5, v4
	ds_read_b32 v7, v7
	s_add_i32 s18, s18, -1
	s_add_i32 s17, s17, -4
	v_add_u32_e32 v4, -16, v4
	s_cmp_gt_i32 s18, s15
	s_waitcnt lgkmcnt(0)
	v_fma_f32 v6, -v5, v7, v6
	s_cbranch_scc1 .LBB3_28
	s_branch .LBB3_20
.LBB3_29:
	s_mov_b64 s[4:5], 0
.LBB3_30:
	s_and_b64 vcc, exec, s[4:5]
	s_cbranch_vccz .LBB3_38
; %bb.31:
	s_cmp_gt_i32 s10, 3
	s_cbranch_scc0 .LBB3_33
; %bb.32:
	ds_read2_b32 v[1:2], v3 offset1:4
	ds_read2_b32 v[8:9], v3 offset0:8 offset1:12
	v_mov_b32_e32 v14, 0
	ds_read_b128 v[4:7], v14
	ds_read2_b32 v[10:11], v14 offset0:5 offset1:6
	ds_read_b32 v15, v14 offset:28
	ds_read_b64 v[12:13], v14 offset:40
	ds_read_b32 v14, v14 offset:60
	s_mov_b32 s4, 4
	s_waitcnt lgkmcnt(4)
	v_mul_f32_e32 v1, v1, v4
	v_fma_f32 v2, -v1, v5, v2
	s_waitcnt lgkmcnt(3)
	v_mul_f32_e32 v2, v2, v10
	v_fma_f32 v4, -v1, v6, v8
	ds_write2_b32 v3, v1, v2 offset1:4
	v_fma_f32 v4, -v2, v11, v4
	v_fma_f32 v1, -v1, v7, v9
	s_waitcnt lgkmcnt(2)
	v_mul_f32_e32 v4, v4, v12
	v_fma_f32 v1, -v2, v15, v1
	v_fma_f32 v1, -v4, v13, v1
	s_waitcnt lgkmcnt(1)
	v_mul_f32_e32 v1, v1, v14
	ds_write2_b32 v3, v4, v1 offset0:8 offset1:12
	s_cmp_ge_i32 s4, s16
	s_cbranch_scc0 .LBB3_34
	s_branch .LBB3_38
.LBB3_33:
	s_mov_b32 s4, 0
	s_cmp_ge_i32 s4, s16
	s_cbranch_scc1 .LBB3_38
.LBB3_34:
	s_lshl_b32 s5, s4, 2
	v_lshl_or_b32 v1, v0, 2, 64
	s_branch .LBB3_36
.LBB3_35:                               ;   in Loop: Header=BB3_36 Depth=1
	s_lshl_b32 s10, s4, 2
	s_add_i32 s8, s10, s8
	v_mov_b32_e32 v5, s8
	ds_read_b32 v5, v5
	s_add_i32 s4, s4, 1
	s_add_i32 s5, s5, 4
	s_cmp_ge_i32 s4, s16
	s_waitcnt lgkmcnt(0)
	v_mul_f32_e32 v4, v4, v5
	ds_write_b32 v2, v4
	s_cbranch_scc1 .LBB3_38
.LBB3_36:                               ; =>This Loop Header: Depth=1
                                        ;     Child Loop BB3_37 Depth 2
	s_lshl_b32 s8, s4, 4
	v_add_u32_e32 v2, s8, v3
	ds_read_b32 v4, v2
	s_cmp_eq_u32 s4, 0
	v_mov_b32_e32 v5, v1
	s_mov_b32 s10, s5
	s_mov_b32 s11, s4
	s_cbranch_scc1 .LBB3_35
.LBB3_37:                               ;   Parent Loop BB3_36 Depth=1
                                        ; =>  This Inner Loop Header: Depth=2
	v_mov_b32_e32 v7, s10
	ds_read_b32 v6, v5
	ds_read_b32 v7, v7
	s_add_i32 s11, s11, -1
	s_add_i32 s10, s10, 16
	v_add_u32_e32 v5, 16, v5
	s_cmp_lg_u32 s11, 0
	s_waitcnt lgkmcnt(0)
	v_fma_f32 v4, -v6, v7, v4
	s_cbranch_scc1 .LBB3_37
	s_branch .LBB3_35
.LBB3_38:
	s_waitcnt lgkmcnt(0)
	; wave barrier
	s_and_saveexec_b64 s[4:5], s[0:1]
	s_cbranch_execz .LBB3_42
; %bb.39:
	s_andn2_b64 vcc, exec, s[2:3]
	s_cbranch_vccnz .LBB3_42
; %bb.40:
	v_mad_i64_i32 v[0:1], s[0:1], s9, v0, 0
	v_mov_b32_e32 v2, s7
	v_lshlrev_b64 v[0:1], 2, v[0:1]
	v_add_co_u32_e32 v0, vcc, s6, v0
	v_addc_co_u32_e32 v1, vcc, v2, v1, vcc
.LBB3_41:                               ; =>This Inner Loop Header: Depth=1
	ds_read_b32 v2, v3
	s_add_i32 s16, s16, -1
	v_add_u32_e32 v3, 16, v3
	s_cmp_lg_u32 s16, 0
	s_waitcnt lgkmcnt(0)
	global_store_dword v[0:1], v2, off
	v_add_co_u32_e32 v0, vcc, 4, v0
	v_addc_co_u32_e32 v1, vcc, 0, v1, vcc
	s_cbranch_scc1 .LBB3_41
.LBB3_42:
	s_endpgm
	.section	.rodata,"a",@progbits
	.p2align	6, 0x0
	.amdhsa_kernel _ZL38rocblas_trsm_small_left_device_sharedBILi4ELi4ELb1EffPKfPfEv13rocblas_fill_18rocblas_operation_17rocblas_diagonal_iiT3_T4_lilT5_lili
		.amdhsa_group_segment_fixed_size 128
		.amdhsa_private_segment_fixed_size 0
		.amdhsa_kernarg_size 352
		.amdhsa_user_sgpr_count 6
		.amdhsa_user_sgpr_private_segment_buffer 1
		.amdhsa_user_sgpr_dispatch_ptr 0
		.amdhsa_user_sgpr_queue_ptr 0
		.amdhsa_user_sgpr_kernarg_segment_ptr 1
		.amdhsa_user_sgpr_dispatch_id 0
		.amdhsa_user_sgpr_flat_scratch_init 0
		.amdhsa_user_sgpr_private_segment_size 0
		.amdhsa_uses_dynamic_stack 0
		.amdhsa_system_sgpr_private_segment_wavefront_offset 0
		.amdhsa_system_sgpr_workgroup_id_x 1
		.amdhsa_system_sgpr_workgroup_id_y 0
		.amdhsa_system_sgpr_workgroup_id_z 1
		.amdhsa_system_sgpr_workgroup_info 0
		.amdhsa_system_vgpr_workitem_id 0
		.amdhsa_next_free_vgpr 16
		.amdhsa_next_free_sgpr 24
		.amdhsa_reserve_vcc 1
		.amdhsa_reserve_flat_scratch 0
		.amdhsa_float_round_mode_32 0
		.amdhsa_float_round_mode_16_64 0
		.amdhsa_float_denorm_mode_32 3
		.amdhsa_float_denorm_mode_16_64 3
		.amdhsa_dx10_clamp 1
		.amdhsa_ieee_mode 1
		.amdhsa_fp16_overflow 0
		.amdhsa_exception_fp_ieee_invalid_op 0
		.amdhsa_exception_fp_denorm_src 0
		.amdhsa_exception_fp_ieee_div_zero 0
		.amdhsa_exception_fp_ieee_overflow 0
		.amdhsa_exception_fp_ieee_underflow 0
		.amdhsa_exception_fp_ieee_inexact 0
		.amdhsa_exception_int_div_zero 0
	.end_amdhsa_kernel
	.section	.text._ZL38rocblas_trsm_small_left_device_sharedBILi4ELi4ELb1EffPKfPfEv13rocblas_fill_18rocblas_operation_17rocblas_diagonal_iiT3_T4_lilT5_lili,"axG",@progbits,_ZL38rocblas_trsm_small_left_device_sharedBILi4ELi4ELb1EffPKfPfEv13rocblas_fill_18rocblas_operation_17rocblas_diagonal_iiT3_T4_lilT5_lili,comdat
.Lfunc_end3:
	.size	_ZL38rocblas_trsm_small_left_device_sharedBILi4ELi4ELb1EffPKfPfEv13rocblas_fill_18rocblas_operation_17rocblas_diagonal_iiT3_T4_lilT5_lili, .Lfunc_end3-_ZL38rocblas_trsm_small_left_device_sharedBILi4ELi4ELb1EffPKfPfEv13rocblas_fill_18rocblas_operation_17rocblas_diagonal_iiT3_T4_lilT5_lili
                                        ; -- End function
	.set _ZL38rocblas_trsm_small_left_device_sharedBILi4ELi4ELb1EffPKfPfEv13rocblas_fill_18rocblas_operation_17rocblas_diagonal_iiT3_T4_lilT5_lili.num_vgpr, 16
	.set _ZL38rocblas_trsm_small_left_device_sharedBILi4ELi4ELb1EffPKfPfEv13rocblas_fill_18rocblas_operation_17rocblas_diagonal_iiT3_T4_lilT5_lili.num_agpr, 0
	.set _ZL38rocblas_trsm_small_left_device_sharedBILi4ELi4ELb1EffPKfPfEv13rocblas_fill_18rocblas_operation_17rocblas_diagonal_iiT3_T4_lilT5_lili.numbered_sgpr, 24
	.set _ZL38rocblas_trsm_small_left_device_sharedBILi4ELi4ELb1EffPKfPfEv13rocblas_fill_18rocblas_operation_17rocblas_diagonal_iiT3_T4_lilT5_lili.num_named_barrier, 0
	.set _ZL38rocblas_trsm_small_left_device_sharedBILi4ELi4ELb1EffPKfPfEv13rocblas_fill_18rocblas_operation_17rocblas_diagonal_iiT3_T4_lilT5_lili.private_seg_size, 0
	.set _ZL38rocblas_trsm_small_left_device_sharedBILi4ELi4ELb1EffPKfPfEv13rocblas_fill_18rocblas_operation_17rocblas_diagonal_iiT3_T4_lilT5_lili.uses_vcc, 1
	.set _ZL38rocblas_trsm_small_left_device_sharedBILi4ELi4ELb1EffPKfPfEv13rocblas_fill_18rocblas_operation_17rocblas_diagonal_iiT3_T4_lilT5_lili.uses_flat_scratch, 0
	.set _ZL38rocblas_trsm_small_left_device_sharedBILi4ELi4ELb1EffPKfPfEv13rocblas_fill_18rocblas_operation_17rocblas_diagonal_iiT3_T4_lilT5_lili.has_dyn_sized_stack, 0
	.set _ZL38rocblas_trsm_small_left_device_sharedBILi4ELi4ELb1EffPKfPfEv13rocblas_fill_18rocblas_operation_17rocblas_diagonal_iiT3_T4_lilT5_lili.has_recursion, 0
	.set _ZL38rocblas_trsm_small_left_device_sharedBILi4ELi4ELb1EffPKfPfEv13rocblas_fill_18rocblas_operation_17rocblas_diagonal_iiT3_T4_lilT5_lili.has_indirect_call, 0
	.section	.AMDGPU.csdata,"",@progbits
; Kernel info:
; codeLenInByte = 2004
; TotalNumSgprs: 28
; NumVgprs: 16
; ScratchSize: 0
; MemoryBound: 0
; FloatMode: 240
; IeeeMode: 1
; LDSByteSize: 128 bytes/workgroup (compile time only)
; SGPRBlocks: 3
; VGPRBlocks: 3
; NumSGPRsForWavesPerEU: 28
; NumVGPRsForWavesPerEU: 16
; Occupancy: 10
; WaveLimiterHint : 0
; COMPUTE_PGM_RSRC2:SCRATCH_EN: 0
; COMPUTE_PGM_RSRC2:USER_SGPR: 6
; COMPUTE_PGM_RSRC2:TRAP_HANDLER: 0
; COMPUTE_PGM_RSRC2:TGID_X_EN: 1
; COMPUTE_PGM_RSRC2:TGID_Y_EN: 0
; COMPUTE_PGM_RSRC2:TGID_Z_EN: 1
; COMPUTE_PGM_RSRC2:TIDIG_COMP_CNT: 0
	.section	.text._ZL30rocblas_trsm_small_left_deviceILi4ELi4ELb1EffPKfPfEv13rocblas_fill_18rocblas_operation_17rocblas_diagonal_iiT3_T4_lilT5_lili,"axG",@progbits,_ZL30rocblas_trsm_small_left_deviceILi4ELi4ELb1EffPKfPfEv13rocblas_fill_18rocblas_operation_17rocblas_diagonal_iiT3_T4_lilT5_lili,comdat
	.globl	_ZL30rocblas_trsm_small_left_deviceILi4ELi4ELb1EffPKfPfEv13rocblas_fill_18rocblas_operation_17rocblas_diagonal_iiT3_T4_lilT5_lili ; -- Begin function _ZL30rocblas_trsm_small_left_deviceILi4ELi4ELb1EffPKfPfEv13rocblas_fill_18rocblas_operation_17rocblas_diagonal_iiT3_T4_lilT5_lili
	.p2align	8
	.type	_ZL30rocblas_trsm_small_left_deviceILi4ELi4ELb1EffPKfPfEv13rocblas_fill_18rocblas_operation_17rocblas_diagonal_iiT3_T4_lilT5_lili,@function
_ZL30rocblas_trsm_small_left_deviceILi4ELi4ELb1EffPKfPfEv13rocblas_fill_18rocblas_operation_17rocblas_diagonal_iiT3_T4_lilT5_lili: ; @_ZL30rocblas_trsm_small_left_deviceILi4ELi4ELb1EffPKfPfEv13rocblas_fill_18rocblas_operation_17rocblas_diagonal_iiT3_T4_lilT5_lili
; %bb.0:
	s_load_dwordx4 s[0:3], s[4:5], 0x4
	s_load_dword s16, s[4:5], 0x14
	s_load_dwordx4 s[8:11], s[4:5], 0x30
	s_load_dwordx2 s[12:13], s[4:5], 0x40
	s_waitcnt lgkmcnt(0)
	s_min_i32 s17, s2, 4
	v_cmp_gt_i32_e32 vcc, s17, v0
	s_and_saveexec_b64 s[14:15], vcc
	s_cbranch_execz .LBB4_6
; %bb.1:
	s_load_dword s18, s[4:5], 0x28
	s_load_dwordx4 s[20:23], s[4:5], 0x18
	s_mul_i32 s9, s9, s7
	s_mul_hi_u32 s19, s8, s7
	s_add_i32 s9, s19, s9
	s_mul_i32 s8, s8, s7
	s_waitcnt lgkmcnt(0)
	s_ashr_i32 s19, s18, 31
	s_lshl_b64 s[8:9], s[8:9], 2
	s_add_u32 s20, s20, s8
	s_addc_u32 s21, s21, s9
	s_lshl_b64 s[8:9], s[22:23], 2
	s_add_u32 s8, s20, s8
	s_addc_u32 s9, s21, s9
	v_lshlrev_b32_e32 v3, 2, v0
	v_mov_b32_e32 v2, s9
	v_add_co_u32_e32 v1, vcc, s8, v3
	s_lshl_b64 s[8:9], s[18:19], 2
	v_addc_co_u32_e32 v2, vcc, 0, v2, vcc
	v_mov_b32_e32 v4, s9
	v_mov_b32_e32 v5, v3
	s_mov_b32 s9, s17
.LBB4_2:                                ; =>This Inner Loop Header: Depth=1
	global_load_dword v6, v[1:2], off
	v_add_co_u32_e32 v1, vcc, s8, v1
	s_add_i32 s9, s9, -1
	v_addc_co_u32_e32 v2, vcc, v2, v4, vcc
	s_cmp_eq_u32 s9, 0
	s_waitcnt vmcnt(0)
	ds_write_b32 v5, v6
	v_add_u32_e32 v5, 16, v5
	s_cbranch_scc0 .LBB4_2
; %bb.3:
	v_lshlrev_b32_e32 v1, 4, v0
	s_cmpk_lg_i32 s1, 0x84
	v_mov_b32_e32 v2, 1.0
	v_add_u32_e32 v1, v3, v1
	s_cbranch_scc0 .LBB4_5
; %bb.4:
	ds_read_b32 v2, v1
	s_waitcnt lgkmcnt(0)
	v_div_scale_f32 v3, s[8:9], v2, v2, 1.0
	v_div_scale_f32 v4, vcc, 1.0, v2, 1.0
	v_rcp_f32_e32 v5, v3
	v_fma_f32 v6, -v3, v5, 1.0
	v_fmac_f32_e32 v5, v6, v5
	v_mul_f32_e32 v6, v4, v5
	v_fma_f32 v7, -v3, v6, v4
	v_fmac_f32_e32 v6, v7, v5
	v_fma_f32 v3, -v3, v6, v4
	v_div_fmas_f32 v3, v3, v5, v6
	v_div_fixup_f32 v2, v3, v2, 1.0
.LBB4_5:
	ds_write_b32 v1, v2
.LBB4_6:
	s_or_b64 exec, exec, s[14:15]
	s_load_dword s1, s[4:5], 0x60
	s_waitcnt lgkmcnt(0)
	; wave barrier
	s_add_i32 s8, s1, -1
	s_lshl_b32 s1, s6, 2
	s_sub_i32 s3, s3, s1
	s_cmp_ge_u32 s6, s8
	s_cselect_b32 s3, s3, 4
	v_cmp_gt_i32_e32 vcc, s3, v0
	s_and_saveexec_b64 s[8:9], vcc
	s_cbranch_execz .LBB4_36
; %bb.7:
	s_load_dwordx2 s[8:9], s[4:5], 0x50
	s_load_dword s3, s[4:5], 0x48
	v_add_u32_e32 v0, s1, v0
	s_waitcnt lgkmcnt(0)
	s_mul_i32 s1, s9, s7
	s_mul_hi_u32 s5, s8, s7
	s_mul_i32 s4, s8, s7
	s_add_i32 s5, s5, s1
	s_lshl_b64 s[4:5], s[4:5], 2
	s_add_u32 s1, s10, s4
	s_addc_u32 s6, s11, s5
	v_mad_i64_i32 v[0:1], s[4:5], s3, v0, 0
	s_lshl_b64 s[4:5], s[12:13], 2
	s_add_u32 s1, s1, s4
	v_lshlrev_b64 v[0:1], 2, v[0:1]
	s_addc_u32 s3, s6, s5
	v_mov_b32_e32 v2, s3
	v_add_co_u32_e32 v0, vcc, s1, v0
	v_addc_co_u32_e32 v1, vcc, v2, v1, vcc
	s_cmpk_eq_i32 s0, 0x6f
	s_mov_b64 s[0:1], -1
	s_cbranch_scc1 .LBB4_28
; %bb.8:
	s_add_i32 s3, s17, -1
	s_cmp_gt_i32 s2, 3
	s_mov_b32 s6, -1
	s_cbranch_scc0 .LBB4_10
; %bb.9:
	global_load_dwordx4 v[2:5], v[0:1], off
	v_mov_b32_e32 v12, 0
	ds_read_b32 v14, v12 offset:28
	ds_read_b32 v15, v12 offset:60
	ds_read_b64 v[10:11], v12 offset:40
	ds_read_b128 v[6:9], v12
	ds_read2_b32 v[12:13], v12 offset0:5 offset1:6
	s_waitcnt vmcnt(0)
	v_mul_f32_e32 v5, s16, v5
	s_waitcnt lgkmcnt(3)
	v_mul_f32_e32 v5, v5, v15
	s_waitcnt lgkmcnt(2)
	v_mul_f32_e32 v11, v5, v11
	v_mul_f32_e32 v14, v5, v14
	v_fma_f32 v4, s16, v4, -v11
	v_fma_f32 v3, s16, v3, -v14
	s_waitcnt lgkmcnt(1)
	v_mul_f32_e32 v9, v5, v9
	v_mul_f32_e32 v4, v4, v10
	v_fma_f32 v2, s16, v2, -v9
	s_waitcnt lgkmcnt(0)
	v_fma_f32 v3, -v4, v13, v3
	v_mul_f32_e32 v3, v3, v12
	v_fma_f32 v2, -v4, v8, v2
	v_fma_f32 v2, -v3, v7, v2
	v_mul_f32_e32 v2, v2, v6
	global_store_dwordx4 v[0:1], v[2:5], off
	s_cmp_lt_i32 s6, 0
	s_cbranch_scc0 .LBB4_11
	s_branch .LBB4_27
.LBB4_10:
	s_mov_b32 s6, s3
	s_cmp_lt_i32 s6, 0
	s_cbranch_scc1 .LBB4_27
.LBB4_11:
	s_and_b32 s0, s6, 3
	s_cmp_eq_u32 s0, 3
	s_mov_b32 s0, s6
	s_cbranch_scc1 .LBB4_16
; %bb.12:
	s_add_i32 s0, s6, 1
	s_and_b32 s7, s0, 3
	s_lshl_b32 s0, s6, 4
	s_lshl_b32 s1, s17, 2
	s_add_i32 s0, s0, s1
	s_add_i32 s8, s0, -4
	s_mov_b32 s5, 0
	s_mov_b32 s0, s6
	;; [unrolled: 1-line block ×3, first 2 shown]
	s_branch .LBB4_14
.LBB4_13:                               ;   in Loop: Header=BB4_14 Depth=1
	s_mul_i32 s1, s0, 20
	v_mov_b32_e32 v5, s1
	ds_read_b32 v5, v5
	s_add_i32 s0, s0, -1
	s_add_i32 s9, s9, 1
	s_add_i32 s8, s8, -16
	s_cmp_lg_u32 s9, s7
	s_waitcnt lgkmcnt(0)
	v_mul_f32_e32 v4, v4, v5
	global_store_dword v[2:3], v4, off
	s_cbranch_scc0 .LBB4_16
.LBB4_14:                               ; =>This Loop Header: Depth=1
                                        ;     Child Loop BB4_15 Depth 2
	s_mov_b32 s1, s5
	s_lshl_b64 s[10:11], s[0:1], 2
	v_mov_b32_e32 v3, s11
	v_add_co_u32_e32 v2, vcc, s10, v0
	v_addc_co_u32_e32 v3, vcc, v1, v3, vcc
	global_load_dword v4, v[2:3], off
	s_mov_b32 s1, s8
	s_cmp_le_i32 s3, s0
	s_mov_b32 s4, s3
	s_waitcnt vmcnt(0)
	v_mul_f32_e32 v4, s16, v4
	s_cbranch_scc1 .LBB4_13
.LBB4_15:                               ;   Parent Loop BB4_14 Depth=1
                                        ; =>  This Inner Loop Header: Depth=2
	s_lshl_b64 s[10:11], s[4:5], 2
	v_mov_b32_e32 v6, s11
	v_add_co_u32_e32 v5, vcc, s10, v0
	v_addc_co_u32_e32 v6, vcc, v1, v6, vcc
	global_load_dword v5, v[5:6], off
	v_mov_b32_e32 v6, s1
	ds_read_b32 v6, v6
	s_add_i32 s4, s4, -1
	s_add_i32 s1, s1, -4
	s_cmp_gt_i32 s4, s0
	s_waitcnt vmcnt(0) lgkmcnt(0)
	v_fma_f32 v4, -v5, v6, v4
	s_cbranch_scc1 .LBB4_15
	s_branch .LBB4_13
.LBB4_16:
	s_cmp_lt_u32 s6, 3
	s_cbranch_scc1 .LBB4_27
; %bb.17:
	s_lshl_b32 s1, s0, 4
	s_lshl_b32 s4, s17, 2
	s_add_i32 s1, s1, s4
	s_add_i32 s8, s1, -4
	s_sub_i32 s9, s1, 20
	s_sub_i32 s10, s1, 36
	;; [unrolled: 1-line block ×3, first 2 shown]
	s_mov_b32 s5, 0
	s_branch .LBB4_19
.LBB4_18:                               ;   in Loop: Header=BB4_19 Depth=1
	s_sub_i32 s1, s1, 20
	v_mov_b32_e32 v5, s1
	ds_read_b32 v5, v5
	s_add_i32 s1, s0, -4
	s_sub_i32 s8, s8, 64
	s_sub_i32 s9, s9, 64
	;; [unrolled: 1-line block ×4, first 2 shown]
	s_waitcnt lgkmcnt(0)
	v_mul_f32_e32 v4, v4, v5
	s_cmp_lt_i32 s0, 4
	s_mov_b32 s0, s1
	global_store_dword v[2:3], v4, off
	s_cbranch_scc1 .LBB4_27
.LBB4_19:                               ; =>This Loop Header: Depth=1
                                        ;     Child Loop BB4_20 Depth 2
                                        ;     Child Loop BB4_22 Depth 2
	;; [unrolled: 1-line block ×4, first 2 shown]
	s_mov_b32 s1, s5
	s_lshl_b64 s[6:7], s[0:1], 2
	v_mov_b32_e32 v2, s7
	v_add_co_u32_e32 v4, vcc, s6, v0
	v_addc_co_u32_e32 v5, vcc, v1, v2, vcc
	global_load_dword v2, v[4:5], off
	s_mov_b32 s1, s8
	s_cmp_le_i32 s3, s0
	s_mov_b32 s4, s3
	s_waitcnt vmcnt(0)
	v_mul_f32_e32 v6, s16, v2
	s_cbranch_scc1 .LBB4_21
.LBB4_20:                               ;   Parent Loop BB4_19 Depth=1
                                        ; =>  This Inner Loop Header: Depth=2
	s_lshl_b64 s[6:7], s[4:5], 2
	v_mov_b32_e32 v3, s7
	v_add_co_u32_e32 v2, vcc, s6, v0
	v_addc_co_u32_e32 v3, vcc, v1, v3, vcc
	global_load_dword v2, v[2:3], off
	v_mov_b32_e32 v3, s1
	ds_read_b32 v3, v3
	s_add_i32 s4, s4, -1
	s_add_i32 s1, s1, -4
	s_cmp_gt_i32 s4, s0
	s_waitcnt vmcnt(0) lgkmcnt(0)
	v_fma_f32 v6, -v2, v3, v6
	s_cbranch_scc1 .LBB4_20
.LBB4_21:                               ;   in Loop: Header=BB4_19 Depth=1
	s_add_i32 s4, s0, -1
	s_lshl_b64 s[6:7], s[4:5], 2
	v_mov_b32_e32 v3, s7
	v_add_co_u32_e32 v2, vcc, s6, v0
	v_addc_co_u32_e32 v3, vcc, v1, v3, vcc
	global_load_dword v7, v[2:3], off
	s_mul_i32 s1, s0, 20
	v_mov_b32_e32 v8, s1
	ds_read_b32 v8, v8
	s_mov_b32 s6, s9
	s_cmp_le_i32 s17, s0
	s_mov_b32 s4, s17
	s_waitcnt lgkmcnt(0)
	v_mul_f32_e32 v6, v6, v8
	global_store_dword v[4:5], v6, off
	s_waitcnt vmcnt(1)
	v_mul_f32_e32 v6, s16, v7
	s_cbranch_scc1 .LBB4_23
.LBB4_22:                               ;   Parent Loop BB4_19 Depth=1
                                        ; =>  This Inner Loop Header: Depth=2
	s_add_i32 s4, s4, -1
	s_lshl_b64 s[12:13], s[4:5], 2
	v_mov_b32_e32 v5, s13
	v_add_co_u32_e32 v4, vcc, s12, v0
	v_addc_co_u32_e32 v5, vcc, v1, v5, vcc
	global_load_dword v4, v[4:5], off
	v_mov_b32_e32 v5, s6
	ds_read_b32 v5, v5
	s_add_i32 s6, s6, -4
	s_cmp_gt_i32 s4, s0
	s_waitcnt vmcnt(0) lgkmcnt(0)
	v_fma_f32 v6, -v4, v5, v6
	s_cbranch_scc1 .LBB4_22
.LBB4_23:                               ;   in Loop: Header=BB4_19 Depth=1
	s_add_i32 s6, s0, -2
	s_mov_b32 s7, s5
	s_lshl_b64 s[12:13], s[6:7], 2
	v_mov_b32_e32 v5, s13
	v_add_co_u32_e32 v4, vcc, s12, v0
	v_addc_co_u32_e32 v5, vcc, v1, v5, vcc
	global_load_dword v7, v[4:5], off
	s_sub_i32 s1, s1, 20
	v_mov_b32_e32 v8, s1
	ds_read_b32 v8, v8
	s_mov_b32 s7, s10
	s_cmp_le_i32 s3, s6
	s_mov_b32 s4, s3
	s_waitcnt lgkmcnt(0)
	v_mul_f32_e32 v6, v6, v8
	global_store_dword v[2:3], v6, off
	s_waitcnt vmcnt(1)
	v_mul_f32_e32 v6, s16, v7
	s_cbranch_scc1 .LBB4_25
.LBB4_24:                               ;   Parent Loop BB4_19 Depth=1
                                        ; =>  This Inner Loop Header: Depth=2
	s_lshl_b64 s[12:13], s[4:5], 2
	v_mov_b32_e32 v3, s13
	v_add_co_u32_e32 v2, vcc, s12, v0
	v_addc_co_u32_e32 v3, vcc, v1, v3, vcc
	global_load_dword v2, v[2:3], off
	v_mov_b32_e32 v3, s7
	ds_read_b32 v3, v3
	s_add_i32 s4, s4, -1
	s_add_i32 s7, s7, -4
	s_cmp_gt_i32 s4, s6
	s_waitcnt vmcnt(0) lgkmcnt(0)
	v_fma_f32 v6, -v2, v3, v6
	s_cbranch_scc1 .LBB4_24
.LBB4_25:                               ;   in Loop: Header=BB4_19 Depth=1
	s_add_i32 s6, s0, -3
	s_mov_b32 s7, s5
	s_lshl_b64 s[12:13], s[6:7], 2
	v_mov_b32_e32 v3, s13
	v_add_co_u32_e32 v2, vcc, s12, v0
	v_addc_co_u32_e32 v3, vcc, v1, v3, vcc
	global_load_dword v7, v[2:3], off
	s_sub_i32 s1, s1, 20
	v_mov_b32_e32 v8, s1
	ds_read_b32 v8, v8
	s_mov_b32 s7, s11
	s_cmp_le_i32 s3, s6
	s_mov_b32 s4, s3
	s_waitcnt lgkmcnt(0)
	v_mul_f32_e32 v6, v6, v8
	global_store_dword v[4:5], v6, off
	s_waitcnt vmcnt(1)
	v_mul_f32_e32 v4, s16, v7
	s_cbranch_scc1 .LBB4_18
.LBB4_26:                               ;   Parent Loop BB4_19 Depth=1
                                        ; =>  This Inner Loop Header: Depth=2
	s_lshl_b64 s[12:13], s[4:5], 2
	v_mov_b32_e32 v6, s13
	v_add_co_u32_e32 v5, vcc, s12, v0
	v_addc_co_u32_e32 v6, vcc, v1, v6, vcc
	global_load_dword v5, v[5:6], off
	v_mov_b32_e32 v6, s7
	ds_read_b32 v6, v6
	s_add_i32 s4, s4, -1
	s_add_i32 s7, s7, -4
	s_cmp_gt_i32 s4, s6
	s_waitcnt vmcnt(0) lgkmcnt(0)
	v_fma_f32 v4, -v5, v6, v4
	s_cbranch_scc1 .LBB4_26
	s_branch .LBB4_18
.LBB4_27:
	s_mov_b64 s[0:1], 0
.LBB4_28:
	s_and_b64 vcc, exec, s[0:1]
	s_cbranch_vccz .LBB4_36
; %bb.29:
	s_cmp_gt_i32 s2, 3
	s_cbranch_scc0 .LBB4_31
; %bb.30:
	global_load_dwordx4 v[2:5], v[0:1], off
	v_mov_b32_e32 v12, 0
	ds_read_b128 v[6:9], v12
	ds_read2_b32 v[10:11], v12 offset0:5 offset1:6
	s_mov_b32 s0, 4
	s_waitcnt vmcnt(0)
	v_mul_f32_e32 v2, s16, v2
	s_waitcnt lgkmcnt(1)
	v_mul_f32_e32 v2, v2, v6
	v_mul_f32_e32 v13, v2, v7
	ds_read_b32 v14, v12 offset:28
	ds_read_b64 v[6:7], v12 offset:40
	ds_read_b32 v12, v12 offset:60
	v_mul_f32_e32 v8, v2, v8
	v_fma_f32 v3, s16, v3, -v13
	v_mul_f32_e32 v9, v2, v9
	v_fma_f32 v4, s16, v4, -v8
	s_waitcnt lgkmcnt(3)
	v_mul_f32_e32 v3, v3, v10
	v_fma_f32 v5, s16, v5, -v9
	v_fma_f32 v4, -v3, v11, v4
	s_waitcnt lgkmcnt(2)
	v_fma_f32 v5, -v3, v14, v5
	s_waitcnt lgkmcnt(1)
	v_mul_f32_e32 v4, v4, v6
	v_fma_f32 v5, -v4, v7, v5
	s_waitcnt lgkmcnt(0)
	v_mul_f32_e32 v5, v5, v12
	global_store_dwordx4 v[0:1], v[2:5], off
	s_cmp_ge_i32 s0, s17
	s_cbranch_scc0 .LBB4_32
	s_branch .LBB4_36
.LBB4_31:
	s_mov_b32 s0, 0
	s_cmp_ge_i32 s0, s17
	s_cbranch_scc1 .LBB4_36
.LBB4_32:
	s_lshl_b32 s2, s0, 2
	s_mov_b32 s1, 0
	s_branch .LBB4_34
.LBB4_33:                               ;   in Loop: Header=BB4_34 Depth=1
	s_mul_i32 s3, s0, 20
	v_mov_b32_e32 v4, s3
	ds_read_b32 v4, v4
	s_add_i32 s0, s0, 1
	s_add_i32 s2, s2, 4
	s_cmp_ge_i32 s0, s17
	s_waitcnt lgkmcnt(0)
	v_mul_f32_e32 v4, v6, v4
	global_store_dword v[2:3], v4, off
	s_cbranch_scc1 .LBB4_36
.LBB4_34:                               ; =>This Loop Header: Depth=1
                                        ;     Child Loop BB4_35 Depth 2
	s_lshl_b64 s[4:5], s[0:1], 2
	v_mov_b32_e32 v3, s5
	v_add_co_u32_e32 v2, vcc, s4, v0
	v_addc_co_u32_e32 v3, vcc, v1, v3, vcc
	global_load_dword v6, v[2:3], off
	v_mov_b32_e32 v5, v1
	v_mov_b32_e32 v4, v0
	s_mov_b32 s3, s2
	s_cmp_eq_u32 s0, 0
	s_mov_b32 s4, s0
	s_waitcnt vmcnt(0)
	v_mul_f32_e32 v6, s16, v6
	s_cbranch_scc1 .LBB4_33
.LBB4_35:                               ;   Parent Loop BB4_34 Depth=1
                                        ; =>  This Inner Loop Header: Depth=2
	global_load_dword v7, v[4:5], off
	v_mov_b32_e32 v8, s3
	ds_read_b32 v8, v8
	s_add_i32 s4, s4, -1
	s_add_i32 s3, s3, 16
	v_add_co_u32_e32 v4, vcc, 4, v4
	v_addc_co_u32_e32 v5, vcc, 0, v5, vcc
	s_cmp_lg_u32 s4, 0
	s_waitcnt vmcnt(0) lgkmcnt(0)
	v_fma_f32 v6, -v7, v8, v6
	s_cbranch_scc1 .LBB4_35
	s_branch .LBB4_33
.LBB4_36:
	s_endpgm
	.section	.rodata,"a",@progbits
	.p2align	6, 0x0
	.amdhsa_kernel _ZL30rocblas_trsm_small_left_deviceILi4ELi4ELb1EffPKfPfEv13rocblas_fill_18rocblas_operation_17rocblas_diagonal_iiT3_T4_lilT5_lili
		.amdhsa_group_segment_fixed_size 64
		.amdhsa_private_segment_fixed_size 0
		.amdhsa_kernarg_size 352
		.amdhsa_user_sgpr_count 6
		.amdhsa_user_sgpr_private_segment_buffer 1
		.amdhsa_user_sgpr_dispatch_ptr 0
		.amdhsa_user_sgpr_queue_ptr 0
		.amdhsa_user_sgpr_kernarg_segment_ptr 1
		.amdhsa_user_sgpr_dispatch_id 0
		.amdhsa_user_sgpr_flat_scratch_init 0
		.amdhsa_user_sgpr_private_segment_size 0
		.amdhsa_uses_dynamic_stack 0
		.amdhsa_system_sgpr_private_segment_wavefront_offset 0
		.amdhsa_system_sgpr_workgroup_id_x 1
		.amdhsa_system_sgpr_workgroup_id_y 0
		.amdhsa_system_sgpr_workgroup_id_z 1
		.amdhsa_system_sgpr_workgroup_info 0
		.amdhsa_system_vgpr_workitem_id 0
		.amdhsa_next_free_vgpr 16
		.amdhsa_next_free_sgpr 24
		.amdhsa_reserve_vcc 1
		.amdhsa_reserve_flat_scratch 0
		.amdhsa_float_round_mode_32 0
		.amdhsa_float_round_mode_16_64 0
		.amdhsa_float_denorm_mode_32 3
		.amdhsa_float_denorm_mode_16_64 3
		.amdhsa_dx10_clamp 1
		.amdhsa_ieee_mode 1
		.amdhsa_fp16_overflow 0
		.amdhsa_exception_fp_ieee_invalid_op 0
		.amdhsa_exception_fp_denorm_src 0
		.amdhsa_exception_fp_ieee_div_zero 0
		.amdhsa_exception_fp_ieee_overflow 0
		.amdhsa_exception_fp_ieee_underflow 0
		.amdhsa_exception_fp_ieee_inexact 0
		.amdhsa_exception_int_div_zero 0
	.end_amdhsa_kernel
	.section	.text._ZL30rocblas_trsm_small_left_deviceILi4ELi4ELb1EffPKfPfEv13rocblas_fill_18rocblas_operation_17rocblas_diagonal_iiT3_T4_lilT5_lili,"axG",@progbits,_ZL30rocblas_trsm_small_left_deviceILi4ELi4ELb1EffPKfPfEv13rocblas_fill_18rocblas_operation_17rocblas_diagonal_iiT3_T4_lilT5_lili,comdat
.Lfunc_end4:
	.size	_ZL30rocblas_trsm_small_left_deviceILi4ELi4ELb1EffPKfPfEv13rocblas_fill_18rocblas_operation_17rocblas_diagonal_iiT3_T4_lilT5_lili, .Lfunc_end4-_ZL30rocblas_trsm_small_left_deviceILi4ELi4ELb1EffPKfPfEv13rocblas_fill_18rocblas_operation_17rocblas_diagonal_iiT3_T4_lilT5_lili
                                        ; -- End function
	.set _ZL30rocblas_trsm_small_left_deviceILi4ELi4ELb1EffPKfPfEv13rocblas_fill_18rocblas_operation_17rocblas_diagonal_iiT3_T4_lilT5_lili.num_vgpr, 16
	.set _ZL30rocblas_trsm_small_left_deviceILi4ELi4ELb1EffPKfPfEv13rocblas_fill_18rocblas_operation_17rocblas_diagonal_iiT3_T4_lilT5_lili.num_agpr, 0
	.set _ZL30rocblas_trsm_small_left_deviceILi4ELi4ELb1EffPKfPfEv13rocblas_fill_18rocblas_operation_17rocblas_diagonal_iiT3_T4_lilT5_lili.numbered_sgpr, 24
	.set _ZL30rocblas_trsm_small_left_deviceILi4ELi4ELb1EffPKfPfEv13rocblas_fill_18rocblas_operation_17rocblas_diagonal_iiT3_T4_lilT5_lili.num_named_barrier, 0
	.set _ZL30rocblas_trsm_small_left_deviceILi4ELi4ELb1EffPKfPfEv13rocblas_fill_18rocblas_operation_17rocblas_diagonal_iiT3_T4_lilT5_lili.private_seg_size, 0
	.set _ZL30rocblas_trsm_small_left_deviceILi4ELi4ELb1EffPKfPfEv13rocblas_fill_18rocblas_operation_17rocblas_diagonal_iiT3_T4_lilT5_lili.uses_vcc, 1
	.set _ZL30rocblas_trsm_small_left_deviceILi4ELi4ELb1EffPKfPfEv13rocblas_fill_18rocblas_operation_17rocblas_diagonal_iiT3_T4_lilT5_lili.uses_flat_scratch, 0
	.set _ZL30rocblas_trsm_small_left_deviceILi4ELi4ELb1EffPKfPfEv13rocblas_fill_18rocblas_operation_17rocblas_diagonal_iiT3_T4_lilT5_lili.has_dyn_sized_stack, 0
	.set _ZL30rocblas_trsm_small_left_deviceILi4ELi4ELb1EffPKfPfEv13rocblas_fill_18rocblas_operation_17rocblas_diagonal_iiT3_T4_lilT5_lili.has_recursion, 0
	.set _ZL30rocblas_trsm_small_left_deviceILi4ELi4ELb1EffPKfPfEv13rocblas_fill_18rocblas_operation_17rocblas_diagonal_iiT3_T4_lilT5_lili.has_indirect_call, 0
	.section	.AMDGPU.csdata,"",@progbits
; Kernel info:
; codeLenInByte = 1956
; TotalNumSgprs: 28
; NumVgprs: 16
; ScratchSize: 0
; MemoryBound: 0
; FloatMode: 240
; IeeeMode: 1
; LDSByteSize: 64 bytes/workgroup (compile time only)
; SGPRBlocks: 3
; VGPRBlocks: 3
; NumSGPRsForWavesPerEU: 28
; NumVGPRsForWavesPerEU: 16
; Occupancy: 10
; WaveLimiterHint : 0
; COMPUTE_PGM_RSRC2:SCRATCH_EN: 0
; COMPUTE_PGM_RSRC2:USER_SGPR: 6
; COMPUTE_PGM_RSRC2:TRAP_HANDLER: 0
; COMPUTE_PGM_RSRC2:TGID_X_EN: 1
; COMPUTE_PGM_RSRC2:TGID_Y_EN: 0
; COMPUTE_PGM_RSRC2:TGID_Z_EN: 1
; COMPUTE_PGM_RSRC2:TIDIG_COMP_CNT: 0
	.section	.text._ZL31rocblas_trsm_small_right_deviceIffPKfPfLi4EEv13rocblas_fill_18rocblas_operation_17rocblas_diagonal_iiT0_T1_lilT2_lili,"axG",@progbits,_ZL31rocblas_trsm_small_right_deviceIffPKfPfLi4EEv13rocblas_fill_18rocblas_operation_17rocblas_diagonal_iiT0_T1_lilT2_lili,comdat
	.globl	_ZL31rocblas_trsm_small_right_deviceIffPKfPfLi4EEv13rocblas_fill_18rocblas_operation_17rocblas_diagonal_iiT0_T1_lilT2_lili ; -- Begin function _ZL31rocblas_trsm_small_right_deviceIffPKfPfLi4EEv13rocblas_fill_18rocblas_operation_17rocblas_diagonal_iiT0_T1_lilT2_lili
	.p2align	8
	.type	_ZL31rocblas_trsm_small_right_deviceIffPKfPfLi4EEv13rocblas_fill_18rocblas_operation_17rocblas_diagonal_iiT0_T1_lilT2_lili,@function
_ZL31rocblas_trsm_small_right_deviceIffPKfPfLi4EEv13rocblas_fill_18rocblas_operation_17rocblas_diagonal_iiT0_T1_lilT2_lili: ; @_ZL31rocblas_trsm_small_right_deviceIffPKfPfLi4EEv13rocblas_fill_18rocblas_operation_17rocblas_diagonal_iiT0_T1_lilT2_lili
; %bb.0:
	s_load_dwordx4 s[8:11], s[4:5], 0x0
	s_load_dwordx2 s[12:13], s[4:5], 0x10
	s_load_dwordx4 s[0:3], s[4:5], 0x30
	s_load_dwordx2 s[14:15], s[4:5], 0x40
	s_waitcnt lgkmcnt(0)
	s_min_i32 s18, s12, 4
	v_cmp_gt_i32_e32 vcc, s18, v0
	s_and_saveexec_b64 s[16:17], vcc
	s_cbranch_execz .LBB5_5
; %bb.1:
	s_load_dword s24, s[4:5], 0x28
	s_load_dwordx4 s[20:23], s[4:5], 0x18
	s_mul_i32 s1, s1, s7
	s_mul_hi_u32 s19, s0, s7
	s_add_i32 s1, s19, s1
	s_mul_i32 s0, s0, s7
	s_waitcnt lgkmcnt(0)
	s_ashr_i32 s25, s24, 31
	s_lshl_b64 s[0:1], s[0:1], 2
	s_add_u32 s19, s20, s0
	s_addc_u32 s20, s21, s1
	s_lshl_b64 s[0:1], s[22:23], 2
	s_add_u32 s0, s19, s0
	s_addc_u32 s1, s20, s1
	v_lshlrev_b32_e32 v3, 2, v0
	v_mov_b32_e32 v2, s1
	v_add_co_u32_e32 v1, vcc, s0, v3
	s_lshl_b64 s[0:1], s[24:25], 2
	v_addc_co_u32_e32 v2, vcc, 0, v2, vcc
	v_mov_b32_e32 v4, s1
	v_mov_b32_e32 v5, v3
	s_mov_b32 s1, s18
.LBB5_2:                                ; =>This Inner Loop Header: Depth=1
	global_load_dword v6, v[1:2], off
	v_add_co_u32_e32 v1, vcc, s0, v1
	s_add_i32 s1, s1, -1
	v_addc_co_u32_e32 v2, vcc, v2, v4, vcc
	s_cmp_eq_u32 s1, 0
	s_waitcnt vmcnt(0)
	ds_write_b32 v5, v6
	v_add_u32_e32 v5, 16, v5
	s_cbranch_scc0 .LBB5_2
; %bb.3:
	s_cmpk_eq_i32 s10, 0x84
	s_cbranch_scc0 .LBB5_5
; %bb.4:
	v_lshl_or_b32 v1, v0, 4, v3
	v_mov_b32_e32 v2, 1.0
	ds_write_b32 v1, v2
.LBB5_5:
	s_or_b64 exec, exec, s[16:17]
	s_load_dword s0, s[4:5], 0x60
	s_load_dwordx2 s[16:17], s[4:5], 0x50
	s_load_dword s10, s[4:5], 0x48
	s_waitcnt lgkmcnt(0)
	s_mul_i32 s1, s17, s7
	s_mul_hi_u32 s5, s16, s7
	s_mul_i32 s4, s16, s7
	s_add_i32 s5, s5, s1
	s_lshl_b64 s[4:5], s[4:5], 2
	s_add_u32 s1, s2, s4
	s_addc_u32 s4, s3, s5
	s_lshl_b64 s[2:3], s[14:15], 2
	s_add_u32 s2, s1, s2
	s_addc_u32 s3, s4, s3
	s_lshl_b32 s1, s6, 2
	s_add_i32 s0, s0, -1
	s_sub_i32 s1, s11, s1
	s_cmp_ge_u32 s6, s0
	s_cselect_b32 s4, s1, 4
	s_ashr_i32 s7, s6, 31
	s_lshl_b64 s[0:1], s[6:7], 4
	s_add_u32 s14, s2, s0
	s_addc_u32 s15, s3, s1
	v_cmp_gt_i32_e64 s[0:1], s4, v0
	s_and_saveexec_b64 s[2:3], s[0:1]
	s_cbranch_execz .LBB5_9
; %bb.6:
	s_cmp_lt_i32 s12, 1
	s_cbranch_scc1 .LBB5_9
; %bb.7:
	s_ashr_i32 s11, s10, 31
	v_lshlrev_b32_e32 v3, 2, v0
	v_mov_b32_e32 v2, s15
	v_add_co_u32_e32 v1, vcc, s14, v3
	s_lshl_b64 s[4:5], s[10:11], 2
	v_addc_co_u32_e32 v2, vcc, 0, v2, vcc
	v_or_b32_e32 v3, 64, v3
	v_mov_b32_e32 v4, s5
	s_mov_b32 s5, s12
.LBB5_8:                                ; =>This Inner Loop Header: Depth=1
	global_load_dword v5, v[1:2], off
	s_add_i32 s5, s5, -1
	v_add_co_u32_e32 v1, vcc, s4, v1
	v_addc_co_u32_e32 v2, vcc, v2, v4, vcc
	s_cmp_lg_u32 s5, 0
	s_waitcnt vmcnt(0)
	v_mul_f32_e32 v5, s13, v5
	ds_write_b32 v3, v5
	v_add_u32_e32 v3, 16, v3
	s_cbranch_scc1 .LBB5_8
.LBB5_9:
	s_or_b64 exec, exec, s[2:3]
	s_cmpk_eq_i32 s9, 0x6f
	s_cselect_b64 s[2:3], -1, 0
	s_cmpk_lg_i32 s8, 0x79
	s_cselect_b64 s[4:5], -1, 0
	s_cmpk_eq_i32 s8, 0x79
	s_cselect_b64 s[6:7], -1, 0
	s_and_b64 s[16:17], s[6:7], s[2:3]
	s_mov_b64 s[6:7], -1
	s_andn2_b64 vcc, exec, s[16:17]
	v_lshl_or_b32 v1, v0, 2, 64
	s_waitcnt lgkmcnt(0)
	; wave barrier
	s_cbranch_vccz .LBB5_54
; %bb.10:
	s_cmpk_lg_i32 s8, 0x7a
	s_cselect_b64 s[16:17], -1, 0
	s_xor_b64 s[2:3], s[2:3], -1
	s_add_i32 s8, s18, -1
	s_or_b64 s[16:17], s[16:17], s[2:3]
	s_cmp_gt_i32 s12, 3
	v_lshl_or_b32 v2, v0, 2, 64
	s_cselect_b64 s[2:3], -1, 0
	s_and_b64 vcc, exec, s[16:17]
	s_cbranch_vccz .LBB5_37
; %bb.11:
	s_andn2_b64 vcc, exec, s[4:5]
	s_mov_b64 s[4:5], -1
	s_cbranch_vccnz .LBB5_20
; %bb.12:
	s_mov_b32 s4, 0
	s_and_b64 vcc, exec, s[2:3]
	s_cbranch_vccz .LBB5_14
; %bb.13:
	v_mov_b32_e32 v11, 0
	ds_read2_b32 v[7:8], v2 offset1:4
	ds_read_b128 v[3:6], v11
	ds_read2_b32 v[9:10], v11 offset0:5 offset1:6
	s_waitcnt lgkmcnt(1)
	v_div_scale_f32 v12, s[4:5], v3, v3, v7
	v_div_scale_f32 v13, vcc, v7, v3, v7
	v_rcp_f32_e32 v14, v12
	v_fma_f32 v15, -v12, v14, 1.0
	v_fmac_f32_e32 v14, v15, v14
	v_mul_f32_e32 v15, v13, v14
	v_fma_f32 v16, -v12, v15, v13
	v_fmac_f32_e32 v15, v16, v14
	v_fma_f32 v12, -v12, v15, v13
	v_div_fmas_f32 v12, v12, v14, v15
	v_div_fixup_f32 v12, v12, v3, v7
	v_fma_f32 v13, -v12, v4, v8
	s_waitcnt lgkmcnt(0)
	v_div_scale_f32 v3, s[4:5], v9, v9, v13
	v_div_scale_f32 v4, vcc, v13, v9, v13
	v_rcp_f32_e32 v7, v3
	v_fma_f32 v8, -v3, v7, 1.0
	v_fmac_f32_e32 v7, v8, v7
	v_mul_f32_e32 v8, v4, v7
	v_fma_f32 v14, -v3, v8, v4
	v_fmac_f32_e32 v8, v14, v7
	v_fma_f32 v3, -v3, v8, v4
	v_div_fmas_f32 v14, v3, v7, v8
	ds_read2_b32 v[3:4], v2 offset0:8 offset1:12
	ds_read_b64 v[7:8], v11 offset:40
	ds_read_b32 v15, v11 offset:60
	s_waitcnt lgkmcnt(2)
	v_fma_f32 v3, -v12, v5, v3
	v_fma_f32 v4, -v12, v6, v4
	v_div_fixup_f32 v5, v14, v9, v13
	v_fma_f32 v3, -v5, v10, v3
	s_waitcnt lgkmcnt(1)
	v_div_scale_f32 v9, s[4:5], v7, v7, v3
	v_div_scale_f32 v10, vcc, v3, v7, v3
	ds_write2_b32 v2, v12, v5 offset1:4
	v_rcp_f32_e32 v13, v9
	v_fma_f32 v14, -v9, v13, 1.0
	v_fmac_f32_e32 v13, v14, v13
	v_mul_f32_e32 v14, v10, v13
	v_fma_f32 v16, -v9, v14, v10
	v_fmac_f32_e32 v14, v16, v13
	v_fma_f32 v9, -v9, v14, v10
	v_div_fmas_f32 v9, v9, v13, v14
	ds_read_b32 v10, v11 offset:28
	s_waitcnt lgkmcnt(0)
	v_fma_f32 v4, -v5, v10, v4
	v_div_fixup_f32 v3, v9, v7, v3
	v_fma_f32 v4, -v3, v8, v4
	v_div_scale_f32 v6, s[4:5], v15, v15, v4
	v_div_scale_f32 v7, vcc, v4, v15, v4
	s_mov_b32 s4, 4
	v_rcp_f32_e32 v8, v6
	v_fma_f32 v9, -v6, v8, 1.0
	v_fmac_f32_e32 v8, v9, v8
	v_mul_f32_e32 v9, v7, v8
	v_fma_f32 v10, -v6, v9, v7
	v_fmac_f32_e32 v9, v10, v8
	v_fma_f32 v6, -v6, v9, v7
	v_div_fmas_f32 v6, v6, v8, v9
	v_div_fixup_f32 v4, v6, v15, v4
	ds_write2_b32 v2, v3, v4 offset0:8 offset1:12
.LBB5_14:
	s_cmp_ge_i32 s4, s18
	s_cbranch_scc1 .LBB5_19
; %bb.15:
	s_lshl_b32 s5, s4, 2
	s_branch .LBB5_17
.LBB5_16:                               ;   in Loop: Header=BB5_17 Depth=1
	s_lshl_b32 s7, s4, 2
	s_add_i32 s6, s7, s6
	v_mov_b32_e32 v5, s6
	ds_read_b32 v5, v5
	s_add_i32 s4, s4, 1
	s_add_i32 s5, s5, 4
	s_cmp_ge_i32 s4, s18
	s_waitcnt lgkmcnt(0)
	v_div_scale_f32 v6, s[6:7], v5, v5, v4
	v_div_scale_f32 v7, vcc, v4, v5, v4
	v_rcp_f32_e32 v8, v6
	v_fma_f32 v9, -v6, v8, 1.0
	v_fmac_f32_e32 v8, v9, v8
	v_mul_f32_e32 v9, v7, v8
	v_fma_f32 v10, -v6, v9, v7
	v_fmac_f32_e32 v9, v10, v8
	v_fma_f32 v6, -v6, v9, v7
	v_div_fmas_f32 v6, v6, v8, v9
	v_div_fixup_f32 v4, v6, v5, v4
	ds_write_b32 v3, v4
	s_cbranch_scc1 .LBB5_19
.LBB5_17:                               ; =>This Loop Header: Depth=1
                                        ;     Child Loop BB5_18 Depth 2
	s_lshl_b32 s6, s4, 4
	v_add_u32_e32 v3, s6, v2
	ds_read_b32 v4, v3
	s_cmp_eq_u32 s4, 0
	v_mov_b32_e32 v5, v2
	s_mov_b32 s7, s5
	s_mov_b32 s9, s4
	s_cbranch_scc1 .LBB5_16
.LBB5_18:                               ;   Parent Loop BB5_17 Depth=1
                                        ; =>  This Inner Loop Header: Depth=2
	v_mov_b32_e32 v7, s7
	ds_read_b32 v6, v5
	ds_read_b32 v7, v7
	s_add_i32 s9, s9, -1
	s_add_i32 s7, s7, 16
	v_add_u32_e32 v5, 16, v5
	s_cmp_eq_u32 s9, 0
	s_waitcnt lgkmcnt(0)
	v_fma_f32 v4, -v6, v7, v4
	s_cbranch_scc0 .LBB5_18
	s_branch .LBB5_16
.LBB5_19:
	s_mov_b64 s[4:5], 0
.LBB5_20:
	s_and_b64 vcc, exec, s[4:5]
	s_cbranch_vccz .LBB5_36
; %bb.21:
	s_and_b64 vcc, exec, s[2:3]
	s_mov_b32 s5, s8
	s_cbranch_vccz .LBB5_23
; %bb.22:
	s_lshl_b32 s4, s8, 2
	s_add_i32 s5, s18, -2
	s_mul_i32 s7, s8, 20
	s_lshl_b32 s6, s5, 2
	s_sub_i32 s4, s7, s4
	v_lshl_add_u32 v3, s18, 4, v2
	s_add_i32 s4, s4, s6
	v_lshl_add_u32 v9, s8, 4, v2
	v_subrev_u32_e32 v11, 48, v3
	v_subrev_u32_e32 v12, 64, v3
	v_mov_b32_e32 v3, s4
	s_sub_i32 s9, s7, 20
	v_lshl_add_u32 v10, s5, 4, v2
	v_mov_b32_e32 v5, s9
	ds_read_b32 v6, v9
	ds_read_b32 v7, v10
	ds_read2_b32 v[3:4], v3 offset1:1
	ds_read_b32 v13, v11
	ds_read_b32 v14, v12
	;; [unrolled: 1-line block ×3, first 2 shown]
	s_sub_i32 s6, s9, s6
	s_waitcnt lgkmcnt(3)
	v_div_scale_f32 v5, s[4:5], v4, v4, v6
	v_div_scale_f32 v8, vcc, v6, v4, v6
	v_rcp_f32_e32 v16, v5
	v_fma_f32 v17, -v5, v16, 1.0
	v_fmac_f32_e32 v16, v17, v16
	v_mul_f32_e32 v17, v8, v16
	v_fma_f32 v18, -v5, v17, v8
	v_fmac_f32_e32 v17, v18, v16
	v_fma_f32 v5, -v5, v17, v8
	v_div_fmas_f32 v5, v5, v16, v17
	v_div_fixup_f32 v16, v5, v4, v6
	v_fma_f32 v17, -v16, v3, v7
	s_waitcnt lgkmcnt(0)
	v_div_scale_f32 v3, s[4:5], v15, v15, v17
	v_div_scale_f32 v4, vcc, v17, v15, v17
	s_lshl_b32 s4, s18, 2
	s_add_i32 s4, s6, s4
	s_sub_i32 s5, s7, 60
	v_mov_b32_e32 v19, s5
	s_add_i32 s5, s4, -16
	v_rcp_f32_e32 v5, v3
	v_fma_f32 v6, -v3, v5, 1.0
	v_fmac_f32_e32 v5, v6, v5
	v_mul_f32_e32 v6, v4, v5
	v_fma_f32 v7, -v3, v6, v4
	v_fmac_f32_e32 v6, v7, v5
	v_fma_f32 v3, -v3, v6, v4
	v_div_fmas_f32 v18, v3, v5, v6
	v_mov_b32_e32 v3, s4
	ds_read2_b32 v[3:4], v3 offset1:1
	s_sub_i32 s4, s4, 32
	v_mov_b32_e32 v5, s5
	v_mov_b32_e32 v7, s4
	ds_read2_b32 v[5:6], v5 offset1:1
	ds_read2_b32 v[7:8], v7 offset1:1
	ds_read_b32 v19, v19
	s_waitcnt lgkmcnt(3)
	v_fma_f32 v4, -v16, v4, v13
	v_fma_f32 v3, -v16, v3, v14
	v_div_fixup_f32 v13, v18, v15, v17
	s_waitcnt lgkmcnt(2)
	v_fma_f32 v4, -v13, v6, v4
	s_waitcnt lgkmcnt(1)
	v_div_scale_f32 v6, s[4:5], v8, v8, v4
	v_div_scale_f32 v15, vcc, v4, v8, v4
	v_fma_f32 v3, -v13, v5, v3
	v_rcp_f32_e32 v17, v6
	v_fma_f32 v18, -v6, v17, 1.0
	v_fmac_f32_e32 v17, v18, v17
	v_mul_f32_e32 v18, v15, v17
	v_fma_f32 v20, -v6, v18, v15
	v_fmac_f32_e32 v18, v20, v17
	v_fma_f32 v6, -v6, v18, v15
	v_div_fmas_f32 v6, v6, v17, v18
	v_div_fixup_f32 v4, v6, v8, v4
	v_fma_f32 v3, -v4, v7, v3
	s_waitcnt lgkmcnt(0)
	v_div_scale_f32 v5, s[4:5], v19, v19, v3
	v_div_scale_f32 v6, vcc, v3, v19, v3
	ds_write_b32 v9, v16
	ds_write_b32 v10, v13
	;; [unrolled: 1-line block ×3, first 2 shown]
	s_add_i32 s5, s18, -5
	v_rcp_f32_e32 v7, v5
	v_fma_f32 v8, -v5, v7, 1.0
	v_fmac_f32_e32 v7, v8, v7
	v_mul_f32_e32 v8, v6, v7
	v_fma_f32 v14, -v5, v8, v6
	v_fmac_f32_e32 v8, v14, v7
	v_fma_f32 v5, -v5, v8, v6
	v_div_fmas_f32 v5, v5, v7, v8
	v_div_fixup_f32 v3, v5, v19, v3
	ds_write_b32 v12, v3
.LBB5_23:
	s_cmp_lt_i32 s5, 0
	s_cbranch_scc1 .LBB5_36
; %bb.24:
	s_bitcmp1_b32 s5, 0
	s_cselect_b64 s[6:7], -1, 0
	s_and_b64 vcc, exec, s[6:7]
	s_mov_b32 s4, s5
	s_cbranch_vccnz .LBB5_29
; %bb.25:
	s_lshl_b32 s4, s5, 4
	v_add_u32_e32 v3, s4, v2
	ds_read_b32 v4, v3
	s_cmp_le_i32 s8, s5
	s_cbranch_scc1 .LBB5_28
; %bb.26:
	s_lshl_b32 s7, s18, 4
	s_lshl_b32 s6, s5, 2
	s_add_i32 s6, s7, s6
	v_lshl_or_b32 v5, v0, 2, s7
	s_add_i32 s6, s6, -16
	v_add_u32_e32 v5, 48, v5
	s_mov_b32 s7, s8
.LBB5_27:                               ; =>This Inner Loop Header: Depth=1
	v_mov_b32_e32 v7, s6
	ds_read_b32 v6, v5
	ds_read_b32 v7, v7
	s_add_i32 s7, s7, -1
	s_add_i32 s6, s6, -16
	v_add_u32_e32 v5, -16, v5
	s_cmp_gt_u32 s7, s5
	s_waitcnt lgkmcnt(0)
	v_fma_f32 v4, -v6, v7, v4
	s_cbranch_scc1 .LBB5_27
.LBB5_28:
	s_lshl_b32 s6, s5, 2
	s_add_i32 s4, s6, s4
	v_mov_b32_e32 v5, s4
	ds_read_b32 v5, v5
	s_add_i32 s4, s5, -1
	s_waitcnt lgkmcnt(0)
	v_div_scale_f32 v6, s[6:7], v5, v5, v4
	v_div_scale_f32 v7, vcc, v4, v5, v4
	v_rcp_f32_e32 v8, v6
	v_fma_f32 v9, -v6, v8, 1.0
	v_fmac_f32_e32 v8, v9, v8
	v_mul_f32_e32 v9, v7, v8
	v_fma_f32 v10, -v6, v9, v7
	v_fmac_f32_e32 v9, v10, v8
	v_fma_f32 v6, -v6, v9, v7
	v_div_fmas_f32 v6, v6, v8, v9
	v_div_fixup_f32 v4, v6, v5, v4
	ds_write_b32 v3, v4
.LBB5_29:
	s_cmp_eq_u32 s5, 0
	s_cbranch_scc1 .LBB5_36
; %bb.30:
	s_lshl_b32 s6, s18, 4
	s_lshl_b32 s5, s4, 2
	s_add_i32 s7, s6, s5
	v_lshl_or_b32 v3, v0, 2, s6
	s_add_i32 s5, s7, -16
	v_add_u32_e32 v3, 48, v3
	s_sub_i32 s6, s7, 20
	s_branch .LBB5_32
.LBB5_31:                               ;   in Loop: Header=BB5_32 Depth=1
	s_add_i32 s9, s9, s11
	s_add_i32 s9, s9, -4
	v_mov_b32_e32 v5, s9
	ds_read_b32 v5, v5
	s_add_i32 s4, s4, -2
	s_add_i32 s5, s5, -8
	;; [unrolled: 1-line block ×3, first 2 shown]
	s_cmp_eq_u32 s7, 0
	s_waitcnt lgkmcnt(0)
	v_div_scale_f32 v7, s[16:17], v5, v5, v6
	v_div_scale_f32 v8, vcc, v6, v5, v6
	v_rcp_f32_e32 v9, v7
	v_fma_f32 v10, -v7, v9, 1.0
	v_fmac_f32_e32 v9, v10, v9
	v_mul_f32_e32 v10, v8, v9
	v_fma_f32 v11, -v7, v10, v8
	v_fmac_f32_e32 v10, v11, v9
	v_fma_f32 v7, -v7, v10, v8
	v_div_fmas_f32 v7, v7, v9, v10
	v_div_fixup_f32 v5, v7, v5, v6
	ds_write_b32 v4, v5
	s_cbranch_scc1 .LBB5_36
.LBB5_32:                               ; =>This Loop Header: Depth=1
                                        ;     Child Loop BB5_33 Depth 2
                                        ;     Child Loop BB5_35 Depth 2
	s_lshl_b32 s7, s4, 4
	v_add_u32_e32 v5, s7, v2
	ds_read_b32 v7, v5
	s_cmp_le_i32 s8, s4
	v_mov_b32_e32 v4, v3
	s_mov_b32 s9, s5
	s_mov_b32 s11, s8
	s_cbranch_scc1 .LBB5_34
.LBB5_33:                               ;   Parent Loop BB5_32 Depth=1
                                        ; =>  This Inner Loop Header: Depth=2
	v_mov_b32_e32 v8, s9
	ds_read_b32 v6, v4
	ds_read_b32 v8, v8
	s_add_i32 s11, s11, -1
	s_add_i32 s9, s9, -16
	v_add_u32_e32 v4, -16, v4
	s_cmp_le_u32 s11, s4
	s_waitcnt lgkmcnt(0)
	v_fma_f32 v7, -v6, v8, v7
	s_cbranch_scc0 .LBB5_33
.LBB5_34:                               ;   in Loop: Header=BB5_32 Depth=1
	s_lshl_b32 s9, s4, 2
	s_add_i32 s7, s9, s7
	v_mov_b32_e32 v4, s7
	ds_read_b32 v9, v4
	s_add_i32 s7, s4, -1
	s_lshl_b32 s11, s7, 4
	v_add_u32_e32 v4, s11, v2
	ds_read_b32 v6, v4
	s_waitcnt lgkmcnt(1)
	v_div_scale_f32 v8, s[16:17], v9, v9, v7
	v_div_scale_f32 v10, vcc, v7, v9, v7
	s_mov_b32 s13, s6
	s_cmp_le_i32 s18, s4
	s_mov_b32 s16, s8
	v_rcp_f32_e32 v11, v8
	v_fma_f32 v12, -v8, v11, 1.0
	v_fmac_f32_e32 v11, v12, v11
	v_mul_f32_e32 v12, v10, v11
	v_fma_f32 v13, -v8, v12, v10
	v_fmac_f32_e32 v12, v13, v11
	v_fma_f32 v8, -v8, v12, v10
	v_div_fmas_f32 v10, v8, v11, v12
	v_mov_b32_e32 v8, v3
	v_div_fixup_f32 v7, v10, v9, v7
	ds_write_b32 v5, v7
	s_cbranch_scc1 .LBB5_31
.LBB5_35:                               ;   Parent Loop BB5_32 Depth=1
                                        ; =>  This Inner Loop Header: Depth=2
	v_mov_b32_e32 v7, s13
	ds_read_b32 v5, v8
	ds_read_b32 v7, v7
	s_add_i32 s16, s16, -1
	s_add_i32 s13, s13, -16
	v_add_u32_e32 v8, -16, v8
	s_cmp_gt_u32 s16, s7
	s_waitcnt lgkmcnt(0)
	v_fma_f32 v6, -v5, v7, v6
	s_cbranch_scc1 .LBB5_35
	s_branch .LBB5_31
.LBB5_36:
	s_mov_b64 s[6:7], 0
.LBB5_37:
	s_andn2_b64 vcc, exec, s[6:7]
	s_cbranch_vccnz .LBB5_53
; %bb.38:
	s_and_b64 vcc, exec, s[2:3]
	s_mov_b32 s3, s8
	s_cbranch_vccz .LBB5_40
; %bb.39:
	s_add_i32 s2, s18, -2
	s_lshl_b32 s4, s2, 2
	s_lshl_b32 s2, s2, 4
	v_add_u32_e32 v11, s2, v2
	s_add_i32 s5, s18, -3
	s_add_i32 s2, s2, s4
	s_lshl_b32 s6, s5, 4
	s_add_i32 s7, s18, -4
	s_mul_i32 s3, s8, 20
	v_mov_b32_e32 v4, s2
	s_lshl_b32 s2, s8, 2
	v_lshl_add_u32 v10, s8, 4, v2
	s_lshl_b32 s9, s7, 4
	v_mov_b32_e32 v3, s3
	s_add_i32 s2, s6, s2
	v_add_u32_e32 v12, s6, v2
	v_add_u32_e32 v13, s9, v2
	v_mov_b32_e32 v5, s2
	ds_read_b32 v6, v10
	ds_read_b32 v7, v11
	ds_read_b32 v14, v12
	ds_read_b32 v8, v3
	ds_read_b32 v15, v13
	ds_read2_b32 v[3:4], v4 offset1:1
	ds_read_b32 v16, v5
	s_add_i32 s4, s9, s4
	s_waitcnt lgkmcnt(3)
	v_div_scale_f32 v5, s[2:3], v8, v8, v6
	v_div_scale_f32 v9, vcc, v6, v8, v6
	v_rcp_f32_e32 v17, v5
	v_fma_f32 v18, -v5, v17, 1.0
	v_fmac_f32_e32 v17, v18, v17
	v_mul_f32_e32 v18, v9, v17
	v_fma_f32 v19, -v5, v18, v9
	v_fmac_f32_e32 v18, v19, v17
	v_fma_f32 v5, -v5, v18, v9
	v_div_fmas_f32 v5, v5, v17, v18
	v_div_fixup_f32 v17, v5, v8, v6
	s_waitcnt lgkmcnt(1)
	v_fma_f32 v18, -v17, v4, v7
	v_div_scale_f32 v4, s[2:3], v3, v3, v18
	v_div_scale_f32 v5, vcc, v18, v3, v18
	s_lshl_b32 s2, s5, 2
	s_lshl_b32 s3, s7, 2
	s_add_i32 s2, s6, s2
	s_add_i32 s3, s9, s3
	s_waitcnt lgkmcnt(0)
	v_fma_f32 v14, -v17, v16, v14
	v_rcp_f32_e32 v6, v4
	v_fma_f32 v7, -v4, v6, 1.0
	v_fmac_f32_e32 v6, v7, v6
	v_mul_f32_e32 v7, v5, v6
	v_fma_f32 v8, -v4, v7, v5
	v_fmac_f32_e32 v7, v8, v6
	v_fma_f32 v4, -v4, v7, v5
	v_div_fmas_f32 v19, v4, v6, v7
	v_mov_b32_e32 v4, s2
	v_mov_b32_e32 v6, s4
	;; [unrolled: 1-line block ×3, first 2 shown]
	ds_read2_b32 v[4:5], v4 offset1:1
	ds_read2_b32 v[6:7], v6 offset1:1
	;; [unrolled: 1-line block ×3, first 2 shown]
	s_waitcnt lgkmcnt(1)
	v_fma_f32 v7, -v17, v7, v15
	v_div_fixup_f32 v3, v19, v3, v18
	v_fma_f32 v5, -v3, v5, v14
	v_div_scale_f32 v14, s[2:3], v4, v4, v5
	v_div_scale_f32 v16, vcc, v5, v4, v5
	v_fma_f32 v6, -v3, v6, v7
	v_rcp_f32_e32 v18, v14
	v_fma_f32 v19, -v14, v18, 1.0
	v_fmac_f32_e32 v18, v19, v18
	v_mul_f32_e32 v19, v16, v18
	v_fma_f32 v20, -v14, v19, v16
	v_fmac_f32_e32 v19, v20, v18
	v_fma_f32 v14, -v14, v19, v16
	v_div_fmas_f32 v14, v14, v18, v19
	v_div_fixup_f32 v4, v14, v4, v5
	s_waitcnt lgkmcnt(0)
	v_fma_f32 v5, -v4, v9, v6
	v_div_scale_f32 v6, s[2:3], v8, v8, v5
	v_div_scale_f32 v7, vcc, v5, v8, v5
	ds_write_b32 v10, v17
	ds_write_b32 v11, v3
	;; [unrolled: 1-line block ×3, first 2 shown]
	s_add_i32 s3, s18, -5
	v_rcp_f32_e32 v9, v6
	v_fma_f32 v14, -v6, v9, 1.0
	v_fmac_f32_e32 v9, v14, v9
	v_mul_f32_e32 v14, v7, v9
	v_fma_f32 v15, -v6, v14, v7
	v_fmac_f32_e32 v14, v15, v9
	v_fma_f32 v6, -v6, v14, v7
	v_div_fmas_f32 v6, v6, v9, v14
	v_div_fixup_f32 v3, v6, v8, v5
	ds_write_b32 v13, v3
.LBB5_40:
	s_cmp_lt_i32 s3, 0
	s_cbranch_scc1 .LBB5_53
; %bb.41:
	s_bitcmp1_b32 s3, 0
	s_cselect_b64 s[4:5], -1, 0
	s_and_b64 vcc, exec, s[4:5]
	s_mov_b32 s2, s3
	s_cbranch_vccnz .LBB5_46
; %bb.42:
	v_lshl_add_u32 v3, s3, 4, v2
	ds_read_b32 v4, v3
	s_cmp_le_i32 s8, s3
	s_cbranch_scc1 .LBB5_45
; %bb.43:
	s_lshl_b32 s2, s3, 4
	s_lshl_b32 s4, s18, 2
	v_lshlrev_b32_e32 v5, 2, v0
	s_add_i32 s2, s2, s4
	v_lshl_or_b32 v5, s18, 4, v5
	s_add_i32 s2, s2, -4
	v_add_u32_e32 v5, 48, v5
	s_mov_b32 s4, s8
.LBB5_44:                               ; =>This Inner Loop Header: Depth=1
	v_mov_b32_e32 v7, s2
	ds_read_b32 v6, v5
	ds_read_b32 v7, v7
	s_add_i32 s4, s4, -1
	s_add_i32 s2, s2, -4
	v_add_u32_e32 v5, -16, v5
	s_cmp_gt_u32 s4, s3
	s_waitcnt lgkmcnt(0)
	v_fma_f32 v4, -v6, v7, v4
	s_cbranch_scc1 .LBB5_44
.LBB5_45:
	s_mul_i32 s2, s3, 20
	v_mov_b32_e32 v5, s2
	ds_read_b32 v5, v5
	s_add_i32 s2, s3, -1
	s_waitcnt lgkmcnt(0)
	v_div_scale_f32 v6, s[4:5], v5, v5, v4
	v_div_scale_f32 v7, vcc, v4, v5, v4
	v_rcp_f32_e32 v8, v6
	v_fma_f32 v9, -v6, v8, 1.0
	v_fmac_f32_e32 v8, v9, v8
	v_mul_f32_e32 v9, v7, v8
	v_fma_f32 v10, -v6, v9, v7
	v_fmac_f32_e32 v9, v10, v8
	v_fma_f32 v6, -v6, v9, v7
	v_div_fmas_f32 v6, v6, v8, v9
	v_div_fixup_f32 v4, v6, v5, v4
	ds_write_b32 v3, v4
.LBB5_46:
	s_cmp_eq_u32 s3, 0
	s_cbranch_scc1 .LBB5_53
; %bb.47:
	v_lshlrev_b32_e32 v3, 2, v0
	s_lshl_b32 s3, s2, 4
	s_lshl_b32 s4, s18, 2
	v_lshl_or_b32 v3, s18, 4, v3
	s_add_i32 s4, s3, s4
	v_add_u32_e32 v3, 48, v3
	s_add_i32 s3, s4, -4
	s_sub_i32 s4, s4, 20
	s_branch .LBB5_49
.LBB5_48:                               ;   in Loop: Header=BB5_49 Depth=1
	s_sub_i32 s6, s6, 20
	v_mov_b32_e32 v5, s6
	ds_read_b32 v5, v5
	s_add_i32 s2, s2, -2
	s_sub_i32 s3, s3, 32
	s_sub_i32 s4, s4, 32
	s_cmp_eq_u32 s5, 0
	s_waitcnt lgkmcnt(0)
	v_div_scale_f32 v7, s[6:7], v5, v5, v6
	v_div_scale_f32 v8, vcc, v6, v5, v6
	v_rcp_f32_e32 v9, v7
	v_fma_f32 v10, -v7, v9, 1.0
	v_fmac_f32_e32 v9, v10, v9
	v_mul_f32_e32 v10, v8, v9
	v_fma_f32 v11, -v7, v10, v8
	v_fmac_f32_e32 v10, v11, v9
	v_fma_f32 v7, -v7, v10, v8
	v_div_fmas_f32 v7, v7, v9, v10
	v_div_fixup_f32 v5, v7, v5, v6
	ds_write_b32 v4, v5
	s_cbranch_scc1 .LBB5_53
.LBB5_49:                               ; =>This Loop Header: Depth=1
                                        ;     Child Loop BB5_50 Depth 2
                                        ;     Child Loop BB5_52 Depth 2
	v_lshl_add_u32 v5, s2, 4, v2
	ds_read_b32 v7, v5
	s_cmp_le_i32 s8, s2
	s_mov_b32 s5, s3
	v_mov_b32_e32 v4, v3
	s_mov_b32 s6, s8
	s_cbranch_scc1 .LBB5_51
.LBB5_50:                               ;   Parent Loop BB5_49 Depth=1
                                        ; =>  This Inner Loop Header: Depth=2
	v_mov_b32_e32 v8, s5
	ds_read_b32 v6, v4
	ds_read_b32 v8, v8
	s_add_i32 s6, s6, -1
	s_add_i32 s5, s5, -4
	v_add_u32_e32 v4, -16, v4
	s_cmp_le_u32 s6, s2
	s_waitcnt lgkmcnt(0)
	v_fma_f32 v7, -v6, v8, v7
	s_cbranch_scc0 .LBB5_50
.LBB5_51:                               ;   in Loop: Header=BB5_49 Depth=1
	s_mul_i32 s6, s2, 20
	v_mov_b32_e32 v4, s6
	ds_read_b32 v9, v4
	s_add_i32 s5, s2, -1
	v_lshl_add_u32 v4, s5, 4, v2
	ds_read_b32 v6, v4
	s_mov_b32 s7, s4
	s_waitcnt lgkmcnt(1)
	v_div_scale_f32 v8, s[16:17], v9, v9, v7
	v_div_scale_f32 v10, vcc, v7, v9, v7
	s_cmp_le_i32 s18, s2
	s_mov_b32 s9, s8
	v_rcp_f32_e32 v11, v8
	v_fma_f32 v12, -v8, v11, 1.0
	v_fmac_f32_e32 v11, v12, v11
	v_mul_f32_e32 v12, v10, v11
	v_fma_f32 v13, -v8, v12, v10
	v_fmac_f32_e32 v12, v13, v11
	v_fma_f32 v8, -v8, v12, v10
	v_div_fmas_f32 v10, v8, v11, v12
	v_mov_b32_e32 v8, v3
	v_div_fixup_f32 v7, v10, v9, v7
	ds_write_b32 v5, v7
	s_cbranch_scc1 .LBB5_48
.LBB5_52:                               ;   Parent Loop BB5_49 Depth=1
                                        ; =>  This Inner Loop Header: Depth=2
	v_mov_b32_e32 v7, s7
	ds_read_b32 v5, v8
	ds_read_b32 v7, v7
	s_add_i32 s9, s9, -1
	s_add_i32 s7, s7, -4
	v_add_u32_e32 v8, -16, v8
	s_cmp_gt_u32 s9, s5
	s_waitcnt lgkmcnt(0)
	v_fma_f32 v6, -v5, v7, v6
	s_cbranch_scc1 .LBB5_52
	s_branch .LBB5_48
.LBB5_53:
	s_mov_b64 s[6:7], 0
.LBB5_54:
	s_andn2_b64 vcc, exec, s[6:7]
	s_cbranch_vccnz .LBB5_62
; %bb.55:
	s_cmp_gt_i32 s12, 3
	s_mov_b32 s2, 0
	s_cbranch_scc0 .LBB5_57
; %bb.56:
	v_mov_b32_e32 v11, 0
	ds_read2_b32 v[2:3], v1 offset1:4
	ds_read_b32 v9, v11
	ds_read_b64 v[7:8], v11 offset:16
	ds_read_b96 v[4:6], v11 offset:32
	s_waitcnt lgkmcnt(2)
	v_div_scale_f32 v10, s[2:3], v9, v9, v2
	v_div_scale_f32 v12, vcc, v2, v9, v2
	v_rcp_f32_e32 v13, v10
	v_fma_f32 v14, -v10, v13, 1.0
	v_fmac_f32_e32 v13, v14, v13
	v_mul_f32_e32 v14, v12, v13
	v_fma_f32 v15, -v10, v14, v12
	v_fmac_f32_e32 v14, v15, v13
	v_fma_f32 v10, -v10, v14, v12
	v_div_fmas_f32 v10, v10, v13, v14
	v_div_fixup_f32 v12, v10, v9, v2
	s_waitcnt lgkmcnt(1)
	v_fma_f32 v2, -v12, v7, v3
	v_div_scale_f32 v3, s[2:3], v8, v8, v2
	v_div_scale_f32 v7, vcc, v2, v8, v2
	v_rcp_f32_e32 v9, v3
	v_fma_f32 v10, -v3, v9, 1.0
	v_fmac_f32_e32 v9, v10, v9
	v_mul_f32_e32 v10, v7, v9
	v_fma_f32 v13, -v3, v10, v7
	v_fmac_f32_e32 v10, v13, v9
	v_fma_f32 v3, -v3, v10, v7
	v_div_fmas_f32 v3, v3, v9, v10
	ds_read2_b32 v[9:10], v1 offset0:8 offset1:12
	s_waitcnt lgkmcnt(0)
	v_fma_f32 v4, -v12, v4, v9
	v_div_fixup_f32 v7, v3, v8, v2
	v_fma_f32 v8, -v7, v5, v4
	v_div_scale_f32 v2, s[2:3], v6, v6, v8
	v_div_scale_f32 v3, vcc, v8, v6, v8
	ds_write2_b32 v1, v12, v7 offset1:4
	v_rcp_f32_e32 v4, v2
	v_fma_f32 v5, -v2, v4, 1.0
	v_fmac_f32_e32 v4, v5, v4
	v_mul_f32_e32 v5, v3, v4
	v_fma_f32 v9, -v2, v5, v3
	v_fmac_f32_e32 v5, v9, v4
	v_fma_f32 v2, -v2, v5, v3
	v_div_fmas_f32 v9, v2, v4, v5
	ds_read_b128 v[2:5], v11 offset:48
	s_waitcnt lgkmcnt(0)
	v_fma_f32 v2, -v12, v2, v10
	v_fma_f32 v2, -v7, v3, v2
	v_div_fixup_f32 v3, v9, v6, v8
	v_fma_f32 v2, -v3, v4, v2
	v_div_scale_f32 v4, s[2:3], v5, v5, v2
	v_div_scale_f32 v6, vcc, v2, v5, v2
	s_mov_b32 s2, 4
	v_rcp_f32_e32 v8, v4
	v_fma_f32 v9, -v4, v8, 1.0
	v_fmac_f32_e32 v8, v9, v8
	v_mul_f32_e32 v9, v6, v8
	v_fma_f32 v10, -v4, v9, v6
	v_fmac_f32_e32 v9, v10, v8
	v_fma_f32 v4, -v4, v9, v6
	v_div_fmas_f32 v4, v4, v8, v9
	v_div_fixup_f32 v2, v4, v5, v2
	ds_write2_b32 v1, v3, v2 offset0:8 offset1:12
.LBB5_57:
	s_cmp_ge_i32 s2, s18
	s_cbranch_scc1 .LBB5_62
; %bb.58:
	s_lshl_b32 s3, s2, 4
	s_branch .LBB5_60
.LBB5_59:                               ;   in Loop: Header=BB5_60 Depth=1
	s_mul_i32 s4, s2, 20
	v_mov_b32_e32 v4, s4
	ds_read_b32 v4, v4
	s_add_i32 s2, s2, 1
	s_add_i32 s3, s3, 16
	s_cmp_ge_i32 s2, s18
	s_waitcnt lgkmcnt(0)
	v_div_scale_f32 v5, s[4:5], v4, v4, v3
	v_div_scale_f32 v6, vcc, v3, v4, v3
	v_rcp_f32_e32 v7, v5
	v_fma_f32 v8, -v5, v7, 1.0
	v_fmac_f32_e32 v7, v8, v7
	v_mul_f32_e32 v8, v6, v7
	v_fma_f32 v9, -v5, v8, v6
	v_fmac_f32_e32 v8, v9, v7
	v_fma_f32 v5, -v5, v8, v6
	v_div_fmas_f32 v5, v5, v7, v8
	v_div_fixup_f32 v3, v5, v4, v3
	ds_write_b32 v2, v3
	s_cbranch_scc1 .LBB5_62
.LBB5_60:                               ; =>This Loop Header: Depth=1
                                        ;     Child Loop BB5_61 Depth 2
	v_lshl_add_u32 v2, s2, 4, v1
	ds_read_b32 v3, v2
	s_cmp_eq_u32 s2, 0
	s_mov_b32 s4, s3
	v_mov_b32_e32 v4, v1
	s_mov_b32 s5, s2
	s_cbranch_scc1 .LBB5_59
.LBB5_61:                               ;   Parent Loop BB5_60 Depth=1
                                        ; =>  This Inner Loop Header: Depth=2
	v_mov_b32_e32 v6, s4
	ds_read_b32 v5, v4
	ds_read_b32 v6, v6
	s_add_i32 s5, s5, -1
	s_add_i32 s4, s4, 4
	v_add_u32_e32 v4, 16, v4
	s_cmp_eq_u32 s5, 0
	s_waitcnt lgkmcnt(0)
	v_fma_f32 v3, -v5, v6, v3
	s_cbranch_scc0 .LBB5_61
	s_branch .LBB5_59
.LBB5_62:
	s_and_saveexec_b64 s[2:3], s[0:1]
	s_cbranch_execz .LBB5_66
; %bb.63:
	s_cmp_lt_i32 s12, 1
	s_cbranch_scc1 .LBB5_66
; %bb.64:
	s_ashr_i32 s11, s10, 31
	v_lshlrev_b32_e32 v2, 2, v0
	v_mov_b32_e32 v1, s15
	v_add_co_u32_e32 v0, vcc, s14, v2
	s_lshl_b64 s[0:1], s[10:11], 2
	v_addc_co_u32_e32 v1, vcc, 0, v1, vcc
	v_or_b32_e32 v2, 64, v2
	v_mov_b32_e32 v3, s1
.LBB5_65:                               ; =>This Inner Loop Header: Depth=1
	ds_read_b32 v4, v2
	s_add_i32 s12, s12, -1
	v_add_u32_e32 v2, 16, v2
	s_cmp_lg_u32 s12, 0
	s_waitcnt lgkmcnt(0)
	global_store_dword v[0:1], v4, off
	v_add_co_u32_e32 v0, vcc, s0, v0
	v_addc_co_u32_e32 v1, vcc, v1, v3, vcc
	s_cbranch_scc1 .LBB5_65
.LBB5_66:
	s_endpgm
	.section	.rodata,"a",@progbits
	.p2align	6, 0x0
	.amdhsa_kernel _ZL31rocblas_trsm_small_right_deviceIffPKfPfLi4EEv13rocblas_fill_18rocblas_operation_17rocblas_diagonal_iiT0_T1_lilT2_lili
		.amdhsa_group_segment_fixed_size 128
		.amdhsa_private_segment_fixed_size 0
		.amdhsa_kernarg_size 352
		.amdhsa_user_sgpr_count 6
		.amdhsa_user_sgpr_private_segment_buffer 1
		.amdhsa_user_sgpr_dispatch_ptr 0
		.amdhsa_user_sgpr_queue_ptr 0
		.amdhsa_user_sgpr_kernarg_segment_ptr 1
		.amdhsa_user_sgpr_dispatch_id 0
		.amdhsa_user_sgpr_flat_scratch_init 0
		.amdhsa_user_sgpr_private_segment_size 0
		.amdhsa_uses_dynamic_stack 0
		.amdhsa_system_sgpr_private_segment_wavefront_offset 0
		.amdhsa_system_sgpr_workgroup_id_x 1
		.amdhsa_system_sgpr_workgroup_id_y 0
		.amdhsa_system_sgpr_workgroup_id_z 1
		.amdhsa_system_sgpr_workgroup_info 0
		.amdhsa_system_vgpr_workitem_id 0
		.amdhsa_next_free_vgpr 21
		.amdhsa_next_free_sgpr 26
		.amdhsa_reserve_vcc 1
		.amdhsa_reserve_flat_scratch 0
		.amdhsa_float_round_mode_32 0
		.amdhsa_float_round_mode_16_64 0
		.amdhsa_float_denorm_mode_32 3
		.amdhsa_float_denorm_mode_16_64 3
		.amdhsa_dx10_clamp 1
		.amdhsa_ieee_mode 1
		.amdhsa_fp16_overflow 0
		.amdhsa_exception_fp_ieee_invalid_op 0
		.amdhsa_exception_fp_denorm_src 0
		.amdhsa_exception_fp_ieee_div_zero 0
		.amdhsa_exception_fp_ieee_overflow 0
		.amdhsa_exception_fp_ieee_underflow 0
		.amdhsa_exception_fp_ieee_inexact 0
		.amdhsa_exception_int_div_zero 0
	.end_amdhsa_kernel
	.section	.text._ZL31rocblas_trsm_small_right_deviceIffPKfPfLi4EEv13rocblas_fill_18rocblas_operation_17rocblas_diagonal_iiT0_T1_lilT2_lili,"axG",@progbits,_ZL31rocblas_trsm_small_right_deviceIffPKfPfLi4EEv13rocblas_fill_18rocblas_operation_17rocblas_diagonal_iiT0_T1_lilT2_lili,comdat
.Lfunc_end5:
	.size	_ZL31rocblas_trsm_small_right_deviceIffPKfPfLi4EEv13rocblas_fill_18rocblas_operation_17rocblas_diagonal_iiT0_T1_lilT2_lili, .Lfunc_end5-_ZL31rocblas_trsm_small_right_deviceIffPKfPfLi4EEv13rocblas_fill_18rocblas_operation_17rocblas_diagonal_iiT0_T1_lilT2_lili
                                        ; -- End function
	.set _ZL31rocblas_trsm_small_right_deviceIffPKfPfLi4EEv13rocblas_fill_18rocblas_operation_17rocblas_diagonal_iiT0_T1_lilT2_lili.num_vgpr, 21
	.set _ZL31rocblas_trsm_small_right_deviceIffPKfPfLi4EEv13rocblas_fill_18rocblas_operation_17rocblas_diagonal_iiT0_T1_lilT2_lili.num_agpr, 0
	.set _ZL31rocblas_trsm_small_right_deviceIffPKfPfLi4EEv13rocblas_fill_18rocblas_operation_17rocblas_diagonal_iiT0_T1_lilT2_lili.numbered_sgpr, 26
	.set _ZL31rocblas_trsm_small_right_deviceIffPKfPfLi4EEv13rocblas_fill_18rocblas_operation_17rocblas_diagonal_iiT0_T1_lilT2_lili.num_named_barrier, 0
	.set _ZL31rocblas_trsm_small_right_deviceIffPKfPfLi4EEv13rocblas_fill_18rocblas_operation_17rocblas_diagonal_iiT0_T1_lilT2_lili.private_seg_size, 0
	.set _ZL31rocblas_trsm_small_right_deviceIffPKfPfLi4EEv13rocblas_fill_18rocblas_operation_17rocblas_diagonal_iiT0_T1_lilT2_lili.uses_vcc, 1
	.set _ZL31rocblas_trsm_small_right_deviceIffPKfPfLi4EEv13rocblas_fill_18rocblas_operation_17rocblas_diagonal_iiT0_T1_lilT2_lili.uses_flat_scratch, 0
	.set _ZL31rocblas_trsm_small_right_deviceIffPKfPfLi4EEv13rocblas_fill_18rocblas_operation_17rocblas_diagonal_iiT0_T1_lilT2_lili.has_dyn_sized_stack, 0
	.set _ZL31rocblas_trsm_small_right_deviceIffPKfPfLi4EEv13rocblas_fill_18rocblas_operation_17rocblas_diagonal_iiT0_T1_lilT2_lili.has_recursion, 0
	.set _ZL31rocblas_trsm_small_right_deviceIffPKfPfLi4EEv13rocblas_fill_18rocblas_operation_17rocblas_diagonal_iiT0_T1_lilT2_lili.has_indirect_call, 0
	.section	.AMDGPU.csdata,"",@progbits
; Kernel info:
; codeLenInByte = 4600
; TotalNumSgprs: 30
; NumVgprs: 21
; ScratchSize: 0
; MemoryBound: 0
; FloatMode: 240
; IeeeMode: 1
; LDSByteSize: 128 bytes/workgroup (compile time only)
; SGPRBlocks: 3
; VGPRBlocks: 5
; NumSGPRsForWavesPerEU: 30
; NumVGPRsForWavesPerEU: 21
; Occupancy: 10
; WaveLimiterHint : 0
; COMPUTE_PGM_RSRC2:SCRATCH_EN: 0
; COMPUTE_PGM_RSRC2:USER_SGPR: 6
; COMPUTE_PGM_RSRC2:TRAP_HANDLER: 0
; COMPUTE_PGM_RSRC2:TGID_X_EN: 1
; COMPUTE_PGM_RSRC2:TGID_Y_EN: 0
; COMPUTE_PGM_RSRC2:TGID_Z_EN: 1
; COMPUTE_PGM_RSRC2:TIDIG_COMP_CNT: 0
	.section	.text._ZL38rocblas_trsm_small_left_device_sharedBILi8ELi8ELb0EffPKfPfEv13rocblas_fill_18rocblas_operation_17rocblas_diagonal_iiT3_T4_lilT5_lili,"axG",@progbits,_ZL38rocblas_trsm_small_left_device_sharedBILi8ELi8ELb0EffPKfPfEv13rocblas_fill_18rocblas_operation_17rocblas_diagonal_iiT3_T4_lilT5_lili,comdat
	.globl	_ZL38rocblas_trsm_small_left_device_sharedBILi8ELi8ELb0EffPKfPfEv13rocblas_fill_18rocblas_operation_17rocblas_diagonal_iiT3_T4_lilT5_lili ; -- Begin function _ZL38rocblas_trsm_small_left_device_sharedBILi8ELi8ELb0EffPKfPfEv13rocblas_fill_18rocblas_operation_17rocblas_diagonal_iiT3_T4_lilT5_lili
	.p2align	8
	.type	_ZL38rocblas_trsm_small_left_device_sharedBILi8ELi8ELb0EffPKfPfEv13rocblas_fill_18rocblas_operation_17rocblas_diagonal_iiT3_T4_lilT5_lili,@function
_ZL38rocblas_trsm_small_left_device_sharedBILi8ELi8ELb0EffPKfPfEv13rocblas_fill_18rocblas_operation_17rocblas_diagonal_iiT3_T4_lilT5_lili: ; @_ZL38rocblas_trsm_small_left_device_sharedBILi8ELi8ELb0EffPKfPfEv13rocblas_fill_18rocblas_operation_17rocblas_diagonal_iiT3_T4_lilT5_lili
; %bb.0:
	s_load_dwordx4 s[8:11], s[4:5], 0x4
	s_load_dword s17, s[4:5], 0x14
	s_load_dwordx4 s[0:3], s[4:5], 0x30
	s_load_dwordx2 s[12:13], s[4:5], 0x40
	s_waitcnt lgkmcnt(0)
	s_min_i32 s16, s10, 8
	v_cmp_gt_i32_e32 vcc, s16, v0
	s_and_saveexec_b64 s[14:15], vcc
	s_cbranch_execz .LBB6_6
; %bb.1:
	s_load_dword s18, s[4:5], 0x28
	s_load_dwordx4 s[20:23], s[4:5], 0x18
	s_mul_i32 s1, s1, s7
	s_mul_hi_u32 s19, s0, s7
	s_add_i32 s1, s19, s1
	s_mul_i32 s0, s0, s7
	s_waitcnt lgkmcnt(0)
	s_ashr_i32 s19, s18, 31
	s_lshl_b64 s[0:1], s[0:1], 2
	s_add_u32 s20, s20, s0
	s_addc_u32 s21, s21, s1
	s_lshl_b64 s[0:1], s[22:23], 2
	s_add_u32 s0, s20, s0
	s_addc_u32 s1, s21, s1
	v_lshlrev_b32_e32 v3, 2, v0
	v_mov_b32_e32 v2, s1
	v_add_co_u32_e32 v1, vcc, s0, v3
	s_lshl_b64 s[0:1], s[18:19], 2
	v_addc_co_u32_e32 v2, vcc, 0, v2, vcc
	v_mov_b32_e32 v4, s1
	v_mov_b32_e32 v5, v3
	s_mov_b32 s1, s16
.LBB6_2:                                ; =>This Inner Loop Header: Depth=1
	global_load_dword v6, v[1:2], off
	v_add_co_u32_e32 v1, vcc, s0, v1
	s_add_i32 s1, s1, -1
	v_addc_co_u32_e32 v2, vcc, v2, v4, vcc
	s_cmp_eq_u32 s1, 0
	s_waitcnt vmcnt(0)
	ds_write_b32 v5, v6
	v_add_u32_e32 v5, 32, v5
	s_cbranch_scc0 .LBB6_2
; %bb.3:
	v_lshlrev_b32_e32 v1, 5, v0
	s_cmpk_lg_i32 s9, 0x84
	v_mov_b32_e32 v2, 1.0
	v_add_u32_e32 v1, v3, v1
	s_cbranch_scc0 .LBB6_5
; %bb.4:
	ds_read_b32 v2, v1
	s_waitcnt lgkmcnt(0)
	v_div_scale_f32 v3, s[0:1], v2, v2, 1.0
	v_div_scale_f32 v4, vcc, 1.0, v2, 1.0
	v_rcp_f32_e32 v5, v3
	v_fma_f32 v6, -v3, v5, 1.0
	v_fmac_f32_e32 v5, v6, v5
	v_mul_f32_e32 v6, v4, v5
	v_fma_f32 v7, -v3, v6, v4
	v_fmac_f32_e32 v6, v7, v5
	v_fma_f32 v3, -v3, v6, v4
	v_div_fmas_f32 v3, v3, v5, v6
	v_div_fixup_f32 v2, v3, v2, 1.0
.LBB6_5:
	ds_write_b32 v1, v2
.LBB6_6:
	s_or_b64 exec, exec, s[14:15]
	s_load_dword s0, s[4:5], 0x60
	s_load_dwordx2 s[14:15], s[4:5], 0x50
	s_load_dword s9, s[4:5], 0x48
	s_waitcnt lgkmcnt(0)
	s_mul_i32 s1, s15, s7
	s_mul_hi_u32 s5, s14, s7
	s_mul_i32 s4, s14, s7
	s_add_i32 s5, s5, s1
	s_lshl_b64 s[4:5], s[4:5], 2
	s_add_u32 s1, s2, s4
	s_addc_u32 s4, s3, s5
	s_lshl_b64 s[2:3], s[12:13], 2
	s_add_u32 s2, s1, s2
	s_addc_u32 s3, s4, s3
	s_lshl_b32 s4, s6, 3
	s_add_i32 s0, s0, -1
	s_sub_i32 s1, s11, s4
	s_cmp_ge_u32 s6, s0
	s_cselect_b32 s5, s1, 8
	s_mul_hi_i32 s1, s9, s4
	s_mul_i32 s0, s9, s4
	s_lshl_b64 s[0:1], s[0:1], 2
	s_add_u32 s6, s2, s0
	s_addc_u32 s7, s3, s1
	s_cmp_gt_i32 s10, 0
	v_cmp_gt_i32_e64 s[0:1], s5, v0
	s_cselect_b64 s[2:3], -1, 0
	s_and_b64 s[12:13], s[0:1], s[2:3]
	s_and_saveexec_b64 s[4:5], s[12:13]
	s_cbranch_execz .LBB6_9
; %bb.7:
	v_mad_i64_i32 v[1:2], s[12:13], s9, v0, 0
	v_mov_b32_e32 v3, s7
	s_mov_b32 s11, s16
	v_lshlrev_b64 v[1:2], 2, v[1:2]
	v_add_co_u32_e32 v1, vcc, s6, v1
	v_addc_co_u32_e32 v2, vcc, v3, v2, vcc
	v_mov_b32_e32 v3, 0x100
	v_lshl_or_b32 v3, v0, 2, v3
.LBB6_8:                                ; =>This Inner Loop Header: Depth=1
	global_load_dword v4, v[1:2], off
	s_add_i32 s11, s11, -1
	v_add_co_u32_e32 v1, vcc, 4, v1
	v_addc_co_u32_e32 v2, vcc, 0, v2, vcc
	s_cmp_lg_u32 s11, 0
	s_waitcnt vmcnt(0)
	v_mul_f32_e32 v4, s17, v4
	ds_write_b32 v3, v4
	v_add_u32_e32 v3, 32, v3
	s_cbranch_scc1 .LBB6_8
.LBB6_9:
	s_or_b64 exec, exec, s[4:5]
	v_mov_b32_e32 v1, 0x100
	s_cmpk_eq_i32 s8, 0x6f
	v_lshl_or_b32 v5, v0, 2, v1
	s_mov_b64 s[4:5], -1
	s_waitcnt lgkmcnt(0)
	; wave barrier
	s_cbranch_scc1 .LBB6_31
; %bb.10:
	s_cmp_gt_i32 s10, 7
	s_cbranch_scc0 .LBB6_12
; %bb.11:
	ds_read2_b32 v[1:2], v5 offset1:8
	ds_read2_b32 v[9:10], v5 offset0:16 offset1:24
	v_mov_b32_e32 v15, 0
	ds_read_b32 v16, v15
	ds_read_b64 v[3:4], v15 offset:32
	ds_read2_b32 v[11:12], v5 offset0:32 offset1:40
	ds_read2_b32 v[13:14], v5 offset0:48 offset1:56
	ds_read_b96 v[6:8], v15 offset:64
	ds_read_b32 v19, v15 offset:144
	s_waitcnt lgkmcnt(5)
	v_mul_f32_e32 v16, v1, v16
	s_waitcnt lgkmcnt(4)
	v_fma_f32 v1, -v16, v3, v2
	v_mul_f32_e32 v17, v1, v4
	ds_read_b128 v[1:4], v15 offset:96
	s_waitcnt lgkmcnt(2)
	v_fma_f32 v6, -v16, v6, v9
	v_fma_f32 v6, -v17, v7, v6
	v_mul_f32_e32 v18, v6, v8
	ds_read_b128 v[6:9], v15 offset:128
	s_waitcnt lgkmcnt(1)
	v_fma_f32 v1, -v16, v1, v10
	v_fma_f32 v1, -v17, v2, v1
	;; [unrolled: 1-line block ×3, first 2 shown]
	v_mul_f32_e32 v10, v1, v4
	s_waitcnt lgkmcnt(0)
	v_fma_f32 v1, -v16, v6, v11
	v_fma_f32 v6, -v17, v7, v1
	ds_read_b128 v[1:4], v15 offset:160
	v_fma_f32 v6, -v18, v8, v6
	v_fma_f32 v6, -v10, v9, v6
	v_mul_f32_e32 v11, v6, v19
	ds_read_b64 v[6:7], v15 offset:176
	s_waitcnt lgkmcnt(1)
	v_fma_f32 v1, -v16, v1, v12
	v_fma_f32 v1, -v17, v2, v1
	;; [unrolled: 1-line block ×4, first 2 shown]
	ds_read_b128 v[1:4], v15 offset:192
	s_waitcnt lgkmcnt(1)
	v_fma_f32 v6, -v11, v6, v8
	v_mul_f32_e32 v12, v6, v7
	ds_read_b96 v[6:8], v15 offset:208
	s_mov_b32 s8, 8
	s_waitcnt lgkmcnt(1)
	v_fma_f32 v1, -v16, v1, v13
	v_fma_f32 v1, -v17, v2, v1
	;; [unrolled: 1-line block ×4, first 2 shown]
	ds_read_b128 v[1:4], v15 offset:224
	s_waitcnt lgkmcnt(1)
	v_fma_f32 v6, -v11, v6, v9
	v_fma_f32 v6, -v12, v7, v6
	v_mul_f32_e32 v13, v6, v8
	ds_read_b128 v[6:9], v15 offset:240
	s_waitcnt lgkmcnt(1)
	v_fma_f32 v1, -v16, v1, v14
	v_fma_f32 v1, -v17, v2, v1
	;; [unrolled: 1-line block ×4, first 2 shown]
	s_waitcnt lgkmcnt(0)
	v_fma_f32 v1, -v11, v6, v1
	v_fma_f32 v1, -v12, v7, v1
	;; [unrolled: 1-line block ×3, first 2 shown]
	v_mul_f32_e32 v1, v1, v9
	ds_write2_b32 v5, v16, v17 offset1:8
	ds_write2_b32 v5, v18, v10 offset0:16 offset1:24
	ds_write2_b32 v5, v11, v12 offset0:32 offset1:40
	;; [unrolled: 1-line block ×3, first 2 shown]
	s_cmp_lt_i32 s8, s16
	s_cbranch_scc1 .LBB6_13
	s_branch .LBB6_30
.LBB6_12:
	s_mov_b32 s8, 0
	s_cmp_lt_i32 s8, s16
	s_cbranch_scc0 .LBB6_30
.LBB6_13:
	s_or_b32 s4, s8, 3
	s_cmp_ge_u32 s4, s16
	s_cbranch_scc1 .LBB6_24
; %bb.14:
	s_add_i32 s11, s8, -1
	s_lshl_b32 s12, s8, 5
	v_mov_b32_e32 v1, 0x100
	s_bitcmp1_b32 s8, 2
	v_lshl_or_b32 v6, v0, 2, v1
	s_mov_b32 s13, 0
	s_cselect_b64 s[4:5], -1, 0
.LBB6_15:                               ; =>This Loop Header: Depth=1
                                        ;     Child Loop BB6_18 Depth 2
                                        ;     Child Loop BB6_21 Depth 2
	s_lshl_b32 s14, s8, 5
	v_add_u32_e32 v7, s14, v5
	ds_read2_b32 v[1:2], v7 offset1:8
	ds_read2_b32 v[3:4], v7 offset0:16 offset1:24
	s_cmp_eq_u32 s8, 0
	s_cbranch_scc1 .LBB6_22
; %bb.16:                               ;   in Loop: Header=BB6_15 Depth=1
	s_lshl_b32 s15, s13, 2
	s_add_i32 s15, s11, s15
	s_cmp_lt_u32 s15, 7
	s_mov_b32 s15, 0
	s_cbranch_scc1 .LBB6_19
; %bb.17:                               ;   in Loop: Header=BB6_15 Depth=1
	s_and_b32 s15, s8, -8
	s_mov_b32 s17, 0
	v_mov_b32_e32 v8, v6
	s_mov_b32 s18, s12
.LBB6_18:                               ;   Parent Loop BB6_15 Depth=1
                                        ; =>  This Inner Loop Header: Depth=2
	v_mov_b32_e32 v25, s18
	ds_read2_b32 v[17:18], v8 offset1:8
	ds_read2_b32 v[19:20], v8 offset0:16 offset1:24
	ds_read2_b32 v[21:22], v8 offset0:32 offset1:40
	ds_read_b128 v[9:12], v25
	ds_read_b128 v[13:16], v25 offset:32
	ds_read2_b32 v[23:24], v8 offset0:48 offset1:56
	s_add_i32 s18, s18, 32
	s_add_i32 s17, s17, 8
	s_waitcnt lgkmcnt(2)
	v_fma_f32 v1, -v17, v9, v1
	v_fma_f32 v1, -v18, v10, v1
	;; [unrolled: 1-line block ×4, first 2 shown]
	s_waitcnt lgkmcnt(1)
	v_fma_f32 v1, -v17, v13, v2
	ds_read_b128 v[9:12], v25 offset:64
	v_fma_f32 v1, -v18, v14, v1
	v_fma_f32 v1, -v19, v15, v1
	;; [unrolled: 1-line block ×3, first 2 shown]
	ds_read_b128 v[13:16], v25 offset:96
	s_waitcnt lgkmcnt(1)
	v_fma_f32 v1, -v17, v9, v3
	v_fma_f32 v1, -v18, v10, v1
	;; [unrolled: 1-line block ×3, first 2 shown]
	v_add_u32_e32 v8, 0x100, v8
	s_waitcnt lgkmcnt(0)
	v_fma_f32 v2, -v17, v13, v4
	v_fma_f32 v9, -v18, v14, v2
	;; [unrolled: 1-line block ×3, first 2 shown]
	ds_read_b128 v[1:4], v25 offset:16
	v_fma_f32 v9, -v19, v15, v9
	v_fma_f32 v28, -v20, v16, v9
	ds_read_b128 v[13:16], v25 offset:80
	ds_read_b128 v[9:12], v25 offset:48
	s_waitcnt lgkmcnt(2)
	v_fma_f32 v1, -v21, v1, v26
	v_fma_f32 v1, -v22, v2, v1
	;; [unrolled: 1-line block ×3, first 2 shown]
	s_waitcnt lgkmcnt(1)
	v_fma_f32 v3, -v21, v13, v17
	ds_read_b128 v[17:20], v25 offset:112
	v_fma_f32 v1, -v24, v4, v1
	s_waitcnt lgkmcnt(1)
	v_fma_f32 v2, -v21, v9, v27
	v_fma_f32 v2, -v22, v10, v2
	;; [unrolled: 1-line block ×3, first 2 shown]
	s_waitcnt lgkmcnt(0)
	v_fma_f32 v4, -v21, v17, v28
	v_fma_f32 v4, -v22, v18, v4
	;; [unrolled: 1-line block ×5, first 2 shown]
	s_cmp_lg_u32 s15, s17
	v_fma_f32 v2, -v24, v12, v2
	v_fma_f32 v3, -v24, v16, v3
	;; [unrolled: 1-line block ×3, first 2 shown]
	s_cbranch_scc1 .LBB6_18
.LBB6_19:                               ;   in Loop: Header=BB6_15 Depth=1
	s_bitcmp0_b32 s8, 2
	s_cbranch_scc1 .LBB6_22
; %bb.20:                               ;   in Loop: Header=BB6_15 Depth=1
	v_cndmask_b32_e64 v8, 0, 1, s[4:5]
	v_readfirstlane_b32 s17, v8
	s_lshl_b32 s17, s17, 2
	s_lshl_b32 s18, s15, 2
	v_lshl_add_u32 v8, s15, 5, v6
.LBB6_21:                               ;   Parent Loop BB6_15 Depth=1
                                        ; =>  This Inner Loop Header: Depth=2
	s_add_i32 s15, s12, s18
	v_mov_b32_e32 v11, s15
	ds_read_b32 v13, v8
	ds_read2_b32 v[9:10], v11 offset1:8
	ds_read2_b32 v[11:12], v11 offset0:16 offset1:24
	s_add_i32 s18, s18, 4
	s_add_i32 s17, s17, -1
	v_add_u32_e32 v8, 32, v8
	s_cmp_lg_u32 s17, 0
	s_waitcnt lgkmcnt(1)
	v_fma_f32 v1, -v13, v9, v1
	v_fma_f32 v2, -v13, v10, v2
	s_waitcnt lgkmcnt(0)
	v_fma_f32 v3, -v13, v11, v3
	v_fma_f32 v4, -v13, v12, v4
	s_cbranch_scc1 .LBB6_21
.LBB6_22:                               ;   in Loop: Header=BB6_15 Depth=1
	s_lshl_b32 s15, s8, 2
	s_add_i32 s17, s15, s14
	v_mov_b32_e32 v8, s17
	s_or_b32 s17, s14, 32
	s_add_i32 s18, s15, s17
	v_mov_b32_e32 v9, s18
	ds_read_b32 v13, v8
	ds_read_b64 v[8:9], v9
	s_or_b32 s18, s14, 64
	s_add_i32 s19, s15, s18
	v_mov_b32_e32 v10, s19
	ds_read_b96 v[10:12], v10
	s_waitcnt lgkmcnt(2)
	v_mul_f32_e32 v1, v1, v13
	s_waitcnt lgkmcnt(1)
	v_fma_f32 v2, -v1, v8, v2
	s_or_b32 s14, s14, 0x60
	ds_write_b32 v7, v1
	v_mul_f32_e32 v2, v2, v9
	v_add_u32_e32 v7, s17, v5
	s_add_i32 s15, s15, s14
	ds_write_b32 v7, v2
	v_mov_b32_e32 v7, s15
	s_waitcnt lgkmcnt(2)
	v_fma_f32 v3, -v1, v10, v3
	ds_read_b128 v[7:10], v7
	v_fma_f32 v3, -v2, v11, v3
	v_mul_f32_e32 v3, v3, v12
	s_add_i32 s13, s13, 1
	s_addk_i32 s12, 0x80
	s_waitcnt lgkmcnt(0)
	v_fma_f32 v1, -v1, v7, v4
	v_fma_f32 v1, -v2, v8, v1
	;; [unrolled: 1-line block ×3, first 2 shown]
	v_add_u32_e32 v2, s14, v5
	s_add_i32 s14, s8, 4
	s_add_i32 s8, s8, 7
	s_xor_b64 s[4:5], s[4:5], -1
	v_add_u32_e32 v11, s18, v5
	v_mul_f32_e32 v1, v1, v10
	s_cmp_lt_i32 s8, s16
	ds_write_b32 v11, v3
	ds_write_b32 v2, v1
	s_cbranch_scc0 .LBB6_25
; %bb.23:                               ;   in Loop: Header=BB6_15 Depth=1
	s_mov_b32 s8, s14
	s_branch .LBB6_15
.LBB6_24:
	s_mov_b32 s14, s8
.LBB6_25:
	s_cmp_ge_i32 s14, s16
	s_cbranch_scc1 .LBB6_30
; %bb.26:
	v_mov_b32_e32 v1, 0x100
	s_lshl_b32 s4, s14, 5
	v_lshl_or_b32 v1, v0, 2, v1
	s_branch .LBB6_28
.LBB6_27:                               ;   in Loop: Header=BB6_28 Depth=1
	s_mul_i32 s5, s14, 36
	v_mov_b32_e32 v4, s5
	ds_read_b32 v4, v4
	s_add_i32 s14, s14, 1
	s_add_i32 s4, s4, 32
	s_cmp_ge_i32 s14, s16
	s_waitcnt lgkmcnt(0)
	v_mul_f32_e32 v3, v3, v4
	ds_write_b32 v2, v3
	s_cbranch_scc1 .LBB6_30
.LBB6_28:                               ; =>This Loop Header: Depth=1
                                        ;     Child Loop BB6_29 Depth 2
	s_lshl_b32 s5, s14, 5
	v_add_u32_e32 v2, s5, v5
	ds_read_b32 v3, v2
	s_cmp_eq_u32 s14, 0
	v_mov_b32_e32 v4, v1
	s_mov_b32 s5, s14
	s_mov_b32 s8, s4
	s_cbranch_scc1 .LBB6_27
.LBB6_29:                               ;   Parent Loop BB6_28 Depth=1
                                        ; =>  This Inner Loop Header: Depth=2
	v_mov_b32_e32 v7, s8
	ds_read_b32 v6, v4
	ds_read_b32 v7, v7
	s_add_i32 s8, s8, 4
	s_add_i32 s5, s5, -1
	v_add_u32_e32 v4, 32, v4
	s_cmp_lg_u32 s5, 0
	s_waitcnt lgkmcnt(0)
	v_fma_f32 v3, -v6, v7, v3
	s_cbranch_scc1 .LBB6_29
	s_branch .LBB6_27
.LBB6_30:
	s_mov_b64 s[4:5], 0
.LBB6_31:
	s_and_b64 vcc, exec, s[4:5]
	s_cbranch_vccz .LBB6_57
; %bb.32:
	s_add_i32 s4, s16, -1
	s_cmp_gt_i32 s10, 7
	s_mov_b32 s5, -1
	s_cbranch_scc0 .LBB6_34
; %bb.33:
	ds_read2_b32 v[9:10], v5 offset0:48 offset1:56
	v_mov_b32_e32 v17, 0
	ds_read_b128 v[1:4], v17 offset:240
	ds_read2_b32 v[11:12], v5 offset0:32 offset1:40
	ds_read2_b32 v[13:14], v5 offset0:16 offset1:24
	ds_read2_b32 v[15:16], v5 offset1:8
	ds_read_b96 v[6:8], v17 offset:208
	s_waitcnt lgkmcnt(4)
	v_mul_f32_e32 v18, v10, v4
	v_fma_f32 v9, -v18, v3, v9
	s_waitcnt lgkmcnt(3)
	v_fma_f32 v12, -v18, v2, v12
	v_fma_f32 v19, -v18, v1, v11
	ds_read_b128 v[1:4], v17 offset:224
	s_waitcnt lgkmcnt(1)
	v_mul_f32_e32 v20, v9, v8
	ds_read_b64 v[10:11], v17 offset:176
	v_fma_f32 v12, -v20, v7, v12
	v_fma_f32 v19, -v20, v6, v19
	ds_read_b128 v[6:9], v17 offset:192
	ds_write2_b32 v5, v20, v18 offset0:48 offset1:56
	s_waitcnt lgkmcnt(3)
	v_fma_f32 v4, -v18, v4, v14
	s_waitcnt lgkmcnt(2)
	v_mul_f32_e32 v21, v12, v11
	v_fma_f32 v11, -v18, v2, v16
	s_waitcnt lgkmcnt(1)
	v_fma_f32 v14, -v20, v9, v4
	v_fma_f32 v9, -v18, v3, v13
	;; [unrolled: 1-line block ×3, first 2 shown]
	ds_read_b32 v13, v17 offset:144
	ds_read_b128 v[1:4], v17 offset:160
	v_fma_f32 v15, -v20, v8, v9
	v_fma_f32 v16, -v20, v7, v11
	;; [unrolled: 1-line block ×3, first 2 shown]
	ds_read_b128 v[6:9], v17 offset:128
	v_fma_f32 v10, -v21, v10, v19
	s_waitcnt lgkmcnt(2)
	v_mul_f32_e32 v19, v10, v13
	ds_read_b128 v[10:13], v17 offset:96
	s_waitcnt lgkmcnt(2)
	v_fma_f32 v4, -v21, v4, v14
	s_waitcnt lgkmcnt(1)
	v_fma_f32 v4, -v19, v9, v4
	v_fma_f32 v9, -v21, v3, v15
	;; [unrolled: 1-line block ×4, first 2 shown]
	ds_read_b96 v[1:3], v17 offset:64
	s_waitcnt lgkmcnt(1)
	v_mul_f32_e32 v4, v4, v13
	v_fma_f32 v8, -v19, v8, v9
	v_fma_f32 v12, -v4, v12, v8
	ds_read_b64 v[8:9], v17 offset:32
	v_fma_f32 v7, -v19, v7, v14
	s_waitcnt lgkmcnt(1)
	v_mul_f32_e32 v3, v12, v3
	v_fma_f32 v7, -v4, v11, v7
	v_fma_f32 v2, -v3, v2, v7
	ds_read_b32 v7, v17
	v_fma_f32 v6, -v19, v6, v15
	ds_write2_b32 v5, v3, v4 offset0:16 offset1:24
	v_fma_f32 v4, -v4, v10, v6
	s_waitcnt lgkmcnt(2)
	v_mul_f32_e32 v2, v2, v9
	v_fma_f32 v1, -v3, v1, v4
	v_fma_f32 v1, -v2, v8, v1
	s_waitcnt lgkmcnt(1)
	v_mul_f32_e32 v1, v1, v7
	ds_write2_b32 v5, v19, v21 offset0:32 offset1:40
	ds_write2_b32 v5, v1, v2 offset1:8
	s_cmp_gt_i32 s5, -1
	s_cbranch_scc1 .LBB6_35
	s_branch .LBB6_57
.LBB6_34:
	s_mov_b32 s5, s4
	s_cmp_gt_i32 s5, -1
	s_cbranch_scc0 .LBB6_57
.LBB6_35:
	s_cmp_lt_u32 s5, 3
	s_cbranch_scc1 .LBB6_40
; %bb.36:
	s_lshl_b32 s8, s5, 5
	v_add_u32_e32 v2, s8, v5
	v_subrev_u32_e32 v1, 32, v2
	v_subrev_u32_e32 v3, 64, v2
	v_add_u32_e32 v7, 0xffffffa0, v2
	ds_read_b32 v6, v2
	ds_read_b32 v4, v1
	;; [unrolled: 1-line block ×4, first 2 shown]
	s_cmp_le_i32 s4, s5
	s_cbranch_scc1 .LBB6_39
; %bb.37:
	s_lshl_b32 s10, s16, 5
	s_lshl_b32 s11, s5, 2
	v_lshl_or_b32 v7, v0, 2, s10
	s_add_i32 s10, s10, s11
	v_add_u32_e32 v7, 0xe0, v7
	s_sub_i32 s10, s10, 44
	s_mov_b32 s11, s4
.LBB6_38:                               ; =>This Inner Loop Header: Depth=1
	v_mov_b32_e32 v10, s10
	ds_read_b32 v12, v7
	ds_read2_b32 v[8:9], v10 offset0:2 offset1:3
	ds_read2_b32 v[10:11], v10 offset1:1
	s_add_i32 s11, s11, -1
	s_sub_i32 s10, s10, 32
	v_subrev_u32_e32 v7, 32, v7
	s_cmp_gt_i32 s11, s5
	s_waitcnt lgkmcnt(1)
	v_fma_f32 v6, -v12, v9, v6
	v_fma_f32 v4, -v12, v8, v4
	s_waitcnt lgkmcnt(0)
	v_fma_f32 v3, -v12, v11, v3
	v_fma_f32 v1, -v12, v10, v1
	s_cbranch_scc1 .LBB6_38
.LBB6_39:
	s_add_i32 s10, s5, -1
	s_lshl_b32 s11, s10, 2
	s_lshl_b32 s10, s10, 5
	s_add_i32 s12, s11, s8
	s_add_i32 s11, s11, s10
	v_mov_b32_e32 v7, s12
	v_mov_b32_e32 v9, s11
	s_add_i32 s11, s5, -3
	ds_read2_b32 v[7:8], v7 offset1:1
	s_lshl_b32 s12, s11, 2
	s_add_i32 s13, s12, s8
	v_mov_b32_e32 v10, s13
	s_add_i32 s13, s12, s10
	v_mov_b32_e32 v11, s13
	ds_read_b32 v13, v9
	ds_read2_b32 v[9:10], v10 offset1:1
	ds_read2_b32 v[11:12], v11 offset1:1
	s_waitcnt lgkmcnt(3)
	v_mul_f32_e32 v6, v6, v8
	ds_write_b32 v2, v6
	v_fma_f32 v2, -v6, v7, v4
	s_waitcnt lgkmcnt(3)
	v_mul_f32_e32 v4, v2, v13
	v_add_u32_e32 v2, s10, v5
	s_sub_i32 s8, s8, 64
	ds_write_b32 v2, v4
	s_waitcnt lgkmcnt(3)
	v_fma_f32 v2, -v6, v10, v3
	s_add_i32 s10, s12, s8
	s_waitcnt lgkmcnt(2)
	v_fma_f32 v7, -v4, v12, v2
	v_mov_b32_e32 v2, s10
	s_lshl_b32 s10, s11, 5
	ds_read2_b32 v[2:3], v2 offset1:1
	s_add_i32 s11, s12, s10
	v_mov_b32_e32 v8, s11
	ds_read_b32 v8, v8
	v_fma_f32 v1, -v6, v9, v1
	s_waitcnt lgkmcnt(1)
	v_mul_f32_e32 v3, v7, v3
	v_fma_f32 v1, -v4, v11, v1
	v_fma_f32 v1, -v3, v2, v1
	v_add_u32_e32 v7, s8, v5
	s_waitcnt lgkmcnt(0)
	v_mul_f32_e32 v1, v1, v8
	v_add_u32_e32 v2, s10, v5
	s_add_i32 s5, s5, -4
	ds_write_b32 v7, v3
	ds_write_b32 v2, v1
.LBB6_40:
	s_cmp_lt_i32 s5, 0
	s_cbranch_scc1 .LBB6_57
; %bb.41:
	s_and_b32 s8, s5, 3
	s_cmp_eq_u32 s8, 3
	s_mov_b32 s8, s5
	s_cbranch_scc1 .LBB6_46
; %bb.42:
	s_add_i32 s8, s5, 1
	s_and_b32 s10, s8, 3
	s_lshl_b32 s8, s16, 5
	s_lshl_b32 s11, s5, 2
	s_add_i32 s11, s8, s11
	v_lshl_or_b32 v1, v0, 2, s8
	s_sub_i32 s11, s11, 32
	v_add_u32_e32 v1, 0xe0, v1
	s_mov_b32 s12, 0
	s_mov_b32 s8, s5
	s_branch .LBB6_44
.LBB6_43:                               ;   in Loop: Header=BB6_44 Depth=1
	s_mul_i32 s13, s8, 36
	v_mov_b32_e32 v4, s13
	ds_read_b32 v4, v4
	s_add_i32 s8, s8, -1
	s_add_i32 s12, s12, 1
	s_add_i32 s11, s11, -4
	s_cmp_lg_u32 s12, s10
	s_waitcnt lgkmcnt(0)
	v_mul_f32_e32 v3, v3, v4
	ds_write_b32 v2, v3
	s_cbranch_scc0 .LBB6_46
.LBB6_44:                               ; =>This Loop Header: Depth=1
                                        ;     Child Loop BB6_45 Depth 2
	s_lshl_b32 s13, s8, 5
	v_add_u32_e32 v2, s13, v5
	ds_read_b32 v3, v2
	s_cmp_le_i32 s4, s8
	v_mov_b32_e32 v4, v1
	s_mov_b32 s13, s11
	s_mov_b32 s14, s4
	s_cbranch_scc1 .LBB6_43
.LBB6_45:                               ;   Parent Loop BB6_44 Depth=1
                                        ; =>  This Inner Loop Header: Depth=2
	v_mov_b32_e32 v7, s13
	ds_read_b32 v6, v4
	ds_read_b32 v7, v7
	s_add_i32 s14, s14, -1
	s_sub_i32 s13, s13, 32
	v_subrev_u32_e32 v4, 32, v4
	s_cmp_gt_i32 s14, s8
	s_waitcnt lgkmcnt(0)
	v_fma_f32 v3, -v6, v7, v3
	s_cbranch_scc1 .LBB6_45
	s_branch .LBB6_43
.LBB6_46:
	s_cmp_lt_u32 s5, 3
	s_cbranch_scc1 .LBB6_57
; %bb.47:
	s_lshl_b32 s10, s16, 5
	s_lshl_b32 s5, s8, 2
	s_add_i32 s12, s10, s5
	v_lshl_or_b32 v1, v0, 2, s10
	s_sub_i32 s5, s12, 32
	v_add_u32_e32 v1, 0xe0, v1
	s_sub_i32 s10, s12, 36
	s_sub_i32 s11, s12, 40
	;; [unrolled: 1-line block ×3, first 2 shown]
	s_branch .LBB6_49
.LBB6_48:                               ;   in Loop: Header=BB6_49 Depth=1
	s_sub_i32 s13, s13, 36
	v_mov_b32_e32 v3, s13
	ds_read_b32 v3, v3
	s_add_i32 s13, s8, -4
	s_add_i32 s5, s5, -16
	;; [unrolled: 1-line block ×5, first 2 shown]
	s_waitcnt lgkmcnt(0)
	v_mul_f32_e32 v3, v6, v3
	s_cmp_lt_i32 s8, 4
	s_mov_b32 s8, s13
	ds_write_b32 v2, v3
	s_cbranch_scc1 .LBB6_57
.LBB6_49:                               ; =>This Loop Header: Depth=1
                                        ;     Child Loop BB6_50 Depth 2
                                        ;     Child Loop BB6_52 Depth 2
	;; [unrolled: 1-line block ×4, first 2 shown]
	s_lshl_b32 s14, s8, 5
	v_add_u32_e32 v3, s14, v5
	ds_read_b32 v4, v3
	s_cmp_le_i32 s4, s8
	v_mov_b32_e32 v2, v1
	s_mov_b32 s13, s5
	s_mov_b32 s15, s4
	s_cbranch_scc1 .LBB6_51
.LBB6_50:                               ;   Parent Loop BB6_49 Depth=1
                                        ; =>  This Inner Loop Header: Depth=2
	v_mov_b32_e32 v7, s13
	ds_read_b32 v6, v2
	ds_read_b32 v7, v7
	s_add_i32 s15, s15, -1
	s_sub_i32 s13, s13, 32
	v_subrev_u32_e32 v2, 32, v2
	s_cmp_gt_i32 s15, s8
	s_waitcnt lgkmcnt(0)
	v_fma_f32 v4, -v6, v7, v4
	s_cbranch_scc1 .LBB6_50
.LBB6_51:                               ;   in Loop: Header=BB6_49 Depth=1
	s_mul_i32 s13, s8, 36
	v_mov_b32_e32 v2, s13
	ds_read_b32 v7, v2
	s_sub_i32 s14, s14, 32
	v_add_u32_e32 v2, s14, v5
	ds_read_b32 v6, v2
	s_cmp_le_i32 s16, s8
	s_waitcnt lgkmcnt(1)
	v_mul_f32_e32 v4, v4, v7
	ds_write_b32 v3, v4
	v_mov_b32_e32 v3, v1
	s_mov_b32 s14, s10
	s_mov_b32 s15, s16
	s_cbranch_scc1 .LBB6_53
.LBB6_52:                               ;   Parent Loop BB6_49 Depth=1
                                        ; =>  This Inner Loop Header: Depth=2
	v_mov_b32_e32 v7, s14
	ds_read_b32 v4, v3
	ds_read_b32 v7, v7
	s_add_i32 s15, s15, -1
	s_sub_i32 s14, s14, 32
	v_subrev_u32_e32 v3, 32, v3
	s_cmp_gt_i32 s15, s8
	s_waitcnt lgkmcnt(0)
	v_fma_f32 v6, -v4, v7, v6
	s_cbranch_scc1 .LBB6_52
.LBB6_53:                               ;   in Loop: Header=BB6_49 Depth=1
	s_sub_i32 s13, s13, 36
	v_mov_b32_e32 v3, s13
	s_add_i32 s14, s8, -2
	ds_read_b32 v7, v3
	s_lshl_b32 s15, s14, 5
	v_add_u32_e32 v3, s15, v5
	ds_read_b32 v4, v3
	s_cmp_le_i32 s4, s14
	s_waitcnt lgkmcnt(1)
	v_mul_f32_e32 v6, v6, v7
	ds_write_b32 v2, v6
	v_mov_b32_e32 v2, v1
	s_mov_b32 s15, s11
	s_mov_b32 s17, s4
	s_cbranch_scc1 .LBB6_55
.LBB6_54:                               ;   Parent Loop BB6_49 Depth=1
                                        ; =>  This Inner Loop Header: Depth=2
	v_mov_b32_e32 v7, s15
	ds_read_b32 v6, v2
	ds_read_b32 v7, v7
	s_add_i32 s17, s17, -1
	s_sub_i32 s15, s15, 32
	v_subrev_u32_e32 v2, 32, v2
	s_cmp_gt_i32 s17, s14
	s_waitcnt lgkmcnt(0)
	v_fma_f32 v4, -v6, v7, v4
	s_cbranch_scc1 .LBB6_54
.LBB6_55:                               ;   in Loop: Header=BB6_49 Depth=1
	s_sub_i32 s13, s13, 36
	v_mov_b32_e32 v2, s13
	s_add_i32 s14, s8, -3
	ds_read_b32 v7, v2
	s_lshl_b32 s15, s14, 5
	v_add_u32_e32 v2, s15, v5
	ds_read_b32 v6, v2
	s_cmp_le_i32 s4, s14
	s_waitcnt lgkmcnt(1)
	v_mul_f32_e32 v4, v4, v7
	ds_write_b32 v3, v4
	v_mov_b32_e32 v3, v1
	s_mov_b32 s15, s12
	s_mov_b32 s17, s4
	s_cbranch_scc1 .LBB6_48
.LBB6_56:                               ;   Parent Loop BB6_49 Depth=1
                                        ; =>  This Inner Loop Header: Depth=2
	v_mov_b32_e32 v7, s15
	ds_read_b32 v4, v3
	ds_read_b32 v7, v7
	s_add_i32 s17, s17, -1
	s_sub_i32 s15, s15, 32
	v_subrev_u32_e32 v3, 32, v3
	s_cmp_gt_i32 s17, s14
	s_waitcnt lgkmcnt(0)
	v_fma_f32 v6, -v4, v7, v6
	s_cbranch_scc1 .LBB6_56
	s_branch .LBB6_48
.LBB6_57:
	s_waitcnt lgkmcnt(0)
	; wave barrier
	s_and_saveexec_b64 s[4:5], s[0:1]
	s_cbranch_execz .LBB6_61
; %bb.58:
	s_andn2_b64 vcc, exec, s[2:3]
	s_cbranch_vccnz .LBB6_61
; %bb.59:
	v_mad_i64_i32 v[1:2], s[0:1], s9, v0, 0
	v_mov_b32_e32 v3, s7
	v_lshlrev_b64 v[1:2], 2, v[1:2]
	v_add_co_u32_e32 v1, vcc, s6, v1
	v_addc_co_u32_e32 v2, vcc, v3, v2, vcc
	v_mov_b32_e32 v3, 0x100
	v_lshl_or_b32 v0, v0, 2, v3
.LBB6_60:                               ; =>This Inner Loop Header: Depth=1
	ds_read_b32 v3, v0
	s_add_i32 s16, s16, -1
	v_add_u32_e32 v0, 32, v0
	s_cmp_lg_u32 s16, 0
	s_waitcnt lgkmcnt(0)
	global_store_dword v[1:2], v3, off
	v_add_co_u32_e32 v1, vcc, 4, v1
	v_addc_co_u32_e32 v2, vcc, 0, v2, vcc
	s_cbranch_scc1 .LBB6_60
.LBB6_61:
	s_endpgm
	.section	.rodata,"a",@progbits
	.p2align	6, 0x0
	.amdhsa_kernel _ZL38rocblas_trsm_small_left_device_sharedBILi8ELi8ELb0EffPKfPfEv13rocblas_fill_18rocblas_operation_17rocblas_diagonal_iiT3_T4_lilT5_lili
		.amdhsa_group_segment_fixed_size 512
		.amdhsa_private_segment_fixed_size 0
		.amdhsa_kernarg_size 352
		.amdhsa_user_sgpr_count 6
		.amdhsa_user_sgpr_private_segment_buffer 1
		.amdhsa_user_sgpr_dispatch_ptr 0
		.amdhsa_user_sgpr_queue_ptr 0
		.amdhsa_user_sgpr_kernarg_segment_ptr 1
		.amdhsa_user_sgpr_dispatch_id 0
		.amdhsa_user_sgpr_flat_scratch_init 0
		.amdhsa_user_sgpr_private_segment_size 0
		.amdhsa_uses_dynamic_stack 0
		.amdhsa_system_sgpr_private_segment_wavefront_offset 0
		.amdhsa_system_sgpr_workgroup_id_x 1
		.amdhsa_system_sgpr_workgroup_id_y 0
		.amdhsa_system_sgpr_workgroup_id_z 1
		.amdhsa_system_sgpr_workgroup_info 0
		.amdhsa_system_vgpr_workitem_id 0
		.amdhsa_next_free_vgpr 29
		.amdhsa_next_free_sgpr 24
		.amdhsa_reserve_vcc 1
		.amdhsa_reserve_flat_scratch 0
		.amdhsa_float_round_mode_32 0
		.amdhsa_float_round_mode_16_64 0
		.amdhsa_float_denorm_mode_32 3
		.amdhsa_float_denorm_mode_16_64 3
		.amdhsa_dx10_clamp 1
		.amdhsa_ieee_mode 1
		.amdhsa_fp16_overflow 0
		.amdhsa_exception_fp_ieee_invalid_op 0
		.amdhsa_exception_fp_denorm_src 0
		.amdhsa_exception_fp_ieee_div_zero 0
		.amdhsa_exception_fp_ieee_overflow 0
		.amdhsa_exception_fp_ieee_underflow 0
		.amdhsa_exception_fp_ieee_inexact 0
		.amdhsa_exception_int_div_zero 0
	.end_amdhsa_kernel
	.section	.text._ZL38rocblas_trsm_small_left_device_sharedBILi8ELi8ELb0EffPKfPfEv13rocblas_fill_18rocblas_operation_17rocblas_diagonal_iiT3_T4_lilT5_lili,"axG",@progbits,_ZL38rocblas_trsm_small_left_device_sharedBILi8ELi8ELb0EffPKfPfEv13rocblas_fill_18rocblas_operation_17rocblas_diagonal_iiT3_T4_lilT5_lili,comdat
.Lfunc_end6:
	.size	_ZL38rocblas_trsm_small_left_device_sharedBILi8ELi8ELb0EffPKfPfEv13rocblas_fill_18rocblas_operation_17rocblas_diagonal_iiT3_T4_lilT5_lili, .Lfunc_end6-_ZL38rocblas_trsm_small_left_device_sharedBILi8ELi8ELb0EffPKfPfEv13rocblas_fill_18rocblas_operation_17rocblas_diagonal_iiT3_T4_lilT5_lili
                                        ; -- End function
	.set _ZL38rocblas_trsm_small_left_device_sharedBILi8ELi8ELb0EffPKfPfEv13rocblas_fill_18rocblas_operation_17rocblas_diagonal_iiT3_T4_lilT5_lili.num_vgpr, 29
	.set _ZL38rocblas_trsm_small_left_device_sharedBILi8ELi8ELb0EffPKfPfEv13rocblas_fill_18rocblas_operation_17rocblas_diagonal_iiT3_T4_lilT5_lili.num_agpr, 0
	.set _ZL38rocblas_trsm_small_left_device_sharedBILi8ELi8ELb0EffPKfPfEv13rocblas_fill_18rocblas_operation_17rocblas_diagonal_iiT3_T4_lilT5_lili.numbered_sgpr, 24
	.set _ZL38rocblas_trsm_small_left_device_sharedBILi8ELi8ELb0EffPKfPfEv13rocblas_fill_18rocblas_operation_17rocblas_diagonal_iiT3_T4_lilT5_lili.num_named_barrier, 0
	.set _ZL38rocblas_trsm_small_left_device_sharedBILi8ELi8ELb0EffPKfPfEv13rocblas_fill_18rocblas_operation_17rocblas_diagonal_iiT3_T4_lilT5_lili.private_seg_size, 0
	.set _ZL38rocblas_trsm_small_left_device_sharedBILi8ELi8ELb0EffPKfPfEv13rocblas_fill_18rocblas_operation_17rocblas_diagonal_iiT3_T4_lilT5_lili.uses_vcc, 1
	.set _ZL38rocblas_trsm_small_left_device_sharedBILi8ELi8ELb0EffPKfPfEv13rocblas_fill_18rocblas_operation_17rocblas_diagonal_iiT3_T4_lilT5_lili.uses_flat_scratch, 0
	.set _ZL38rocblas_trsm_small_left_device_sharedBILi8ELi8ELb0EffPKfPfEv13rocblas_fill_18rocblas_operation_17rocblas_diagonal_iiT3_T4_lilT5_lili.has_dyn_sized_stack, 0
	.set _ZL38rocblas_trsm_small_left_device_sharedBILi8ELi8ELb0EffPKfPfEv13rocblas_fill_18rocblas_operation_17rocblas_diagonal_iiT3_T4_lilT5_lili.has_recursion, 0
	.set _ZL38rocblas_trsm_small_left_device_sharedBILi8ELi8ELb0EffPKfPfEv13rocblas_fill_18rocblas_operation_17rocblas_diagonal_iiT3_T4_lilT5_lili.has_indirect_call, 0
	.section	.AMDGPU.csdata,"",@progbits
; Kernel info:
; codeLenInByte = 4044
; TotalNumSgprs: 28
; NumVgprs: 29
; ScratchSize: 0
; MemoryBound: 0
; FloatMode: 240
; IeeeMode: 1
; LDSByteSize: 512 bytes/workgroup (compile time only)
; SGPRBlocks: 3
; VGPRBlocks: 7
; NumSGPRsForWavesPerEU: 28
; NumVGPRsForWavesPerEU: 29
; Occupancy: 8
; WaveLimiterHint : 0
; COMPUTE_PGM_RSRC2:SCRATCH_EN: 0
; COMPUTE_PGM_RSRC2:USER_SGPR: 6
; COMPUTE_PGM_RSRC2:TRAP_HANDLER: 0
; COMPUTE_PGM_RSRC2:TGID_X_EN: 1
; COMPUTE_PGM_RSRC2:TGID_Y_EN: 0
; COMPUTE_PGM_RSRC2:TGID_Z_EN: 1
; COMPUTE_PGM_RSRC2:TIDIG_COMP_CNT: 0
	.section	.text._ZL30rocblas_trsm_small_left_deviceILi8ELi8ELb0EffPKfPfEv13rocblas_fill_18rocblas_operation_17rocblas_diagonal_iiT3_T4_lilT5_lili,"axG",@progbits,_ZL30rocblas_trsm_small_left_deviceILi8ELi8ELb0EffPKfPfEv13rocblas_fill_18rocblas_operation_17rocblas_diagonal_iiT3_T4_lilT5_lili,comdat
	.globl	_ZL30rocblas_trsm_small_left_deviceILi8ELi8ELb0EffPKfPfEv13rocblas_fill_18rocblas_operation_17rocblas_diagonal_iiT3_T4_lilT5_lili ; -- Begin function _ZL30rocblas_trsm_small_left_deviceILi8ELi8ELb0EffPKfPfEv13rocblas_fill_18rocblas_operation_17rocblas_diagonal_iiT3_T4_lilT5_lili
	.p2align	8
	.type	_ZL30rocblas_trsm_small_left_deviceILi8ELi8ELb0EffPKfPfEv13rocblas_fill_18rocblas_operation_17rocblas_diagonal_iiT3_T4_lilT5_lili,@function
_ZL30rocblas_trsm_small_left_deviceILi8ELi8ELb0EffPKfPfEv13rocblas_fill_18rocblas_operation_17rocblas_diagonal_iiT3_T4_lilT5_lili: ; @_ZL30rocblas_trsm_small_left_deviceILi8ELi8ELb0EffPKfPfEv13rocblas_fill_18rocblas_operation_17rocblas_diagonal_iiT3_T4_lilT5_lili
; %bb.0:
	s_load_dwordx4 s[0:3], s[4:5], 0x4
	s_load_dword s16, s[4:5], 0x14
	s_load_dwordx4 s[8:11], s[4:5], 0x30
	s_load_dwordx2 s[12:13], s[4:5], 0x40
	s_waitcnt lgkmcnt(0)
	s_min_i32 s17, s2, 8
	v_cmp_gt_i32_e32 vcc, s17, v0
	s_and_saveexec_b64 s[14:15], vcc
	s_cbranch_execz .LBB7_6
; %bb.1:
	s_load_dword s18, s[4:5], 0x28
	s_load_dwordx4 s[20:23], s[4:5], 0x18
	s_mul_i32 s9, s9, s7
	s_mul_hi_u32 s19, s8, s7
	s_add_i32 s9, s19, s9
	s_mul_i32 s8, s8, s7
	s_waitcnt lgkmcnt(0)
	s_ashr_i32 s19, s18, 31
	s_lshl_b64 s[8:9], s[8:9], 2
	s_add_u32 s20, s20, s8
	s_addc_u32 s21, s21, s9
	s_lshl_b64 s[8:9], s[22:23], 2
	s_add_u32 s8, s20, s8
	s_addc_u32 s9, s21, s9
	v_lshlrev_b32_e32 v3, 2, v0
	v_mov_b32_e32 v2, s9
	v_add_co_u32_e32 v1, vcc, s8, v3
	s_lshl_b64 s[8:9], s[18:19], 2
	v_addc_co_u32_e32 v2, vcc, 0, v2, vcc
	v_mov_b32_e32 v4, s9
	v_mov_b32_e32 v5, v3
	s_mov_b32 s9, s17
.LBB7_2:                                ; =>This Inner Loop Header: Depth=1
	global_load_dword v6, v[1:2], off
	v_add_co_u32_e32 v1, vcc, s8, v1
	s_add_i32 s9, s9, -1
	v_addc_co_u32_e32 v2, vcc, v2, v4, vcc
	s_cmp_eq_u32 s9, 0
	s_waitcnt vmcnt(0)
	ds_write_b32 v5, v6
	v_add_u32_e32 v5, 32, v5
	s_cbranch_scc0 .LBB7_2
; %bb.3:
	v_lshlrev_b32_e32 v1, 5, v0
	s_cmpk_lg_i32 s1, 0x84
	v_mov_b32_e32 v2, 1.0
	v_add_u32_e32 v1, v3, v1
	s_cbranch_scc0 .LBB7_5
; %bb.4:
	ds_read_b32 v2, v1
	s_waitcnt lgkmcnt(0)
	v_div_scale_f32 v3, s[8:9], v2, v2, 1.0
	v_div_scale_f32 v4, vcc, 1.0, v2, 1.0
	v_rcp_f32_e32 v5, v3
	v_fma_f32 v6, -v3, v5, 1.0
	v_fmac_f32_e32 v5, v6, v5
	v_mul_f32_e32 v6, v4, v5
	v_fma_f32 v7, -v3, v6, v4
	v_fmac_f32_e32 v6, v7, v5
	v_fma_f32 v3, -v3, v6, v4
	v_div_fmas_f32 v3, v3, v5, v6
	v_div_fixup_f32 v2, v3, v2, 1.0
.LBB7_5:
	ds_write_b32 v1, v2
.LBB7_6:
	s_or_b64 exec, exec, s[14:15]
	s_load_dword s1, s[4:5], 0x60
	s_waitcnt lgkmcnt(0)
	; wave barrier
	s_add_i32 s8, s1, -1
	s_lshl_b32 s1, s6, 3
	s_sub_i32 s3, s3, s1
	s_cmp_ge_u32 s6, s8
	s_cselect_b32 s3, s3, 8
	v_cmp_gt_i32_e32 vcc, s3, v0
	s_and_saveexec_b64 s[8:9], vcc
	s_cbranch_execz .LBB7_57
; %bb.7:
	s_load_dwordx2 s[8:9], s[4:5], 0x50
	s_load_dword s3, s[4:5], 0x48
	v_add_u32_e32 v0, s1, v0
	s_waitcnt lgkmcnt(0)
	s_mul_i32 s1, s9, s7
	s_mul_hi_u32 s5, s8, s7
	s_mul_i32 s4, s8, s7
	s_add_i32 s5, s5, s1
	v_mad_i64_i32 v[0:1], s[6:7], s3, v0, 0
	s_lshl_b64 s[4:5], s[4:5], 2
	s_add_u32 s1, s10, s4
	s_addc_u32 s8, s11, s5
	s_lshl_b64 s[6:7], s[12:13], 2
	s_add_u32 s1, s1, s6
	v_lshlrev_b64 v[2:3], 2, v[0:1]
	s_addc_u32 s3, s8, s7
	v_mov_b32_e32 v1, s3
	v_add_co_u32_e32 v0, vcc, s1, v2
	v_addc_co_u32_e32 v1, vcc, v1, v3, vcc
	s_cmpk_eq_i32 s0, 0x6f
	s_mov_b64 s[0:1], -1
	s_cbranch_scc1 .LBB7_31
; %bb.8:
	s_cmp_gt_i32 s2, 7
	s_cbranch_scc0 .LBB7_10
; %bb.9:
	global_load_dwordx4 v[4:7], v[0:1], off
	global_load_dwordx4 v[8:11], v[0:1], off offset:16
	v_mov_b32_e32 v33, 0
	ds_read_b32 v20, v33
	ds_read_b64 v[26:27], v33 offset:32
	ds_read_b96 v[23:25], v33 offset:64
	ds_read_b128 v[12:15], v33 offset:96
	ds_read_b128 v[16:19], v33 offset:128
	s_mov_b32 s0, 8
	s_waitcnt vmcnt(1)
	v_mul_f32_e32 v4, s16, v4
	s_waitcnt lgkmcnt(4)
	v_mul_f32_e32 v4, v4, v20
	s_waitcnt lgkmcnt(3)
	;; [unrolled: 2-line block ×3, first 2 shown]
	v_mul_f32_e32 v21, v4, v23
	v_fma_f32 v5, s16, v5, -v20
	v_fma_f32 v6, s16, v6, -v21
	v_mul_f32_e32 v5, v5, v27
	v_fma_f32 v6, -v5, v24, v6
	ds_read_b128 v[20:23], v33 offset:160
	ds_read_b32 v34, v33 offset:144
	v_mul_f32_e32 v6, v6, v25
	ds_read_b128 v[24:27], v33 offset:192
	ds_read_b64 v[31:32], v33 offset:176
	s_waitcnt lgkmcnt(5)
	v_mul_f32_e32 v12, v4, v12
	v_fma_f32 v7, s16, v7, -v12
	v_fma_f32 v7, -v5, v13, v7
	s_waitcnt lgkmcnt(4)
	v_mul_f32_e32 v12, v4, v16
	v_fma_f32 v7, -v6, v14, v7
	s_waitcnt lgkmcnt(3)
	v_mul_f32_e32 v13, v4, v20
	s_waitcnt lgkmcnt(1)
	v_mul_f32_e32 v14, v4, v24
	v_mul_f32_e32 v7, v7, v15
	s_waitcnt vmcnt(0)
	v_fma_f32 v8, s16, v8, -v12
	v_fma_f32 v16, s16, v9, -v13
	v_fma_f32 v20, s16, v10, -v14
	ds_read_b96 v[28:30], v33 offset:208
	ds_read_b128 v[12:15], v33 offset:224
	v_fma_f32 v8, -v5, v17, v8
	v_fma_f32 v8, -v6, v18, v8
	;; [unrolled: 1-line block ×4, first 2 shown]
	s_waitcnt lgkmcnt(0)
	v_mul_f32_e32 v9, v4, v12
	v_fma_f32 v12, s16, v11, -v9
	ds_read_b128 v[8:11], v33 offset:240
	v_fma_f32 v18, -v5, v25, v20
	v_fma_f32 v12, -v5, v13, v12
	v_fma_f32 v13, -v6, v22, v16
	v_fma_f32 v16, -v6, v26, v18
	global_store_dwordx4 v[0:1], v[4:7], off
	v_fma_f32 v12, -v6, v14, v12
	v_fma_f32 v5, -v7, v23, v13
	v_mul_f32_e32 v4, v17, v34
	v_fma_f32 v6, -v7, v27, v16
	v_fma_f32 v5, -v4, v31, v5
	;; [unrolled: 1-line block ×4, first 2 shown]
	v_mul_f32_e32 v5, v5, v32
	s_waitcnt lgkmcnt(0)
	v_fma_f32 v7, -v4, v8, v7
	v_fma_f32 v6, -v5, v29, v6
	;; [unrolled: 1-line block ×3, first 2 shown]
	v_mul_f32_e32 v6, v6, v30
	v_fma_f32 v7, -v6, v10, v7
	v_mul_f32_e32 v7, v7, v11
	global_store_dwordx4 v[0:1], v[4:7], off offset:16
	s_cmp_lt_i32 s0, s17
	s_cbranch_scc1 .LBB7_11
	s_branch .LBB7_30
.LBB7_10:
	s_mov_b32 s0, 0
	s_cmp_lt_i32 s0, s17
	s_cbranch_scc0 .LBB7_30
.LBB7_11:
	s_or_b32 s1, s0, 3
	s_cmp_ge_u32 s1, s17
	s_cbranch_scc1 .LBB7_24
; %bb.12:
	s_add_i32 s3, s0, -1
	s_lshl_b32 s8, s0, 5
	s_add_u32 s1, s10, s6
	s_addc_u32 s6, s11, s7
	s_add_u32 s1, s1, s4
	s_addc_u32 s4, s6, s5
	v_mov_b32_e32 v4, s4
	v_add_co_u32_e32 v8, vcc, s1, v2
	v_addc_co_u32_e32 v9, vcc, v4, v3, vcc
	v_add_co_u32_e32 v2, vcc, 28, v8
	s_bitcmp1_b32 s0, 2
	v_addc_co_u32_e32 v3, vcc, 0, v9, vcc
	s_cselect_b64 s[4:5], -1, 0
	s_mov_b32 s1, 0
	s_mov_b32 s9, 0
.LBB7_13:                               ; =>This Loop Header: Depth=1
                                        ;     Child Loop BB7_16 Depth 2
                                        ;     Child Loop BB7_19 Depth 2
	s_lshl_b64 s[6:7], s[0:1], 2
	v_mov_b32_e32 v5, s7
	v_add_co_u32_e32 v4, vcc, s6, v0
	v_addc_co_u32_e32 v5, vcc, v1, v5, vcc
	global_load_dwordx4 v[12:15], v[4:5], off
	s_cmp_eq_u32 s0, 0
	s_waitcnt vmcnt(0)
	v_mul_f32_e32 v11, s16, v12
	v_mul_f32_e32 v13, s16, v13
	v_mul_f32_e32 v12, s16, v14
	v_mul_f32_e32 v10, s16, v15
	s_cbranch_scc1 .LBB7_21
; %bb.14:                               ;   in Loop: Header=BB7_13 Depth=1
	s_lshl_b32 s6, s9, 2
	s_add_i32 s6, s3, s6
	s_cmp_lt_u32 s6, 7
	s_mov_b32 s6, 0
	s_cbranch_scc1 .LBB7_17
; %bb.15:                               ;   in Loop: Header=BB7_13 Depth=1
	v_mov_b32_e32 v7, v3
	s_and_b32 s6, s0, -8
	s_mov_b32 s7, 0
	v_mov_b32_e32 v6, v2
	s_mov_b32 s10, s8
.LBB7_16:                               ;   Parent Loop BB7_13 Depth=1
                                        ; =>  This Inner Loop Header: Depth=2
	global_load_dwordx4 v[14:17], v[6:7], off offset:-28
	global_load_dwordx4 v[18:21], v[6:7], off offset:-12
	v_mov_b32_e32 v30, s10
	ds_read_b128 v[22:25], v30
	ds_read_b128 v[26:29], v30 offset:32
	s_add_i32 s10, s10, 32
	s_add_i32 s7, s7, 8
	v_add_co_u32_e32 v6, vcc, 32, v6
	v_addc_co_u32_e32 v7, vcc, 0, v7, vcc
	s_cmp_lg_u32 s6, s7
	s_waitcnt vmcnt(1) lgkmcnt(1)
	v_fma_f32 v11, -v14, v22, v11
	v_fma_f32 v11, -v15, v23, v11
	;; [unrolled: 1-line block ×4, first 2 shown]
	ds_read_b128 v[22:25], v30 offset:64
	s_waitcnt lgkmcnt(1)
	v_fma_f32 v13, -v14, v26, v13
	v_fma_f32 v13, -v15, v27, v13
	;; [unrolled: 1-line block ×4, first 2 shown]
	s_waitcnt lgkmcnt(0)
	v_fma_f32 v12, -v14, v22, v12
	v_fma_f32 v12, -v15, v23, v12
	;; [unrolled: 1-line block ×3, first 2 shown]
	ds_read_b128 v[26:29], v30 offset:96
	v_fma_f32 v32, -v17, v25, v12
	ds_read_b128 v[22:25], v30 offset:16
	s_waitcnt lgkmcnt(1)
	v_fma_f32 v10, -v14, v26, v10
	v_fma_f32 v10, -v15, v27, v10
	s_waitcnt vmcnt(0) lgkmcnt(0)
	v_fma_f32 v11, -v18, v22, v11
	v_fma_f32 v11, -v19, v23, v11
	;; [unrolled: 1-line block ×5, first 2 shown]
	ds_read_b128 v[12:15], v30 offset:48
	ds_read_b128 v[26:29], v30 offset:80
	v_fma_f32 v11, -v21, v25, v11
	ds_read_b128 v[22:25], v30 offset:112
	s_waitcnt lgkmcnt(2)
	v_fma_f32 v12, -v18, v12, v31
	s_waitcnt lgkmcnt(1)
	v_fma_f32 v16, -v18, v26, v32
	v_fma_f32 v12, -v19, v13, v12
	s_waitcnt lgkmcnt(0)
	v_fma_f32 v10, -v18, v22, v10
	v_fma_f32 v13, -v19, v27, v16
	v_fma_f32 v10, -v19, v23, v10
	v_fma_f32 v12, -v20, v14, v12
	v_fma_f32 v14, -v20, v28, v13
	v_fma_f32 v10, -v20, v24, v10
	v_fma_f32 v13, -v21, v15, v12
	v_fma_f32 v12, -v21, v29, v14
	v_fma_f32 v10, -v21, v25, v10
	s_cbranch_scc1 .LBB7_16
.LBB7_17:                               ;   in Loop: Header=BB7_13 Depth=1
	s_bitcmp0_b32 s0, 2
	s_cbranch_scc1 .LBB7_20
; %bb.18:                               ;   in Loop: Header=BB7_13 Depth=1
	v_cndmask_b32_e64 v6, 0, 1, s[4:5]
	v_readfirstlane_b32 s7, v6
	s_lshl_b32 s10, s7, 2
	s_mov_b32 s7, s1
	s_lshl_b32 s11, s6, 2
	s_lshl_b64 s[6:7], s[6:7], 2
	v_mov_b32_e32 v7, s7
	v_add_co_u32_e32 v6, vcc, s6, v8
	v_addc_co_u32_e32 v7, vcc, v9, v7, vcc
.LBB7_19:                               ;   Parent Loop BB7_13 Depth=1
                                        ; =>  This Inner Loop Header: Depth=2
	global_load_dword v18, v[6:7], off
	s_add_i32 s6, s8, s11
	v_mov_b32_e32 v16, s6
	ds_read2_b32 v[14:15], v16 offset1:8
	ds_read2_b32 v[16:17], v16 offset0:16 offset1:24
	s_add_i32 s11, s11, 4
	s_add_i32 s10, s10, -1
	v_add_co_u32_e32 v6, vcc, 4, v6
	v_addc_co_u32_e32 v7, vcc, 0, v7, vcc
	s_cmp_lg_u32 s10, 0
	s_waitcnt vmcnt(0) lgkmcnt(1)
	v_fma_f32 v11, -v18, v14, v11
	v_fma_f32 v13, -v18, v15, v13
	s_waitcnt lgkmcnt(0)
	v_fma_f32 v12, -v18, v16, v12
	v_fma_f32 v10, -v18, v17, v10
	s_cbranch_scc1 .LBB7_19
.LBB7_20:                               ;   in Loop: Header=BB7_13 Depth=1
	s_lshl_b32 s6, s0, 5
	s_branch .LBB7_22
.LBB7_21:                               ;   in Loop: Header=BB7_13 Depth=1
	s_mov_b32 s6, 0
.LBB7_22:                               ;   in Loop: Header=BB7_13 Depth=1
	s_lshl_b32 s7, s0, 2
	s_add_i32 s6, s7, s6
	v_mov_b32_e32 v15, s6
	s_lshl_b32 s6, s0, 5
	s_add_i32 s6, s7, s6
	ds_read2_b32 v[6:7], v15 offset1:9
	v_mov_b32_e32 v16, s6
	ds_read_b32 v24, v16 offset:32
	ds_read_b64 v[20:21], v16 offset:64
	ds_read2_b32 v[22:23], v15 offset0:18 offset1:27
	ds_read_b96 v[17:19], v16 offset:96
	s_add_i32 s6, s0, 4
	s_waitcnt lgkmcnt(4)
	v_mul_f32_e32 v14, v11, v6
	s_add_i32 s0, s0, 7
	s_waitcnt lgkmcnt(3)
	v_fma_f32 v6, -v14, v24, v13
	v_mul_f32_e32 v15, v6, v7
	s_waitcnt lgkmcnt(2)
	v_fma_f32 v6, -v14, v20, v12
	v_fma_f32 v6, -v15, v21, v6
	s_waitcnt lgkmcnt(1)
	v_mul_f32_e32 v16, v6, v22
	s_waitcnt lgkmcnt(0)
	v_fma_f32 v6, -v14, v17, v10
	v_fma_f32 v6, -v15, v18, v6
	;; [unrolled: 1-line block ×3, first 2 shown]
	s_add_i32 s9, s9, 1
	s_addk_i32 s8, 0x80
	s_xor_b64 s[4:5], s[4:5], -1
	v_mul_f32_e32 v17, v6, v23
	s_cmp_lt_i32 s0, s17
	global_store_dwordx4 v[4:5], v[14:17], off
	s_cbranch_scc0 .LBB7_25
; %bb.23:                               ;   in Loop: Header=BB7_13 Depth=1
	s_mov_b32 s0, s6
	s_branch .LBB7_13
.LBB7_24:
	s_mov_b32 s6, s0
.LBB7_25:
	s_cmp_ge_i32 s6, s17
	s_cbranch_scc1 .LBB7_30
; %bb.26:
	s_lshl_b32 s0, s6, 5
	s_branch .LBB7_28
.LBB7_27:                               ;   in Loop: Header=BB7_28 Depth=1
	s_mul_i32 s1, s6, 36
	v_mov_b32_e32 v4, s1
	ds_read_b32 v4, v4
	s_add_i32 s6, s6, 1
	s_add_i32 s0, s0, 32
	s_cmp_ge_i32 s6, s17
	s_waitcnt lgkmcnt(0)
	v_mul_f32_e32 v4, v6, v4
	global_store_dword v[2:3], v4, off
	s_cbranch_scc1 .LBB7_30
.LBB7_28:                               ; =>This Loop Header: Depth=1
                                        ;     Child Loop BB7_29 Depth 2
	s_ashr_i32 s7, s6, 31
	s_lshl_b64 s[4:5], s[6:7], 2
	v_mov_b32_e32 v3, s5
	v_add_co_u32_e32 v2, vcc, s4, v0
	v_addc_co_u32_e32 v3, vcc, v1, v3, vcc
	global_load_dword v6, v[2:3], off
	v_mov_b32_e32 v5, v1
	v_mov_b32_e32 v4, v0
	s_mov_b32 s1, s6
	s_cmp_eq_u32 s6, 0
	s_mov_b32 s3, s0
	s_waitcnt vmcnt(0)
	v_mul_f32_e32 v6, s16, v6
	s_cbranch_scc1 .LBB7_27
.LBB7_29:                               ;   Parent Loop BB7_28 Depth=1
                                        ; =>  This Inner Loop Header: Depth=2
	global_load_dword v7, v[4:5], off
	v_mov_b32_e32 v8, s3
	ds_read_b32 v8, v8
	s_add_i32 s3, s3, 4
	s_add_i32 s1, s1, -1
	v_add_co_u32_e32 v4, vcc, 4, v4
	v_addc_co_u32_e32 v5, vcc, 0, v5, vcc
	s_cmp_lg_u32 s1, 0
	s_waitcnt vmcnt(0) lgkmcnt(0)
	v_fma_f32 v6, -v7, v8, v6
	s_cbranch_scc1 .LBB7_29
	s_branch .LBB7_27
.LBB7_30:
	s_mov_b64 s[0:1], 0
.LBB7_31:
	s_and_b64 vcc, exec, s[0:1]
	s_cbranch_vccz .LBB7_57
; %bb.32:
	s_add_i32 s6, s17, -1
	s_cmp_gt_i32 s2, 7
	s_mov_b32 s0, -1
	s_cbranch_scc0 .LBB7_34
; %bb.33:
	global_load_dwordx4 v[2:5], v[0:1], off offset:16
	global_load_dwordx4 v[6:9], v[0:1], off
	v_mov_b32_e32 v24, 0
	ds_read_b128 v[10:13], v24 offset:240
	ds_read_b128 v[14:17], v24 offset:224
	ds_read_b96 v[18:20], v24 offset:208
	s_waitcnt vmcnt(1)
	v_mul_f32_e32 v5, s16, v5
	s_waitcnt lgkmcnt(2)
	v_mul_f32_e32 v5, v5, v13
	v_mul_f32_e32 v21, v5, v12
	v_mul_f32_e32 v25, v5, v11
	v_mul_f32_e32 v26, v5, v10
	ds_read_b128 v[10:13], v24 offset:192
	ds_read_b64 v[22:23], v24 offset:176
	s_waitcnt lgkmcnt(3)
	v_mul_f32_e32 v27, v5, v17
	v_mul_f32_e32 v28, v5, v16
	;; [unrolled: 1-line block ×4, first 2 shown]
	v_fma_f32 v4, s16, v4, -v21
	v_fma_f32 v3, s16, v3, -v25
	ds_read_b128 v[14:17], v24 offset:160
	ds_read_b32 v25, v24 offset:144
	v_fma_f32 v2, s16, v2, -v26
	s_waitcnt lgkmcnt(4)
	v_mul_f32_e32 v4, v4, v20
	s_waitcnt vmcnt(0)
	v_fma_f32 v26, s16, v9, -v27
	v_fma_f32 v27, s16, v8, -v28
	;; [unrolled: 1-line block ×4, first 2 shown]
	v_fma_f32 v3, -v4, v19, v3
	v_fma_f32 v2, -v4, v18, v2
	ds_read_b128 v[6:9], v24 offset:128
	ds_read_b128 v[18:21], v24 offset:96
	s_waitcnt lgkmcnt(4)
	v_mul_f32_e32 v3, v3, v23
	v_fma_f32 v13, -v4, v13, v26
	v_fma_f32 v2, -v3, v22, v2
	;; [unrolled: 1-line block ×3, first 2 shown]
	s_waitcnt lgkmcnt(3)
	v_fma_f32 v13, -v3, v17, v13
	s_waitcnt lgkmcnt(2)
	v_mul_f32_e32 v2, v2, v25
	v_fma_f32 v27, -v4, v11, v28
	v_fma_f32 v28, -v4, v10, v29
	ds_read_b96 v[10:12], v24 offset:64
	ds_read_b32 v29, v24
	ds_read_b64 v[23:24], v24 offset:32
	v_fma_f32 v16, -v3, v16, v26
	s_waitcnt lgkmcnt(4)
	v_fma_f32 v9, -v2, v9, v13
	v_fma_f32 v15, -v3, v15, v27
	;; [unrolled: 1-line block ×4, first 2 shown]
	global_store_dwordx4 v[0:1], v[2:5], off offset:16
	v_fma_f32 v7, -v2, v7, v15
	s_waitcnt lgkmcnt(3)
	v_mul_f32_e32 v5, v9, v21
	v_fma_f32 v6, -v2, v6, v14
	v_fma_f32 v2, -v5, v20, v8
	;; [unrolled: 1-line block ×3, first 2 shown]
	s_waitcnt lgkmcnt(2)
	v_mul_f32_e32 v4, v2, v12
	v_fma_f32 v6, -v5, v18, v6
	v_fma_f32 v2, -v4, v11, v3
	s_waitcnt lgkmcnt(0)
	v_mul_f32_e32 v3, v2, v24
	v_fma_f32 v2, -v4, v10, v6
	v_fma_f32 v2, -v3, v23, v2
	v_mul_f32_e32 v2, v2, v29
	global_store_dwordx4 v[0:1], v[2:5], off
	s_cmp_gt_i32 s0, -1
	s_cbranch_scc1 .LBB7_35
	s_branch .LBB7_57
.LBB7_34:
	s_mov_b32 s0, s6
	s_cmp_gt_i32 s0, -1
	s_cbranch_scc0 .LBB7_57
.LBB7_35:
	s_cmp_lt_u32 s0, 3
	s_cbranch_scc1 .LBB7_40
; %bb.36:
	s_mov_b32 s3, 0
	s_mov_b32 s1, s3
	s_lshl_b64 s[4:5], s[0:1], 2
	v_mov_b32_e32 v3, s5
	v_add_co_u32_e32 v2, vcc, s4, v0
	v_addc_co_u32_e32 v3, vcc, v1, v3, vcc
	global_load_dwordx4 v[4:7], v[2:3], off offset:-12
	s_cmp_le_i32 s6, s0
	s_waitcnt vmcnt(0)
	v_mul_f32_e32 v7, s16, v7
	v_mul_f32_e32 v6, s16, v6
	;; [unrolled: 1-line block ×4, first 2 shown]
	s_cbranch_scc1 .LBB7_39
; %bb.37:
	s_lshl_b32 s1, s17, 5
	s_lshl_b32 s2, s0, 2
	s_add_i32 s1, s1, s2
	s_sub_i32 s1, s1, 44
	s_mov_b32 s2, s6
.LBB7_38:                               ; =>This Inner Loop Header: Depth=1
	s_lshl_b64 s[4:5], s[2:3], 2
	v_mov_b32_e32 v9, s5
	v_add_co_u32_e32 v8, vcc, s4, v0
	v_addc_co_u32_e32 v9, vcc, v1, v9, vcc
	global_load_dword v12, v[8:9], off
	v_mov_b32_e32 v10, s1
	ds_read2_b32 v[8:9], v10 offset0:2 offset1:3
	ds_read2_b32 v[10:11], v10 offset1:1
	s_add_i32 s2, s2, -1
	s_sub_i32 s1, s1, 32
	s_cmp_gt_i32 s2, s0
	s_waitcnt vmcnt(0) lgkmcnt(1)
	v_fma_f32 v7, -v12, v9, v7
	v_fma_f32 v6, -v12, v8, v6
	s_waitcnt lgkmcnt(0)
	v_fma_f32 v5, -v12, v11, v5
	v_fma_f32 v4, -v12, v10, v4
	s_cbranch_scc1 .LBB7_38
.LBB7_39:
	s_add_i32 s2, s0, -1
	s_lshl_b32 s1, s2, 2
	s_lshl_b32 s3, s0, 5
	s_add_i32 s4, s1, s3
	s_lshl_b32 s5, s2, 5
	v_mov_b32_e32 v8, s4
	s_add_i32 s1, s1, s5
	s_add_i32 s4, s0, -3
	ds_read2_b32 v[8:9], v8 offset1:1
	v_mov_b32_e32 v10, s1
	s_lshl_b32 s1, s4, 2
	s_add_i32 s3, s1, s3
	v_mov_b32_e32 v11, s3
	s_add_i32 s3, s1, s5
	v_mov_b32_e32 v12, s3
	ds_read_b32 v14, v10
	ds_read2_b32 v[10:11], v11 offset1:1
	ds_read2_b32 v[12:13], v12 offset1:1
	s_waitcnt lgkmcnt(3)
	v_mul_f32_e32 v7, v7, v9
	s_mov_b32 s3, 0
	global_store_dword v[2:3], v7, off
	v_fma_f32 v2, -v7, v8, v6
	s_lshl_b64 s[8:9], s[2:3], 2
	s_waitcnt lgkmcnt(2)
	v_mul_f32_e32 v8, v2, v14
	v_mov_b32_e32 v3, s9
	v_add_co_u32_e32 v2, vcc, s8, v0
	s_add_i32 s2, s0, -2
	v_addc_co_u32_e32 v3, vcc, v1, v3, vcc
	s_lshl_b32 s5, s2, 5
	global_store_dword v[2:3], v8, off
	s_waitcnt lgkmcnt(1)
	v_fma_f32 v2, -v7, v11, v5
	s_add_i32 s5, s1, s5
	s_waitcnt lgkmcnt(0)
	v_fma_f32 v5, -v8, v13, v2
	v_mov_b32_e32 v2, s5
	s_lshl_b32 s5, s4, 5
	ds_read2_b32 v[2:3], v2 offset1:1
	s_add_i32 s1, s1, s5
	v_mov_b32_e32 v6, s1
	ds_read_b32 v9, v6
	s_lshl_b64 s[8:9], s[2:3], 2
	v_fma_f32 v4, -v7, v10, v4
	s_waitcnt lgkmcnt(1)
	v_mul_f32_e32 v3, v5, v3
	v_mov_b32_e32 v6, s9
	v_add_co_u32_e32 v5, vcc, s8, v0
	v_fma_f32 v4, -v8, v12, v4
	s_mov_b32 s5, s3
	v_addc_co_u32_e32 v6, vcc, v1, v6, vcc
	v_fma_f32 v2, -v3, v2, v4
	s_lshl_b64 s[2:3], s[4:5], 2
	global_store_dword v[5:6], v3, off
	s_waitcnt lgkmcnt(0)
	v_mul_f32_e32 v4, v2, v9
	v_mov_b32_e32 v3, s3
	v_add_co_u32_e32 v2, vcc, s2, v0
	v_addc_co_u32_e32 v3, vcc, v1, v3, vcc
	s_add_i32 s0, s0, -4
	global_store_dword v[2:3], v4, off
.LBB7_40:
	s_cmp_lt_i32 s0, 0
	s_cbranch_scc1 .LBB7_57
; %bb.41:
	s_and_b32 s1, s0, 3
	s_cmp_eq_u32 s1, 3
	s_mov_b32 s2, s0
	s_cbranch_scc1 .LBB7_46
; %bb.42:
	s_lshl_b32 s2, s17, 5
	s_lshl_b32 s3, s0, 2
	s_add_i32 s1, s0, 1
	s_add_i32 s2, s2, s3
	s_and_b32 s1, s1, 3
	s_sub_i32 s7, s2, 32
	s_mov_b32 s5, 0
	s_mov_b32 s2, s0
	;; [unrolled: 1-line block ×3, first 2 shown]
	s_branch .LBB7_44
.LBB7_43:                               ;   in Loop: Header=BB7_44 Depth=1
	s_mul_i32 s3, s2, 36
	v_mov_b32_e32 v5, s3
	ds_read_b32 v5, v5
	s_add_i32 s2, s2, -1
	s_add_i32 s8, s8, 1
	s_add_i32 s7, s7, -4
	s_cmp_lg_u32 s8, s1
	s_waitcnt lgkmcnt(0)
	v_mul_f32_e32 v4, v4, v5
	global_store_dword v[2:3], v4, off
	s_cbranch_scc0 .LBB7_46
.LBB7_44:                               ; =>This Loop Header: Depth=1
                                        ;     Child Loop BB7_45 Depth 2
	s_mov_b32 s3, s5
	s_lshl_b64 s[10:11], s[2:3], 2
	v_mov_b32_e32 v3, s11
	v_add_co_u32_e32 v2, vcc, s10, v0
	v_addc_co_u32_e32 v3, vcc, v1, v3, vcc
	global_load_dword v4, v[2:3], off
	s_mov_b32 s3, s7
	s_cmp_le_i32 s6, s2
	s_mov_b32 s4, s6
	s_waitcnt vmcnt(0)
	v_mul_f32_e32 v4, s16, v4
	s_cbranch_scc1 .LBB7_43
.LBB7_45:                               ;   Parent Loop BB7_44 Depth=1
                                        ; =>  This Inner Loop Header: Depth=2
	s_lshl_b64 s[10:11], s[4:5], 2
	v_mov_b32_e32 v6, s11
	v_add_co_u32_e32 v5, vcc, s10, v0
	v_addc_co_u32_e32 v6, vcc, v1, v6, vcc
	global_load_dword v5, v[5:6], off
	v_mov_b32_e32 v6, s3
	ds_read_b32 v6, v6
	s_add_i32 s4, s4, -1
	s_sub_i32 s3, s3, 32
	s_cmp_gt_i32 s4, s2
	s_waitcnt vmcnt(0) lgkmcnt(0)
	v_fma_f32 v4, -v5, v6, v4
	s_cbranch_scc1 .LBB7_45
	s_branch .LBB7_43
.LBB7_46:
	s_cmp_lt_u32 s0, 3
	s_cbranch_scc1 .LBB7_57
; %bb.47:
	s_lshl_b32 s0, s17, 5
	s_lshl_b32 s1, s2, 2
	s_add_i32 s0, s0, s1
	s_sub_i32 s7, s0, 32
	s_sub_i32 s8, s0, 36
	;; [unrolled: 1-line block ×4, first 2 shown]
	s_mov_b32 s1, 0
	s_branch .LBB7_49
.LBB7_48:                               ;   in Loop: Header=BB7_49 Depth=1
	s_sub_i32 s0, s3, 36
	v_mov_b32_e32 v5, s0
	ds_read_b32 v5, v5
	s_add_i32 s0, s2, -4
	s_add_i32 s7, s7, -16
	;; [unrolled: 1-line block ×5, first 2 shown]
	s_waitcnt lgkmcnt(0)
	v_mul_f32_e32 v4, v4, v5
	s_cmp_lt_i32 s2, 4
	s_mov_b32 s2, s0
	global_store_dword v[2:3], v4, off
	s_cbranch_scc1 .LBB7_57
.LBB7_49:                               ; =>This Loop Header: Depth=1
                                        ;     Child Loop BB7_50 Depth 2
                                        ;     Child Loop BB7_52 Depth 2
	;; [unrolled: 1-line block ×4, first 2 shown]
	s_mov_b32 s3, s1
	s_lshl_b64 s[4:5], s[2:3], 2
	v_mov_b32_e32 v2, s5
	v_add_co_u32_e32 v4, vcc, s4, v0
	v_addc_co_u32_e32 v5, vcc, v1, v2, vcc
	global_load_dword v2, v[4:5], off
	s_mov_b32 s3, s7
	s_cmp_le_i32 s6, s2
	s_mov_b32 s0, s6
	s_waitcnt vmcnt(0)
	v_mul_f32_e32 v6, s16, v2
	s_cbranch_scc1 .LBB7_51
.LBB7_50:                               ;   Parent Loop BB7_49 Depth=1
                                        ; =>  This Inner Loop Header: Depth=2
	s_lshl_b64 s[4:5], s[0:1], 2
	v_mov_b32_e32 v3, s5
	v_add_co_u32_e32 v2, vcc, s4, v0
	v_addc_co_u32_e32 v3, vcc, v1, v3, vcc
	global_load_dword v2, v[2:3], off
	v_mov_b32_e32 v3, s3
	ds_read_b32 v3, v3
	s_add_i32 s0, s0, -1
	s_sub_i32 s3, s3, 32
	s_cmp_gt_i32 s0, s2
	s_waitcnt vmcnt(0) lgkmcnt(0)
	v_fma_f32 v6, -v2, v3, v6
	s_cbranch_scc1 .LBB7_50
.LBB7_51:                               ;   in Loop: Header=BB7_49 Depth=1
	s_add_i32 s0, s2, -1
	s_lshl_b64 s[4:5], s[0:1], 2
	v_mov_b32_e32 v3, s5
	v_add_co_u32_e32 v2, vcc, s4, v0
	v_addc_co_u32_e32 v3, vcc, v1, v3, vcc
	global_load_dword v7, v[2:3], off
	s_mul_i32 s3, s2, 36
	v_mov_b32_e32 v8, s3
	ds_read_b32 v8, v8
	s_mov_b32 s4, s8
	s_cmp_le_i32 s17, s2
	s_mov_b32 s0, s17
	s_waitcnt lgkmcnt(0)
	v_mul_f32_e32 v6, v6, v8
	global_store_dword v[4:5], v6, off
	s_waitcnt vmcnt(1)
	v_mul_f32_e32 v6, s16, v7
	s_cbranch_scc1 .LBB7_53
.LBB7_52:                               ;   Parent Loop BB7_49 Depth=1
                                        ; =>  This Inner Loop Header: Depth=2
	s_add_i32 s0, s0, -1
	s_lshl_b64 s[12:13], s[0:1], 2
	v_mov_b32_e32 v5, s13
	v_add_co_u32_e32 v4, vcc, s12, v0
	v_addc_co_u32_e32 v5, vcc, v1, v5, vcc
	global_load_dword v4, v[4:5], off
	v_mov_b32_e32 v5, s4
	ds_read_b32 v5, v5
	s_sub_i32 s4, s4, 32
	s_cmp_gt_i32 s0, s2
	s_waitcnt vmcnt(0) lgkmcnt(0)
	v_fma_f32 v6, -v4, v5, v6
	s_cbranch_scc1 .LBB7_52
.LBB7_53:                               ;   in Loop: Header=BB7_49 Depth=1
	s_add_i32 s4, s2, -2
	s_mov_b32 s5, s1
	s_lshl_b64 s[12:13], s[4:5], 2
	v_mov_b32_e32 v5, s13
	v_add_co_u32_e32 v4, vcc, s12, v0
	v_addc_co_u32_e32 v5, vcc, v1, v5, vcc
	global_load_dword v7, v[4:5], off
	s_sub_i32 s3, s3, 36
	v_mov_b32_e32 v8, s3
	ds_read_b32 v8, v8
	s_mov_b32 s5, s9
	s_cmp_le_i32 s6, s4
	s_mov_b32 s0, s6
	s_waitcnt lgkmcnt(0)
	v_mul_f32_e32 v6, v6, v8
	global_store_dword v[2:3], v6, off
	s_waitcnt vmcnt(1)
	v_mul_f32_e32 v6, s16, v7
	s_cbranch_scc1 .LBB7_55
.LBB7_54:                               ;   Parent Loop BB7_49 Depth=1
                                        ; =>  This Inner Loop Header: Depth=2
	s_lshl_b64 s[12:13], s[0:1], 2
	v_mov_b32_e32 v3, s13
	v_add_co_u32_e32 v2, vcc, s12, v0
	v_addc_co_u32_e32 v3, vcc, v1, v3, vcc
	global_load_dword v2, v[2:3], off
	v_mov_b32_e32 v3, s5
	ds_read_b32 v3, v3
	s_add_i32 s0, s0, -1
	s_sub_i32 s5, s5, 32
	s_cmp_gt_i32 s0, s4
	s_waitcnt vmcnt(0) lgkmcnt(0)
	v_fma_f32 v6, -v2, v3, v6
	s_cbranch_scc1 .LBB7_54
.LBB7_55:                               ;   in Loop: Header=BB7_49 Depth=1
	s_add_i32 s4, s2, -3
	s_mov_b32 s5, s1
	s_lshl_b64 s[12:13], s[4:5], 2
	v_mov_b32_e32 v3, s13
	v_add_co_u32_e32 v2, vcc, s12, v0
	v_addc_co_u32_e32 v3, vcc, v1, v3, vcc
	global_load_dword v7, v[2:3], off
	s_sub_i32 s3, s3, 36
	v_mov_b32_e32 v8, s3
	ds_read_b32 v8, v8
	s_mov_b32 s5, s10
	s_cmp_le_i32 s6, s4
	s_mov_b32 s0, s6
	s_waitcnt lgkmcnt(0)
	v_mul_f32_e32 v6, v6, v8
	global_store_dword v[4:5], v6, off
	s_waitcnt vmcnt(1)
	v_mul_f32_e32 v4, s16, v7
	s_cbranch_scc1 .LBB7_48
.LBB7_56:                               ;   Parent Loop BB7_49 Depth=1
                                        ; =>  This Inner Loop Header: Depth=2
	s_lshl_b64 s[12:13], s[0:1], 2
	v_mov_b32_e32 v6, s13
	v_add_co_u32_e32 v5, vcc, s12, v0
	v_addc_co_u32_e32 v6, vcc, v1, v6, vcc
	global_load_dword v5, v[5:6], off
	v_mov_b32_e32 v6, s5
	ds_read_b32 v6, v6
	s_add_i32 s0, s0, -1
	s_sub_i32 s5, s5, 32
	s_cmp_gt_i32 s0, s4
	s_waitcnt vmcnt(0) lgkmcnt(0)
	v_fma_f32 v4, -v5, v6, v4
	s_cbranch_scc1 .LBB7_56
	s_branch .LBB7_48
.LBB7_57:
	s_endpgm
	.section	.rodata,"a",@progbits
	.p2align	6, 0x0
	.amdhsa_kernel _ZL30rocblas_trsm_small_left_deviceILi8ELi8ELb0EffPKfPfEv13rocblas_fill_18rocblas_operation_17rocblas_diagonal_iiT3_T4_lilT5_lili
		.amdhsa_group_segment_fixed_size 256
		.amdhsa_private_segment_fixed_size 0
		.amdhsa_kernarg_size 352
		.amdhsa_user_sgpr_count 6
		.amdhsa_user_sgpr_private_segment_buffer 1
		.amdhsa_user_sgpr_dispatch_ptr 0
		.amdhsa_user_sgpr_queue_ptr 0
		.amdhsa_user_sgpr_kernarg_segment_ptr 1
		.amdhsa_user_sgpr_dispatch_id 0
		.amdhsa_user_sgpr_flat_scratch_init 0
		.amdhsa_user_sgpr_private_segment_size 0
		.amdhsa_uses_dynamic_stack 0
		.amdhsa_system_sgpr_private_segment_wavefront_offset 0
		.amdhsa_system_sgpr_workgroup_id_x 1
		.amdhsa_system_sgpr_workgroup_id_y 0
		.amdhsa_system_sgpr_workgroup_id_z 1
		.amdhsa_system_sgpr_workgroup_info 0
		.amdhsa_system_vgpr_workitem_id 0
		.amdhsa_next_free_vgpr 35
		.amdhsa_next_free_sgpr 24
		.amdhsa_reserve_vcc 1
		.amdhsa_reserve_flat_scratch 0
		.amdhsa_float_round_mode_32 0
		.amdhsa_float_round_mode_16_64 0
		.amdhsa_float_denorm_mode_32 3
		.amdhsa_float_denorm_mode_16_64 3
		.amdhsa_dx10_clamp 1
		.amdhsa_ieee_mode 1
		.amdhsa_fp16_overflow 0
		.amdhsa_exception_fp_ieee_invalid_op 0
		.amdhsa_exception_fp_denorm_src 0
		.amdhsa_exception_fp_ieee_div_zero 0
		.amdhsa_exception_fp_ieee_overflow 0
		.amdhsa_exception_fp_ieee_underflow 0
		.amdhsa_exception_fp_ieee_inexact 0
		.amdhsa_exception_int_div_zero 0
	.end_amdhsa_kernel
	.section	.text._ZL30rocblas_trsm_small_left_deviceILi8ELi8ELb0EffPKfPfEv13rocblas_fill_18rocblas_operation_17rocblas_diagonal_iiT3_T4_lilT5_lili,"axG",@progbits,_ZL30rocblas_trsm_small_left_deviceILi8ELi8ELb0EffPKfPfEv13rocblas_fill_18rocblas_operation_17rocblas_diagonal_iiT3_T4_lilT5_lili,comdat
.Lfunc_end7:
	.size	_ZL30rocblas_trsm_small_left_deviceILi8ELi8ELb0EffPKfPfEv13rocblas_fill_18rocblas_operation_17rocblas_diagonal_iiT3_T4_lilT5_lili, .Lfunc_end7-_ZL30rocblas_trsm_small_left_deviceILi8ELi8ELb0EffPKfPfEv13rocblas_fill_18rocblas_operation_17rocblas_diagonal_iiT3_T4_lilT5_lili
                                        ; -- End function
	.set _ZL30rocblas_trsm_small_left_deviceILi8ELi8ELb0EffPKfPfEv13rocblas_fill_18rocblas_operation_17rocblas_diagonal_iiT3_T4_lilT5_lili.num_vgpr, 35
	.set _ZL30rocblas_trsm_small_left_deviceILi8ELi8ELb0EffPKfPfEv13rocblas_fill_18rocblas_operation_17rocblas_diagonal_iiT3_T4_lilT5_lili.num_agpr, 0
	.set _ZL30rocblas_trsm_small_left_deviceILi8ELi8ELb0EffPKfPfEv13rocblas_fill_18rocblas_operation_17rocblas_diagonal_iiT3_T4_lilT5_lili.numbered_sgpr, 24
	.set _ZL30rocblas_trsm_small_left_deviceILi8ELi8ELb0EffPKfPfEv13rocblas_fill_18rocblas_operation_17rocblas_diagonal_iiT3_T4_lilT5_lili.num_named_barrier, 0
	.set _ZL30rocblas_trsm_small_left_deviceILi8ELi8ELb0EffPKfPfEv13rocblas_fill_18rocblas_operation_17rocblas_diagonal_iiT3_T4_lilT5_lili.private_seg_size, 0
	.set _ZL30rocblas_trsm_small_left_deviceILi8ELi8ELb0EffPKfPfEv13rocblas_fill_18rocblas_operation_17rocblas_diagonal_iiT3_T4_lilT5_lili.uses_vcc, 1
	.set _ZL30rocblas_trsm_small_left_deviceILi8ELi8ELb0EffPKfPfEv13rocblas_fill_18rocblas_operation_17rocblas_diagonal_iiT3_T4_lilT5_lili.uses_flat_scratch, 0
	.set _ZL30rocblas_trsm_small_left_deviceILi8ELi8ELb0EffPKfPfEv13rocblas_fill_18rocblas_operation_17rocblas_diagonal_iiT3_T4_lilT5_lili.has_dyn_sized_stack, 0
	.set _ZL30rocblas_trsm_small_left_deviceILi8ELi8ELb0EffPKfPfEv13rocblas_fill_18rocblas_operation_17rocblas_diagonal_iiT3_T4_lilT5_lili.has_recursion, 0
	.set _ZL30rocblas_trsm_small_left_deviceILi8ELi8ELb0EffPKfPfEv13rocblas_fill_18rocblas_operation_17rocblas_diagonal_iiT3_T4_lilT5_lili.has_indirect_call, 0
	.section	.AMDGPU.csdata,"",@progbits
; Kernel info:
; codeLenInByte = 3992
; TotalNumSgprs: 28
; NumVgprs: 35
; ScratchSize: 0
; MemoryBound: 0
; FloatMode: 240
; IeeeMode: 1
; LDSByteSize: 256 bytes/workgroup (compile time only)
; SGPRBlocks: 3
; VGPRBlocks: 8
; NumSGPRsForWavesPerEU: 28
; NumVGPRsForWavesPerEU: 35
; Occupancy: 7
; WaveLimiterHint : 0
; COMPUTE_PGM_RSRC2:SCRATCH_EN: 0
; COMPUTE_PGM_RSRC2:USER_SGPR: 6
; COMPUTE_PGM_RSRC2:TRAP_HANDLER: 0
; COMPUTE_PGM_RSRC2:TGID_X_EN: 1
; COMPUTE_PGM_RSRC2:TGID_Y_EN: 0
; COMPUTE_PGM_RSRC2:TGID_Z_EN: 1
; COMPUTE_PGM_RSRC2:TIDIG_COMP_CNT: 0
	.section	.text._ZL38rocblas_trsm_small_left_device_sharedBILi8ELi8ELb1EffPKfPfEv13rocblas_fill_18rocblas_operation_17rocblas_diagonal_iiT3_T4_lilT5_lili,"axG",@progbits,_ZL38rocblas_trsm_small_left_device_sharedBILi8ELi8ELb1EffPKfPfEv13rocblas_fill_18rocblas_operation_17rocblas_diagonal_iiT3_T4_lilT5_lili,comdat
	.globl	_ZL38rocblas_trsm_small_left_device_sharedBILi8ELi8ELb1EffPKfPfEv13rocblas_fill_18rocblas_operation_17rocblas_diagonal_iiT3_T4_lilT5_lili ; -- Begin function _ZL38rocblas_trsm_small_left_device_sharedBILi8ELi8ELb1EffPKfPfEv13rocblas_fill_18rocblas_operation_17rocblas_diagonal_iiT3_T4_lilT5_lili
	.p2align	8
	.type	_ZL38rocblas_trsm_small_left_device_sharedBILi8ELi8ELb1EffPKfPfEv13rocblas_fill_18rocblas_operation_17rocblas_diagonal_iiT3_T4_lilT5_lili,@function
_ZL38rocblas_trsm_small_left_device_sharedBILi8ELi8ELb1EffPKfPfEv13rocblas_fill_18rocblas_operation_17rocblas_diagonal_iiT3_T4_lilT5_lili: ; @_ZL38rocblas_trsm_small_left_device_sharedBILi8ELi8ELb1EffPKfPfEv13rocblas_fill_18rocblas_operation_17rocblas_diagonal_iiT3_T4_lilT5_lili
; %bb.0:
	s_load_dwordx4 s[8:11], s[4:5], 0x4
	s_load_dword s17, s[4:5], 0x14
	s_load_dwordx4 s[0:3], s[4:5], 0x30
	s_load_dwordx2 s[12:13], s[4:5], 0x40
	s_waitcnt lgkmcnt(0)
	s_min_i32 s16, s10, 8
	v_cmp_gt_i32_e32 vcc, s16, v0
	s_and_saveexec_b64 s[14:15], vcc
	s_cbranch_execz .LBB8_6
; %bb.1:
	s_load_dword s18, s[4:5], 0x28
	s_load_dwordx4 s[20:23], s[4:5], 0x18
	s_mul_i32 s1, s1, s7
	s_mul_hi_u32 s19, s0, s7
	s_add_i32 s1, s19, s1
	s_mul_i32 s0, s0, s7
	s_waitcnt lgkmcnt(0)
	s_ashr_i32 s19, s18, 31
	s_lshl_b64 s[0:1], s[0:1], 2
	s_add_u32 s20, s20, s0
	s_addc_u32 s21, s21, s1
	s_lshl_b64 s[0:1], s[22:23], 2
	s_add_u32 s0, s20, s0
	s_addc_u32 s1, s21, s1
	v_lshlrev_b32_e32 v3, 2, v0
	v_mov_b32_e32 v2, s1
	v_add_co_u32_e32 v1, vcc, s0, v3
	s_lshl_b64 s[0:1], s[18:19], 2
	v_addc_co_u32_e32 v2, vcc, 0, v2, vcc
	v_mov_b32_e32 v4, s1
	v_mov_b32_e32 v5, v3
	s_mov_b32 s1, s16
.LBB8_2:                                ; =>This Inner Loop Header: Depth=1
	global_load_dword v6, v[1:2], off
	v_add_co_u32_e32 v1, vcc, s0, v1
	s_add_i32 s1, s1, -1
	v_addc_co_u32_e32 v2, vcc, v2, v4, vcc
	s_cmp_eq_u32 s1, 0
	s_waitcnt vmcnt(0)
	ds_write_b32 v5, v6
	v_add_u32_e32 v5, 32, v5
	s_cbranch_scc0 .LBB8_2
; %bb.3:
	v_lshlrev_b32_e32 v1, 5, v0
	s_cmpk_lg_i32 s9, 0x84
	v_mov_b32_e32 v2, 1.0
	v_add_u32_e32 v1, v3, v1
	s_cbranch_scc0 .LBB8_5
; %bb.4:
	ds_read_b32 v2, v1
	s_waitcnt lgkmcnt(0)
	v_div_scale_f32 v3, s[0:1], v2, v2, 1.0
	v_div_scale_f32 v4, vcc, 1.0, v2, 1.0
	v_rcp_f32_e32 v5, v3
	v_fma_f32 v6, -v3, v5, 1.0
	v_fmac_f32_e32 v5, v6, v5
	v_mul_f32_e32 v6, v4, v5
	v_fma_f32 v7, -v3, v6, v4
	v_fmac_f32_e32 v6, v7, v5
	v_fma_f32 v3, -v3, v6, v4
	v_div_fmas_f32 v3, v3, v5, v6
	v_div_fixup_f32 v2, v3, v2, 1.0
.LBB8_5:
	ds_write_b32 v1, v2
.LBB8_6:
	s_or_b64 exec, exec, s[14:15]
	s_load_dword s0, s[4:5], 0x60
	s_load_dwordx2 s[14:15], s[4:5], 0x50
	s_load_dword s9, s[4:5], 0x48
	s_waitcnt lgkmcnt(0)
	s_mul_i32 s1, s15, s7
	s_mul_hi_u32 s5, s14, s7
	s_mul_i32 s4, s14, s7
	s_add_i32 s5, s5, s1
	s_lshl_b64 s[4:5], s[4:5], 2
	s_add_u32 s1, s2, s4
	s_addc_u32 s4, s3, s5
	s_lshl_b64 s[2:3], s[12:13], 2
	s_add_u32 s2, s1, s2
	s_addc_u32 s3, s4, s3
	s_lshl_b32 s4, s6, 3
	s_add_i32 s0, s0, -1
	s_sub_i32 s1, s11, s4
	s_cmp_ge_u32 s6, s0
	s_cselect_b32 s5, s1, 8
	s_mul_hi_i32 s1, s9, s4
	s_mul_i32 s0, s9, s4
	s_lshl_b64 s[0:1], s[0:1], 2
	s_add_u32 s6, s2, s0
	s_addc_u32 s7, s3, s1
	s_cmp_gt_i32 s10, 0
	v_cmp_gt_i32_e64 s[0:1], s5, v0
	s_cselect_b64 s[2:3], -1, 0
	s_and_b64 s[12:13], s[0:1], s[2:3]
	s_and_saveexec_b64 s[4:5], s[12:13]
	s_cbranch_execz .LBB8_9
; %bb.7:
	v_mad_i64_i32 v[1:2], s[12:13], s9, v0, 0
	v_mov_b32_e32 v3, s7
	s_mov_b32 s11, s16
	v_lshlrev_b64 v[1:2], 2, v[1:2]
	v_add_co_u32_e32 v1, vcc, s6, v1
	v_addc_co_u32_e32 v2, vcc, v3, v2, vcc
	v_mov_b32_e32 v3, 0x100
	v_lshl_or_b32 v3, v0, 2, v3
.LBB8_8:                                ; =>This Inner Loop Header: Depth=1
	global_load_dword v4, v[1:2], off
	s_add_i32 s11, s11, -1
	v_add_co_u32_e32 v1, vcc, 4, v1
	v_addc_co_u32_e32 v2, vcc, 0, v2, vcc
	s_cmp_lg_u32 s11, 0
	s_waitcnt vmcnt(0)
	v_mul_f32_e32 v4, s17, v4
	ds_write_b32 v3, v4
	v_add_u32_e32 v3, 32, v3
	s_cbranch_scc1 .LBB8_8
.LBB8_9:
	s_or_b64 exec, exec, s[4:5]
	v_mov_b32_e32 v1, 0x100
	s_cmpk_eq_i32 s8, 0x6f
	v_lshl_or_b32 v5, v0, 2, v1
	s_mov_b64 s[4:5], -1
	s_waitcnt lgkmcnt(0)
	; wave barrier
	s_cbranch_scc1 .LBB8_36
; %bb.10:
	s_add_i32 s4, s16, -1
	s_cmp_gt_i32 s10, 7
	s_mov_b32 s5, -1
	s_cbranch_scc0 .LBB8_12
; %bb.11:
	ds_read2_b32 v[1:2], v5 offset0:48 offset1:56
	v_mov_b32_e32 v18, 0
	ds_read_b32 v3, v18 offset:252
	ds_read_b64 v[6:7], v18 offset:216
	ds_read2_b32 v[8:9], v5 offset0:32 offset1:40
	ds_read2_b32 v[10:11], v5 offset0:16 offset1:24
	s_waitcnt lgkmcnt(3)
	v_mul_f32_e32 v19, v2, v3
	s_waitcnt lgkmcnt(2)
	v_fma_f32 v7, -v19, v7, v1
	ds_read2_b32 v[12:13], v18 offset0:31 offset1:47
	ds_read_b128 v[1:4], v18 offset:144
	ds_read2_b32 v[14:15], v18 offset0:45 offset1:46
	ds_read2_b32 v[16:17], v5 offset1:8
	v_mul_f32_e32 v20, v7, v6
	s_waitcnt lgkmcnt(3)
	v_fma_f32 v6, -v19, v13, v9
	s_waitcnt lgkmcnt(2)
	v_fma_f32 v4, -v19, v4, v8
	;; [unrolled: 2-line block ×3, first 2 shown]
	v_mul_f32_e32 v13, v6, v14
	v_fma_f32 v6, -v20, v3, v4
	ds_read2_b32 v[3:4], v18 offset0:29 offset1:30
	v_fma_f32 v2, -v13, v2, v6
	ds_read2_b32 v[6:7], v18 offset0:27 offset1:28
	v_mul_f32_e32 v14, v2, v1
	v_fma_f32 v1, -v19, v12, v11
	ds_read_b64 v[8:9], v18 offset:88
	s_waitcnt lgkmcnt(2)
	v_fma_f32 v1, -v20, v4, v1
	v_fma_f32 v11, -v13, v3, v1
	ds_read2_b64 v[1:4], v18 offset0:9 offset1:10
	s_waitcnt lgkmcnt(2)
	v_fma_f32 v7, -v14, v7, v11
	v_mul_f32_e32 v12, v7, v6
	s_waitcnt lgkmcnt(1)
	v_fma_f32 v6, -v19, v9, v10
	v_fma_f32 v6, -v20, v8, v6
	ds_write2_b32 v5, v20, v19 offset0:48 offset1:56
	s_waitcnt lgkmcnt(1)
	v_fma_f32 v4, -v13, v4, v6
	v_fma_f32 v6, -v14, v3, v4
	ds_read_b32 v7, v18 offset:60
	ds_read2_b32 v[3:4], v18 offset0:13 offset1:14
	v_fma_f32 v2, -v12, v2, v6
	v_mul_f32_e32 v15, v2, v1
	ds_read2_b32 v[1:2], v18 offset0:11 offset1:12
	ds_read2_b32 v[10:11], v18 offset0:9 offset1:10
	s_waitcnt lgkmcnt(3)
	v_fma_f32 v6, -v19, v7, v17
	s_waitcnt lgkmcnt(2)
	v_fma_f32 v4, -v20, v4, v6
	v_fma_f32 v3, -v13, v3, v4
	s_waitcnt lgkmcnt(1)
	v_fma_f32 v2, -v14, v2, v3
	v_fma_f32 v17, -v12, v1, v2
	ds_read_b128 v[1:4], v18
	ds_read_b128 v[6:9], v18 offset:16
	s_waitcnt lgkmcnt(2)
	v_fma_f32 v11, -v15, v11, v17
	v_mul_f32_e32 v10, v11, v10
	ds_write2_b32 v5, v14, v13 offset0:32 offset1:40
	ds_write2_b32 v5, v15, v12 offset0:16 offset1:24
	s_waitcnt lgkmcnt(2)
	v_fma_f32 v9, -v19, v9, v16
	v_fma_f32 v8, -v20, v8, v9
	v_fma_f32 v7, -v13, v7, v8
	v_fma_f32 v6, -v14, v6, v7
	v_fma_f32 v4, -v12, v4, v6
	v_fma_f32 v3, -v15, v3, v4
	v_fma_f32 v2, -v10, v2, v3
	v_mul_f32_e32 v1, v2, v1
	ds_write2_b32 v5, v1, v10 offset1:8
	s_cmp_gt_i32 s5, -1
	s_cbranch_scc1 .LBB8_13
	s_branch .LBB8_35
.LBB8_12:
	s_mov_b32 s5, s4
	s_cmp_gt_i32 s5, -1
	s_cbranch_scc0 .LBB8_35
.LBB8_13:
	s_cmp_lt_u32 s5, 3
	s_cbranch_scc1 .LBB8_18
; %bb.14:
	s_lshl_b32 s8, s5, 5
	v_add_u32_e32 v2, s8, v5
	v_subrev_u32_e32 v1, 32, v2
	v_subrev_u32_e32 v3, 64, v2
	v_add_u32_e32 v7, 0xffffffa0, v2
	ds_read_b32 v6, v2
	ds_read_b32 v4, v1
	;; [unrolled: 1-line block ×4, first 2 shown]
	s_cmp_le_i32 s4, s5
	s_cbranch_scc1 .LBB8_17
; %bb.15:
	v_lshlrev_b32_e32 v7, 2, v0
	s_lshl_b32 s11, s16, 2
	v_lshl_or_b32 v7, s16, 5, v7
	s_add_i32 s8, s8, s11
	v_add_u32_e32 v7, 0xe0, v7
	s_addk_i32 s8, 0xff9c
	s_mov_b32 s11, s4
.LBB8_16:                               ; =>This Inner Loop Header: Depth=1
	v_mov_b32_e32 v10, s8
	ds_read_b32 v12, v7
	ds_read2_b32 v[8:9], v10 offset0:16 offset1:24
	ds_read2_b32 v[10:11], v10 offset1:8
	s_add_i32 s11, s11, -1
	s_add_i32 s8, s8, -4
	v_subrev_u32_e32 v7, 32, v7
	s_cmp_gt_i32 s11, s5
	s_waitcnt lgkmcnt(1)
	v_fma_f32 v6, -v12, v9, v6
	v_fma_f32 v4, -v12, v8, v4
	s_waitcnt lgkmcnt(0)
	v_fma_f32 v3, -v12, v11, v3
	v_fma_f32 v1, -v12, v10, v1
	s_cbranch_scc1 .LBB8_16
.LBB8_17:
	s_mul_i32 s8, s5, 36
	v_mov_b32_e32 v7, s8
	s_add_i32 s8, s5, -1
	s_lshl_b32 s11, s8, 5
	s_lshl_b32 s8, s8, 2
	s_add_i32 s8, s11, s8
	ds_read_b32 v11, v7
	v_mov_b32_e32 v7, s8
	s_add_i32 s8, s5, -2
	s_lshl_b32 s12, s8, 5
	s_lshl_b32 s13, s5, 2
	;; [unrolled: 1-line block ×3, first 2 shown]
	s_add_i32 s14, s12, s13
	s_add_i32 s8, s12, s8
	v_mov_b32_e32 v9, s14
	v_mov_b32_e32 v10, s8
	ds_read2_b32 v[7:8], v7 offset1:1
	ds_read_b32 v12, v9
	ds_read2_b32 v[9:10], v10 offset1:1
	s_waitcnt lgkmcnt(3)
	v_mul_f32_e32 v11, v6, v11
	ds_write_b32 v2, v11
	s_waitcnt lgkmcnt(3)
	v_fma_f32 v2, -v11, v8, v4
	s_add_i32 s8, s5, -3
	v_mul_f32_e32 v4, v2, v7
	v_add_u32_e32 v2, s11, v5
	s_lshl_b32 s11, s8, 5
	ds_write_b32 v2, v4
	s_waitcnt lgkmcnt(3)
	v_fma_f32 v2, -v11, v12, v3
	s_add_i32 s13, s11, s13
	s_waitcnt lgkmcnt(2)
	v_fma_f32 v2, -v4, v10, v2
	s_add_i32 s13, s13, -4
	v_mul_f32_e32 v8, v2, v9
	v_mov_b32_e32 v2, s13
	s_lshl_b32 s8, s8, 2
	ds_read2_b32 v[2:3], v2 offset1:1
	s_add_i32 s8, s11, s8
	v_mov_b32_e32 v6, s8
	ds_read2_b32 v[6:7], v6 offset1:1
	v_add_u32_e32 v9, s12, v5
	s_waitcnt lgkmcnt(1)
	v_fma_f32 v1, -v11, v3, v1
	v_fma_f32 v1, -v4, v2, v1
	v_add_u32_e32 v2, s11, v5
	s_waitcnt lgkmcnt(0)
	v_fma_f32 v1, -v8, v7, v1
	v_mul_f32_e32 v1, v1, v6
	s_add_i32 s5, s5, -4
	ds_write_b32 v9, v8
	ds_write_b32 v2, v1
.LBB8_18:
	s_cmp_lt_i32 s5, 0
	s_cbranch_scc1 .LBB8_35
; %bb.19:
	s_and_b32 s8, s5, 3
	s_cmp_eq_u32 s8, 3
	v_lshlrev_b32_e32 v1, 2, v0
	s_mov_b32 s8, s5
	s_cbranch_scc1 .LBB8_24
; %bb.20:
	s_add_i32 s8, s5, 1
	s_and_b32 s11, s8, 3
	s_lshl_b32 s8, s5, 5
	s_lshl_b32 s12, s16, 2
	s_add_i32 s8, s8, s12
	v_lshl_or_b32 v2, s16, 5, v1
	s_add_i32 s12, s8, -4
	v_add_u32_e32 v2, 0xe0, v2
	s_mov_b32 s13, 0
	s_mov_b32 s8, s5
	s_branch .LBB8_22
.LBB8_21:                               ;   in Loop: Header=BB8_22 Depth=1
	s_mul_i32 s14, s8, 36
	v_mov_b32_e32 v6, s14
	ds_read_b32 v6, v6
	s_add_i32 s8, s8, -1
	s_add_i32 s13, s13, 1
	s_sub_i32 s12, s12, 32
	s_cmp_lg_u32 s13, s11
	s_waitcnt lgkmcnt(0)
	v_mul_f32_e32 v4, v4, v6
	ds_write_b32 v3, v4
	s_cbranch_scc0 .LBB8_24
.LBB8_22:                               ; =>This Loop Header: Depth=1
                                        ;     Child Loop BB8_23 Depth 2
	s_lshl_b32 s14, s8, 5
	v_add_u32_e32 v3, s14, v5
	ds_read_b32 v4, v3
	s_cmp_le_i32 s4, s8
	v_mov_b32_e32 v6, v2
	s_mov_b32 s14, s12
	s_mov_b32 s15, s4
	s_cbranch_scc1 .LBB8_21
.LBB8_23:                               ;   Parent Loop BB8_22 Depth=1
                                        ; =>  This Inner Loop Header: Depth=2
	v_mov_b32_e32 v8, s14
	ds_read_b32 v7, v6
	ds_read_b32 v8, v8
	s_add_i32 s15, s15, -1
	s_add_i32 s14, s14, -4
	v_subrev_u32_e32 v6, 32, v6
	s_cmp_gt_i32 s15, s8
	s_waitcnt lgkmcnt(0)
	v_fma_f32 v4, -v7, v8, v4
	s_cbranch_scc1 .LBB8_23
	s_branch .LBB8_21
.LBB8_24:
	s_cmp_lt_u32 s5, 3
	s_cbranch_scc1 .LBB8_35
; %bb.25:
	s_lshl_b32 s5, s8, 5
	s_lshl_b32 s11, s16, 2
	s_add_i32 s13, s5, s11
	v_lshl_or_b32 v1, s16, 5, v1
	s_add_i32 s5, s13, -4
	v_add_u32_e32 v1, 0xe0, v1
	s_sub_i32 s11, s13, 36
	s_add_i32 s12, s13, 0xffffffbc
	s_addk_i32 s13, 0xff9c
	s_branch .LBB8_27
.LBB8_26:                               ;   in Loop: Header=BB8_27 Depth=1
	s_sub_i32 s14, s14, 36
	v_mov_b32_e32 v3, s14
	ds_read_b32 v3, v3
	s_add_i32 s14, s8, -4
	s_addk_i32 s5, 0xff80
	s_addk_i32 s11, 0xff80
	s_addk_i32 s12, 0xff80
	s_addk_i32 s13, 0xff80
	s_waitcnt lgkmcnt(0)
	v_mul_f32_e32 v3, v6, v3
	s_cmp_lt_i32 s8, 4
	s_mov_b32 s8, s14
	ds_write_b32 v2, v3
	s_cbranch_scc1 .LBB8_35
.LBB8_27:                               ; =>This Loop Header: Depth=1
                                        ;     Child Loop BB8_28 Depth 2
                                        ;     Child Loop BB8_30 Depth 2
	;; [unrolled: 1-line block ×4, first 2 shown]
	s_lshl_b32 s15, s8, 5
	v_add_u32_e32 v3, s15, v5
	ds_read_b32 v4, v3
	s_cmp_le_i32 s4, s8
	v_mov_b32_e32 v2, v1
	s_mov_b32 s14, s5
	s_mov_b32 s17, s4
	s_cbranch_scc1 .LBB8_29
.LBB8_28:                               ;   Parent Loop BB8_27 Depth=1
                                        ; =>  This Inner Loop Header: Depth=2
	v_mov_b32_e32 v7, s14
	ds_read_b32 v6, v2
	ds_read_b32 v7, v7
	s_add_i32 s17, s17, -1
	s_add_i32 s14, s14, -4
	v_subrev_u32_e32 v2, 32, v2
	s_cmp_gt_i32 s17, s8
	s_waitcnt lgkmcnt(0)
	v_fma_f32 v4, -v6, v7, v4
	s_cbranch_scc1 .LBB8_28
.LBB8_29:                               ;   in Loop: Header=BB8_27 Depth=1
	s_mul_i32 s14, s8, 36
	v_mov_b32_e32 v2, s14
	ds_read_b32 v7, v2
	s_sub_i32 s15, s15, 32
	v_add_u32_e32 v2, s15, v5
	ds_read_b32 v6, v2
	s_cmp_le_i32 s16, s8
	s_waitcnt lgkmcnt(1)
	v_mul_f32_e32 v4, v4, v7
	ds_write_b32 v3, v4
	v_mov_b32_e32 v3, v1
	s_mov_b32 s15, s11
	s_mov_b32 s17, s16
	s_cbranch_scc1 .LBB8_31
.LBB8_30:                               ;   Parent Loop BB8_27 Depth=1
                                        ; =>  This Inner Loop Header: Depth=2
	v_mov_b32_e32 v7, s15
	ds_read_b32 v4, v3
	ds_read_b32 v7, v7
	s_add_i32 s17, s17, -1
	s_add_i32 s15, s15, -4
	v_subrev_u32_e32 v3, 32, v3
	s_cmp_gt_i32 s17, s8
	s_waitcnt lgkmcnt(0)
	v_fma_f32 v6, -v4, v7, v6
	s_cbranch_scc1 .LBB8_30
.LBB8_31:                               ;   in Loop: Header=BB8_27 Depth=1
	s_sub_i32 s14, s14, 36
	v_mov_b32_e32 v3, s14
	s_add_i32 s15, s8, -2
	ds_read_b32 v7, v3
	s_lshl_b32 s17, s15, 5
	v_add_u32_e32 v3, s17, v5
	ds_read_b32 v4, v3
	s_cmp_le_i32 s4, s15
	s_waitcnt lgkmcnt(1)
	v_mul_f32_e32 v6, v6, v7
	ds_write_b32 v2, v6
	v_mov_b32_e32 v2, v1
	s_mov_b32 s17, s12
	s_mov_b32 s18, s4
	s_cbranch_scc1 .LBB8_33
.LBB8_32:                               ;   Parent Loop BB8_27 Depth=1
                                        ; =>  This Inner Loop Header: Depth=2
	v_mov_b32_e32 v7, s17
	ds_read_b32 v6, v2
	ds_read_b32 v7, v7
	s_add_i32 s18, s18, -1
	s_add_i32 s17, s17, -4
	v_subrev_u32_e32 v2, 32, v2
	s_cmp_gt_i32 s18, s15
	s_waitcnt lgkmcnt(0)
	v_fma_f32 v4, -v6, v7, v4
	s_cbranch_scc1 .LBB8_32
.LBB8_33:                               ;   in Loop: Header=BB8_27 Depth=1
	s_sub_i32 s14, s14, 36
	v_mov_b32_e32 v2, s14
	s_add_i32 s15, s8, -3
	ds_read_b32 v7, v2
	s_lshl_b32 s17, s15, 5
	v_add_u32_e32 v2, s17, v5
	ds_read_b32 v6, v2
	s_cmp_le_i32 s4, s15
	s_waitcnt lgkmcnt(1)
	v_mul_f32_e32 v4, v4, v7
	ds_write_b32 v3, v4
	v_mov_b32_e32 v3, v1
	s_mov_b32 s17, s13
	s_mov_b32 s18, s4
	s_cbranch_scc1 .LBB8_26
.LBB8_34:                               ;   Parent Loop BB8_27 Depth=1
                                        ; =>  This Inner Loop Header: Depth=2
	v_mov_b32_e32 v7, s17
	ds_read_b32 v4, v3
	ds_read_b32 v7, v7
	s_add_i32 s18, s18, -1
	s_add_i32 s17, s17, -4
	v_subrev_u32_e32 v3, 32, v3
	s_cmp_gt_i32 s18, s15
	s_waitcnt lgkmcnt(0)
	v_fma_f32 v6, -v4, v7, v6
	s_cbranch_scc1 .LBB8_34
	s_branch .LBB8_26
.LBB8_35:
	s_mov_b64 s[4:5], 0
.LBB8_36:
	s_and_b64 vcc, exec, s[4:5]
	s_cbranch_vccz .LBB8_52
; %bb.37:
	s_cmp_gt_i32 s10, 7
	s_cbranch_scc0 .LBB8_39
; %bb.38:
	ds_read2_b32 v[10:11], v5 offset1:8
	v_mov_b32_e32 v16, 0
	ds_read_b128 v[1:4], v16
	ds_read2_b32 v[12:13], v5 offset0:16 offset1:24
	ds_read2_b32 v[14:15], v5 offset0:32 offset1:40
	ds_read_b128 v[6:9], v16 offset:16
	s_mov_b32 s4, 8
	s_waitcnt lgkmcnt(3)
	v_mul_f32_e32 v17, v10, v1
	v_fma_f32 v18, -v17, v2, v11
	ds_read2_b32 v[1:2], v16 offset0:9 offset1:10
	s_waitcnt lgkmcnt(3)
	v_fma_f32 v3, -v17, v3, v12
	v_fma_f32 v19, -v17, v4, v13
	ds_read2_b32 v[10:11], v16 offset0:11 offset1:12
	ds_read2_b32 v[12:13], v16 offset0:13 offset1:14
	ds_read_b32 v20, v16 offset:60
	s_waitcnt lgkmcnt(4)
	v_fma_f32 v6, -v17, v6, v14
	s_waitcnt lgkmcnt(3)
	v_mul_f32_e32 v18, v18, v1
	v_fma_f32 v21, -v18, v2, v3
	ds_read2_b32 v[1:2], v5 offset0:48 offset1:56
	v_fma_f32 v14, -v17, v7, v15
	s_waitcnt lgkmcnt(0)
	v_fma_f32 v15, -v17, v8, v1
	v_fma_f32 v22, -v17, v9, v2
	ds_read2_b64 v[1:4], v16 offset0:9 offset1:10
	v_fma_f32 v8, -v18, v10, v19
	v_fma_f32 v10, -v18, v11, v6
	ds_read_b64 v[6:7], v16 offset:88
	v_fma_f32 v13, -v18, v13, v15
	s_waitcnt lgkmcnt(1)
	v_mul_f32_e32 v19, v21, v1
	v_fma_f32 v11, -v19, v2, v8
	ds_read2_b32 v[1:2], v16 offset0:27 offset1:28
	ds_read2_b32 v[8:9], v16 offset0:29 offset1:30
	ds_write2_b32 v5, v17, v18 offset1:8
	s_waitcnt lgkmcnt(2)
	v_mul_f32_e32 v21, v11, v1
	v_fma_f32 v1, -v19, v3, v10
	v_fma_f32 v23, -v21, v2, v1
	;; [unrolled: 1-line block ×4, first 2 shown]
	ds_read_b128 v[1:4], v16 offset:144
	ds_read2_b32 v[10:11], v16 offset0:45 offset1:46
	ds_write2_b32 v5, v19, v21 offset0:16 offset1:24
	s_waitcnt lgkmcnt(2)
	v_mul_f32_e32 v14, v23, v1
	v_fma_f32 v1, -v21, v8, v12
	v_fma_f32 v1, -v14, v2, v1
	s_waitcnt lgkmcnt(1)
	v_mul_f32_e32 v10, v1, v10
	v_fma_f32 v1, -v19, v6, v13
	v_fma_f32 v6, -v21, v9, v1
	ds_read_b64 v[1:2], v16 offset:216
	ds_write2_b32 v5, v14, v10 offset0:32 offset1:40
	v_fma_f32 v3, -v14, v3, v6
	ds_read2_b32 v[8:9], v16 offset0:31 offset1:47
	ds_read_b32 v6, v16 offset:252
	v_fma_f32 v3, -v10, v11, v3
	s_waitcnt lgkmcnt(3)
	v_mul_f32_e32 v1, v3, v1
	v_fma_f32 v3, -v18, v20, v22
	v_fma_f32 v3, -v19, v7, v3
	s_waitcnt lgkmcnt(1)
	v_fma_f32 v3, -v21, v8, v3
	v_fma_f32 v3, -v14, v4, v3
	;; [unrolled: 1-line block ×4, first 2 shown]
	s_waitcnt lgkmcnt(0)
	v_mul_f32_e32 v2, v2, v6
	ds_write2_b32 v5, v1, v2 offset0:48 offset1:56
	s_cmp_lt_i32 s4, s16
	s_cbranch_scc1 .LBB8_40
	s_branch .LBB8_52
.LBB8_39:
	s_mov_b32 s4, 0
	s_cmp_lt_i32 s4, s16
	s_cbranch_scc0 .LBB8_52
.LBB8_40:
	s_or_b32 s5, s4, 3
	s_cmp_ge_u32 s5, s16
	s_cbranch_scc1 .LBB8_46
; %bb.41:
	v_mov_b32_e32 v1, 0x100
	s_lshl_b32 s5, s4, 2
	v_lshl_or_b32 v6, v0, 2, v1
.LBB8_42:                               ; =>This Loop Header: Depth=1
                                        ;     Child Loop BB8_43 Depth 2
	s_lshl_b32 s8, s4, 5
	v_add_u32_e32 v7, s8, v5
	ds_read2_b32 v[3:4], v7 offset1:8
	ds_read2_b32 v[1:2], v7 offset0:16 offset1:24
	s_cmp_eq_u32 s4, 0
	v_mov_b32_e32 v8, v6
	s_mov_b32 s10, s5
	s_mov_b32 s11, s4
	s_cbranch_scc1 .LBB8_44
.LBB8_43:                               ;   Parent Loop BB8_42 Depth=1
                                        ; =>  This Inner Loop Header: Depth=2
	v_mov_b32_e32 v9, s10
	ds_read_b32 v13, v8
	ds_read_b128 v[9:12], v9
	s_add_i32 s11, s11, -1
	s_add_i32 s10, s10, 32
	v_add_u32_e32 v8, 32, v8
	s_cmp_lg_u32 s11, 0
	s_waitcnt lgkmcnt(0)
	v_fma_f32 v3, -v13, v9, v3
	v_fma_f32 v4, -v13, v10, v4
	;; [unrolled: 1-line block ×4, first 2 shown]
	s_cbranch_scc1 .LBB8_43
.LBB8_44:                               ;   in Loop: Header=BB8_42 Depth=1
	s_lshl_b32 s10, s4, 2
	s_add_i32 s11, s10, s8
	v_mov_b32_e32 v14, s11
	ds_read_b128 v[8:11], v14
	ds_read2_b32 v[12:13], v14 offset0:9 offset1:10
	s_or_b32 s8, s8, 32
	v_add_u32_e32 v15, s8, v5
	s_add_i32 s8, s10, s8
	s_waitcnt lgkmcnt(1)
	v_mul_f32_e32 v8, v3, v8
	v_fma_f32 v3, -v8, v9, v4
	s_waitcnt lgkmcnt(0)
	v_mul_f32_e32 v9, v3, v12
	v_fma_f32 v1, -v8, v10, v1
	ds_write_b32 v15, v9
	ds_read_b64 v[3:4], v14 offset:72
	v_mov_b32_e32 v10, s8
	ds_read_b32 v10, v10 offset:12
	ds_read_b32 v12, v14 offset:108
	v_fma_f32 v1, -v9, v13, v1
	v_fma_f32 v2, -v8, v11, v2
	s_waitcnt lgkmcnt(2)
	v_mul_f32_e32 v1, v1, v3
	s_waitcnt lgkmcnt(1)
	v_fma_f32 v2, -v9, v10, v2
	ds_write2_b32 v7, v8, v1 offset1:16
	v_fma_f32 v1, -v1, v4, v2
	s_add_i32 s8, s4, 4
	s_add_i32 s4, s4, 7
	;; [unrolled: 1-line block ×3, first 2 shown]
	s_waitcnt lgkmcnt(1)
	v_mul_f32_e32 v1, v1, v12
	s_cmp_lt_i32 s4, s16
	ds_write_b32 v7, v1 offset:96
	s_cbranch_scc0 .LBB8_47
; %bb.45:                               ;   in Loop: Header=BB8_42 Depth=1
	s_mov_b32 s4, s8
	s_branch .LBB8_42
.LBB8_46:
	s_mov_b32 s8, s4
.LBB8_47:
	s_cmp_ge_i32 s8, s16
	s_cbranch_scc1 .LBB8_52
; %bb.48:
	v_mov_b32_e32 v1, 0x100
	s_lshl_b32 s4, s8, 2
	v_lshl_or_b32 v1, v0, 2, v1
	s_branch .LBB8_50
.LBB8_49:                               ;   in Loop: Header=BB8_50 Depth=1
	s_lshl_b32 s10, s8, 2
	s_add_i32 s5, s10, s5
	v_mov_b32_e32 v4, s5
	ds_read_b32 v4, v4
	s_add_i32 s8, s8, 1
	s_add_i32 s4, s4, 4
	s_cmp_ge_i32 s8, s16
	s_waitcnt lgkmcnt(0)
	v_mul_f32_e32 v3, v3, v4
	ds_write_b32 v2, v3
	s_cbranch_scc1 .LBB8_52
.LBB8_50:                               ; =>This Loop Header: Depth=1
                                        ;     Child Loop BB8_51 Depth 2
	s_lshl_b32 s5, s8, 5
	v_add_u32_e32 v2, s5, v5
	ds_read_b32 v3, v2
	s_cmp_eq_u32 s8, 0
	v_mov_b32_e32 v4, v1
	s_mov_b32 s10, s4
	s_mov_b32 s11, s8
	s_cbranch_scc1 .LBB8_49
.LBB8_51:                               ;   Parent Loop BB8_50 Depth=1
                                        ; =>  This Inner Loop Header: Depth=2
	v_mov_b32_e32 v7, s10
	ds_read_b32 v6, v4
	ds_read_b32 v7, v7
	s_add_i32 s11, s11, -1
	s_add_i32 s10, s10, 32
	v_add_u32_e32 v4, 32, v4
	s_cmp_lg_u32 s11, 0
	s_waitcnt lgkmcnt(0)
	v_fma_f32 v3, -v6, v7, v3
	s_cbranch_scc1 .LBB8_51
	s_branch .LBB8_49
.LBB8_52:
	s_waitcnt lgkmcnt(0)
	; wave barrier
	s_and_saveexec_b64 s[4:5], s[0:1]
	s_cbranch_execz .LBB8_56
; %bb.53:
	s_andn2_b64 vcc, exec, s[2:3]
	s_cbranch_vccnz .LBB8_56
; %bb.54:
	v_mad_i64_i32 v[1:2], s[0:1], s9, v0, 0
	v_mov_b32_e32 v3, s7
	v_lshlrev_b64 v[1:2], 2, v[1:2]
	v_add_co_u32_e32 v1, vcc, s6, v1
	v_addc_co_u32_e32 v2, vcc, v3, v2, vcc
	v_mov_b32_e32 v3, 0x100
	v_lshl_or_b32 v0, v0, 2, v3
.LBB8_55:                               ; =>This Inner Loop Header: Depth=1
	ds_read_b32 v3, v0
	s_add_i32 s16, s16, -1
	v_add_u32_e32 v0, 32, v0
	s_cmp_lg_u32 s16, 0
	s_waitcnt lgkmcnt(0)
	global_store_dword v[1:2], v3, off
	v_add_co_u32_e32 v1, vcc, 4, v1
	v_addc_co_u32_e32 v2, vcc, 0, v2, vcc
	s_cbranch_scc1 .LBB8_55
.LBB8_56:
	s_endpgm
	.section	.rodata,"a",@progbits
	.p2align	6, 0x0
	.amdhsa_kernel _ZL38rocblas_trsm_small_left_device_sharedBILi8ELi8ELb1EffPKfPfEv13rocblas_fill_18rocblas_operation_17rocblas_diagonal_iiT3_T4_lilT5_lili
		.amdhsa_group_segment_fixed_size 512
		.amdhsa_private_segment_fixed_size 0
		.amdhsa_kernarg_size 352
		.amdhsa_user_sgpr_count 6
		.amdhsa_user_sgpr_private_segment_buffer 1
		.amdhsa_user_sgpr_dispatch_ptr 0
		.amdhsa_user_sgpr_queue_ptr 0
		.amdhsa_user_sgpr_kernarg_segment_ptr 1
		.amdhsa_user_sgpr_dispatch_id 0
		.amdhsa_user_sgpr_flat_scratch_init 0
		.amdhsa_user_sgpr_private_segment_size 0
		.amdhsa_uses_dynamic_stack 0
		.amdhsa_system_sgpr_private_segment_wavefront_offset 0
		.amdhsa_system_sgpr_workgroup_id_x 1
		.amdhsa_system_sgpr_workgroup_id_y 0
		.amdhsa_system_sgpr_workgroup_id_z 1
		.amdhsa_system_sgpr_workgroup_info 0
		.amdhsa_system_vgpr_workitem_id 0
		.amdhsa_next_free_vgpr 24
		.amdhsa_next_free_sgpr 24
		.amdhsa_reserve_vcc 1
		.amdhsa_reserve_flat_scratch 0
		.amdhsa_float_round_mode_32 0
		.amdhsa_float_round_mode_16_64 0
		.amdhsa_float_denorm_mode_32 3
		.amdhsa_float_denorm_mode_16_64 3
		.amdhsa_dx10_clamp 1
		.amdhsa_ieee_mode 1
		.amdhsa_fp16_overflow 0
		.amdhsa_exception_fp_ieee_invalid_op 0
		.amdhsa_exception_fp_denorm_src 0
		.amdhsa_exception_fp_ieee_div_zero 0
		.amdhsa_exception_fp_ieee_overflow 0
		.amdhsa_exception_fp_ieee_underflow 0
		.amdhsa_exception_fp_ieee_inexact 0
		.amdhsa_exception_int_div_zero 0
	.end_amdhsa_kernel
	.section	.text._ZL38rocblas_trsm_small_left_device_sharedBILi8ELi8ELb1EffPKfPfEv13rocblas_fill_18rocblas_operation_17rocblas_diagonal_iiT3_T4_lilT5_lili,"axG",@progbits,_ZL38rocblas_trsm_small_left_device_sharedBILi8ELi8ELb1EffPKfPfEv13rocblas_fill_18rocblas_operation_17rocblas_diagonal_iiT3_T4_lilT5_lili,comdat
.Lfunc_end8:
	.size	_ZL38rocblas_trsm_small_left_device_sharedBILi8ELi8ELb1EffPKfPfEv13rocblas_fill_18rocblas_operation_17rocblas_diagonal_iiT3_T4_lilT5_lili, .Lfunc_end8-_ZL38rocblas_trsm_small_left_device_sharedBILi8ELi8ELb1EffPKfPfEv13rocblas_fill_18rocblas_operation_17rocblas_diagonal_iiT3_T4_lilT5_lili
                                        ; -- End function
	.set _ZL38rocblas_trsm_small_left_device_sharedBILi8ELi8ELb1EffPKfPfEv13rocblas_fill_18rocblas_operation_17rocblas_diagonal_iiT3_T4_lilT5_lili.num_vgpr, 24
	.set _ZL38rocblas_trsm_small_left_device_sharedBILi8ELi8ELb1EffPKfPfEv13rocblas_fill_18rocblas_operation_17rocblas_diagonal_iiT3_T4_lilT5_lili.num_agpr, 0
	.set _ZL38rocblas_trsm_small_left_device_sharedBILi8ELi8ELb1EffPKfPfEv13rocblas_fill_18rocblas_operation_17rocblas_diagonal_iiT3_T4_lilT5_lili.numbered_sgpr, 24
	.set _ZL38rocblas_trsm_small_left_device_sharedBILi8ELi8ELb1EffPKfPfEv13rocblas_fill_18rocblas_operation_17rocblas_diagonal_iiT3_T4_lilT5_lili.num_named_barrier, 0
	.set _ZL38rocblas_trsm_small_left_device_sharedBILi8ELi8ELb1EffPKfPfEv13rocblas_fill_18rocblas_operation_17rocblas_diagonal_iiT3_T4_lilT5_lili.private_seg_size, 0
	.set _ZL38rocblas_trsm_small_left_device_sharedBILi8ELi8ELb1EffPKfPfEv13rocblas_fill_18rocblas_operation_17rocblas_diagonal_iiT3_T4_lilT5_lili.uses_vcc, 1
	.set _ZL38rocblas_trsm_small_left_device_sharedBILi8ELi8ELb1EffPKfPfEv13rocblas_fill_18rocblas_operation_17rocblas_diagonal_iiT3_T4_lilT5_lili.uses_flat_scratch, 0
	.set _ZL38rocblas_trsm_small_left_device_sharedBILi8ELi8ELb1EffPKfPfEv13rocblas_fill_18rocblas_operation_17rocblas_diagonal_iiT3_T4_lilT5_lili.has_dyn_sized_stack, 0
	.set _ZL38rocblas_trsm_small_left_device_sharedBILi8ELi8ELb1EffPKfPfEv13rocblas_fill_18rocblas_operation_17rocblas_diagonal_iiT3_T4_lilT5_lili.has_recursion, 0
	.set _ZL38rocblas_trsm_small_left_device_sharedBILi8ELi8ELb1EffPKfPfEv13rocblas_fill_18rocblas_operation_17rocblas_diagonal_iiT3_T4_lilT5_lili.has_indirect_call, 0
	.section	.AMDGPU.csdata,"",@progbits
; Kernel info:
; codeLenInByte = 3584
; TotalNumSgprs: 28
; NumVgprs: 24
; ScratchSize: 0
; MemoryBound: 0
; FloatMode: 240
; IeeeMode: 1
; LDSByteSize: 512 bytes/workgroup (compile time only)
; SGPRBlocks: 3
; VGPRBlocks: 5
; NumSGPRsForWavesPerEU: 28
; NumVGPRsForWavesPerEU: 24
; Occupancy: 10
; WaveLimiterHint : 0
; COMPUTE_PGM_RSRC2:SCRATCH_EN: 0
; COMPUTE_PGM_RSRC2:USER_SGPR: 6
; COMPUTE_PGM_RSRC2:TRAP_HANDLER: 0
; COMPUTE_PGM_RSRC2:TGID_X_EN: 1
; COMPUTE_PGM_RSRC2:TGID_Y_EN: 0
; COMPUTE_PGM_RSRC2:TGID_Z_EN: 1
; COMPUTE_PGM_RSRC2:TIDIG_COMP_CNT: 0
	.section	.text._ZL30rocblas_trsm_small_left_deviceILi8ELi8ELb1EffPKfPfEv13rocblas_fill_18rocblas_operation_17rocblas_diagonal_iiT3_T4_lilT5_lili,"axG",@progbits,_ZL30rocblas_trsm_small_left_deviceILi8ELi8ELb1EffPKfPfEv13rocblas_fill_18rocblas_operation_17rocblas_diagonal_iiT3_T4_lilT5_lili,comdat
	.globl	_ZL30rocblas_trsm_small_left_deviceILi8ELi8ELb1EffPKfPfEv13rocblas_fill_18rocblas_operation_17rocblas_diagonal_iiT3_T4_lilT5_lili ; -- Begin function _ZL30rocblas_trsm_small_left_deviceILi8ELi8ELb1EffPKfPfEv13rocblas_fill_18rocblas_operation_17rocblas_diagonal_iiT3_T4_lilT5_lili
	.p2align	8
	.type	_ZL30rocblas_trsm_small_left_deviceILi8ELi8ELb1EffPKfPfEv13rocblas_fill_18rocblas_operation_17rocblas_diagonal_iiT3_T4_lilT5_lili,@function
_ZL30rocblas_trsm_small_left_deviceILi8ELi8ELb1EffPKfPfEv13rocblas_fill_18rocblas_operation_17rocblas_diagonal_iiT3_T4_lilT5_lili: ; @_ZL30rocblas_trsm_small_left_deviceILi8ELi8ELb1EffPKfPfEv13rocblas_fill_18rocblas_operation_17rocblas_diagonal_iiT3_T4_lilT5_lili
; %bb.0:
	s_load_dwordx4 s[0:3], s[4:5], 0x4
	s_load_dword s16, s[4:5], 0x14
	s_load_dwordx4 s[8:11], s[4:5], 0x30
	s_load_dwordx2 s[12:13], s[4:5], 0x40
	s_waitcnt lgkmcnt(0)
	s_min_i32 s17, s2, 8
	v_cmp_gt_i32_e32 vcc, s17, v0
	s_and_saveexec_b64 s[14:15], vcc
	s_cbranch_execz .LBB9_6
; %bb.1:
	s_load_dword s18, s[4:5], 0x28
	s_load_dwordx4 s[20:23], s[4:5], 0x18
	s_mul_i32 s9, s9, s7
	s_mul_hi_u32 s19, s8, s7
	s_add_i32 s9, s19, s9
	s_mul_i32 s8, s8, s7
	s_waitcnt lgkmcnt(0)
	s_ashr_i32 s19, s18, 31
	s_lshl_b64 s[8:9], s[8:9], 2
	s_add_u32 s20, s20, s8
	s_addc_u32 s21, s21, s9
	s_lshl_b64 s[8:9], s[22:23], 2
	s_add_u32 s8, s20, s8
	s_addc_u32 s9, s21, s9
	v_lshlrev_b32_e32 v3, 2, v0
	v_mov_b32_e32 v2, s9
	v_add_co_u32_e32 v1, vcc, s8, v3
	s_lshl_b64 s[8:9], s[18:19], 2
	v_addc_co_u32_e32 v2, vcc, 0, v2, vcc
	v_mov_b32_e32 v4, s9
	v_mov_b32_e32 v5, v3
	s_mov_b32 s9, s17
.LBB9_2:                                ; =>This Inner Loop Header: Depth=1
	global_load_dword v6, v[1:2], off
	v_add_co_u32_e32 v1, vcc, s8, v1
	s_add_i32 s9, s9, -1
	v_addc_co_u32_e32 v2, vcc, v2, v4, vcc
	s_cmp_eq_u32 s9, 0
	s_waitcnt vmcnt(0)
	ds_write_b32 v5, v6
	v_add_u32_e32 v5, 32, v5
	s_cbranch_scc0 .LBB9_2
; %bb.3:
	v_lshlrev_b32_e32 v1, 5, v0
	s_cmpk_lg_i32 s1, 0x84
	v_mov_b32_e32 v2, 1.0
	v_add_u32_e32 v1, v3, v1
	s_cbranch_scc0 .LBB9_5
; %bb.4:
	ds_read_b32 v2, v1
	s_waitcnt lgkmcnt(0)
	v_div_scale_f32 v3, s[8:9], v2, v2, 1.0
	v_div_scale_f32 v4, vcc, 1.0, v2, 1.0
	v_rcp_f32_e32 v5, v3
	v_fma_f32 v6, -v3, v5, 1.0
	v_fmac_f32_e32 v5, v6, v5
	v_mul_f32_e32 v6, v4, v5
	v_fma_f32 v7, -v3, v6, v4
	v_fmac_f32_e32 v6, v7, v5
	v_fma_f32 v3, -v3, v6, v4
	v_div_fmas_f32 v3, v3, v5, v6
	v_div_fixup_f32 v2, v3, v2, 1.0
.LBB9_5:
	ds_write_b32 v1, v2
.LBB9_6:
	s_or_b64 exec, exec, s[14:15]
	s_load_dword s1, s[4:5], 0x60
	s_waitcnt lgkmcnt(0)
	; wave barrier
	s_add_i32 s8, s1, -1
	s_lshl_b32 s1, s6, 3
	s_sub_i32 s3, s3, s1
	s_cmp_ge_u32 s6, s8
	s_cselect_b32 s3, s3, 8
	v_cmp_gt_i32_e32 vcc, s3, v0
	s_and_saveexec_b64 s[8:9], vcc
	s_cbranch_execz .LBB9_50
; %bb.7:
	s_load_dwordx2 s[8:9], s[4:5], 0x50
	s_load_dword s3, s[4:5], 0x48
	v_add_u32_e32 v0, s1, v0
	s_waitcnt lgkmcnt(0)
	s_mul_i32 s1, s9, s7
	s_mul_hi_u32 s5, s8, s7
	s_mul_i32 s4, s8, s7
	s_add_i32 s5, s5, s1
	s_lshl_b64 s[4:5], s[4:5], 2
	s_add_u32 s1, s10, s4
	s_addc_u32 s6, s11, s5
	v_mad_i64_i32 v[0:1], s[4:5], s3, v0, 0
	s_lshl_b64 s[4:5], s[12:13], 2
	s_add_u32 s1, s1, s4
	v_lshlrev_b64 v[0:1], 2, v[0:1]
	s_addc_u32 s3, s6, s5
	v_mov_b32_e32 v2, s3
	v_add_co_u32_e32 v0, vcc, s1, v0
	v_addc_co_u32_e32 v1, vcc, v2, v1, vcc
	s_cmpk_eq_i32 s0, 0x6f
	s_mov_b64 s[0:1], -1
	s_cbranch_scc1 .LBB9_34
; %bb.8:
	s_add_i32 s3, s17, -1
	s_cmp_gt_i32 s2, 7
	s_mov_b32 s0, -1
	s_cbranch_scc0 .LBB9_10
; %bb.9:
	global_load_dwordx4 v[2:5], v[0:1], off offset:16
	v_mov_b32_e32 v22, 0
	ds_read_b32 v6, v22 offset:252
	ds_read_b64 v[10:11], v22 offset:216
	ds_read2_b32 v[13:14], v22 offset0:31 offset1:47
	ds_read_b32 v15, v22 offset:60
	s_waitcnt vmcnt(0)
	v_mul_f32_e32 v5, s16, v5
	s_waitcnt lgkmcnt(3)
	v_mul_f32_e32 v5, v5, v6
	s_waitcnt lgkmcnt(2)
	;; [unrolled: 2-line block ×3, first 2 shown]
	v_mul_f32_e32 v7, v5, v14
	v_fma_f32 v4, s16, v4, -v6
	v_fma_f32 v11, s16, v3, -v7
	ds_read_b128 v[6:9], v22 offset:144
	v_mul_f32_e32 v4, v4, v10
	s_waitcnt lgkmcnt(1)
	v_mul_f32_e32 v16, v5, v15
	s_waitcnt lgkmcnt(0)
	v_mul_f32_e32 v3, v5, v9
	v_fma_f32 v14, s16, v2, -v3
	ds_read2_b32 v[2:3], v22 offset0:45 offset1:46
	s_waitcnt lgkmcnt(0)
	v_fma_f32 v3, -v4, v3, v11
	global_load_dwordx4 v[9:12], v[0:1], off
	v_mul_f32_e32 v3, v3, v2
	v_fma_f32 v2, -v4, v8, v14
	v_fma_f32 v2, -v3, v7, v2
	v_mul_f32_e32 v8, v5, v13
	v_mul_f32_e32 v2, v2, v6
	ds_read_b64 v[6:7], v22 offset:88
	ds_read2_b32 v[20:21], v22 offset0:13 offset1:14
	s_waitcnt lgkmcnt(1)
	v_mul_f32_e32 v7, v5, v7
	s_waitcnt vmcnt(0)
	v_fma_f32 v23, s16, v12, -v8
	ds_read2_b64 v[12:15], v22 offset0:9 offset1:10
	v_fma_f32 v10, s16, v10, -v16
	ds_read_b128 v[16:19], v22 offset:16
	v_fma_f32 v7, s16, v11, -v7
	v_fma_f32 v11, -v4, v6, v7
	s_waitcnt lgkmcnt(2)
	v_fma_f32 v10, -v4, v21, v10
	s_waitcnt lgkmcnt(0)
	v_mul_f32_e32 v8, v5, v19
	v_fma_f32 v8, s16, v9, -v8
	v_fma_f32 v8, -v4, v18, v8
	v_fma_f32 v8, -v3, v17, v8
	;; [unrolled: 1-line block ×3, first 2 shown]
	ds_read2_b32 v[6:7], v22 offset0:29 offset1:30
	ds_read2_b32 v[8:9], v22 offset0:27 offset1:28
	v_fma_f32 v18, -v3, v20, v10
	v_fma_f32 v10, -v3, v15, v11
	global_store_dwordx4 v[0:1], v[2:5], off offset:16
	s_waitcnt lgkmcnt(1)
	v_fma_f32 v7, -v4, v7, v23
	v_fma_f32 v17, -v3, v6, v7
	ds_read2_b32 v[6:7], v22 offset0:11 offset1:12
	s_waitcnt lgkmcnt(1)
	v_fma_f32 v3, -v2, v9, v17
	v_fma_f32 v4, -v2, v14, v10
	v_mul_f32_e32 v5, v3, v8
	ds_read2_b32 v[10:11], v22 offset0:9 offset1:10
	s_waitcnt lgkmcnt(1)
	v_fma_f32 v2, -v2, v7, v18
	v_fma_f32 v2, -v5, v6, v2
	ds_read_b128 v[6:9], v22
	v_fma_f32 v3, -v5, v13, v4
	v_mul_f32_e32 v4, v3, v12
	s_waitcnt lgkmcnt(1)
	v_fma_f32 v2, -v4, v11, v2
	v_mul_f32_e32 v3, v2, v10
	s_waitcnt lgkmcnt(0)
	v_fma_f32 v9, -v5, v9, v16
	v_fma_f32 v2, -v4, v8, v9
	;; [unrolled: 1-line block ×3, first 2 shown]
	v_mul_f32_e32 v2, v2, v6
	global_store_dwordx4 v[0:1], v[2:5], off
	s_cmp_gt_i32 s0, -1
	s_cbranch_scc1 .LBB9_11
	s_branch .LBB9_33
.LBB9_10:
	s_mov_b32 s0, s3
	s_cmp_gt_i32 s0, -1
	s_cbranch_scc0 .LBB9_33
.LBB9_11:
	s_cmp_lt_u32 s0, 3
	s_cbranch_scc1 .LBB9_16
; %bb.12:
	s_mov_b32 s5, 0
	s_mov_b32 s1, s5
	s_lshl_b64 s[6:7], s[0:1], 2
	v_mov_b32_e32 v3, s7
	v_add_co_u32_e32 v2, vcc, s6, v0
	v_addc_co_u32_e32 v3, vcc, v1, v3, vcc
	global_load_dwordx4 v[4:7], v[2:3], off offset:-12
	s_cmp_le_i32 s3, s0
	s_waitcnt vmcnt(0)
	v_mul_f32_e32 v7, s16, v7
	v_mul_f32_e32 v6, s16, v6
	;; [unrolled: 1-line block ×4, first 2 shown]
	s_cbranch_scc1 .LBB9_15
; %bb.13:
	s_lshl_b32 s1, s0, 5
	s_lshl_b32 s4, s17, 2
	s_add_i32 s1, s1, s4
	s_addk_i32 s1, 0xff9c
	s_mov_b32 s4, s3
.LBB9_14:                               ; =>This Inner Loop Header: Depth=1
	s_lshl_b64 s[6:7], s[4:5], 2
	v_mov_b32_e32 v9, s7
	v_add_co_u32_e32 v8, vcc, s6, v0
	v_addc_co_u32_e32 v9, vcc, v1, v9, vcc
	global_load_dword v12, v[8:9], off
	v_mov_b32_e32 v10, s1
	ds_read2_b32 v[8:9], v10 offset0:16 offset1:24
	ds_read2_b32 v[10:11], v10 offset1:8
	s_add_i32 s4, s4, -1
	s_add_i32 s1, s1, -4
	s_cmp_gt_i32 s4, s0
	s_waitcnt vmcnt(0) lgkmcnt(1)
	v_fma_f32 v7, -v12, v9, v7
	v_fma_f32 v6, -v12, v8, v6
	s_waitcnt lgkmcnt(0)
	v_fma_f32 v5, -v12, v11, v5
	v_fma_f32 v4, -v12, v10, v4
	s_cbranch_scc1 .LBB9_14
.LBB9_15:
	s_mul_i32 s1, s0, 36
	s_add_i32 s4, s0, -1
	v_mov_b32_e32 v8, s1
	s_lshl_b32 s1, s4, 5
	s_lshl_b32 s5, s4, 2
	s_add_i32 s1, s1, s5
	s_mov_b32 s5, 0
	s_lshl_b64 s[6:7], s[4:5], 2
	s_add_i32 s4, s0, -2
	ds_read_b32 v12, v8
	v_mov_b32_e32 v8, s1
	s_lshl_b32 s1, s4, 5
	s_lshl_b32 s8, s0, 2
	s_add_i32 s9, s1, s8
	v_mov_b32_e32 v10, s9
	s_lshl_b32 s9, s4, 2
	s_add_i32 s1, s1, s9
	v_mov_b32_e32 v11, s1
	ds_read2_b32 v[8:9], v8 offset1:1
	ds_read_b32 v13, v10
	ds_read2_b32 v[10:11], v11 offset1:1
	s_waitcnt lgkmcnt(3)
	v_mul_f32_e32 v12, v7, v12
	global_store_dword v[2:3], v12, off
	s_waitcnt lgkmcnt(2)
	v_fma_f32 v2, -v12, v9, v6
	v_mul_f32_e32 v9, v2, v8
	v_mov_b32_e32 v3, s7
	v_add_co_u32_e32 v2, vcc, s6, v0
	s_lshl_b64 s[6:7], s[4:5], 2
	s_add_i32 s4, s0, -3
	v_addc_co_u32_e32 v3, vcc, v1, v3, vcc
	s_lshl_b32 s1, s4, 5
	global_store_dword v[2:3], v9, off
	s_waitcnt lgkmcnt(1)
	v_fma_f32 v2, -v12, v13, v5
	v_mov_b32_e32 v8, s7
	s_add_i32 s7, s1, s8
	s_waitcnt lgkmcnt(0)
	v_fma_f32 v2, -v9, v11, v2
	s_add_i32 s7, s7, -4
	v_mul_f32_e32 v10, v2, v10
	v_mov_b32_e32 v2, s7
	s_lshl_b32 s7, s4, 2
	s_add_i32 s1, s1, s7
	v_mov_b32_e32 v5, s1
	ds_read2_b32 v[2:3], v2 offset1:1
	ds_read2_b32 v[5:6], v5 offset1:1
	v_add_co_u32_e32 v7, vcc, s6, v0
	v_addc_co_u32_e32 v8, vcc, v1, v8, vcc
	s_waitcnt lgkmcnt(1)
	v_fma_f32 v3, -v12, v3, v4
	v_fma_f32 v2, -v9, v2, v3
	s_waitcnt lgkmcnt(0)
	v_fma_f32 v2, -v10, v6, v2
	s_lshl_b64 s[4:5], s[4:5], 2
	v_mul_f32_e32 v4, v2, v5
	v_mov_b32_e32 v3, s5
	v_add_co_u32_e32 v2, vcc, s4, v0
	v_addc_co_u32_e32 v3, vcc, v1, v3, vcc
	s_add_i32 s0, s0, -4
	global_store_dword v[7:8], v10, off
	global_store_dword v[2:3], v4, off
.LBB9_16:
	s_cmp_lt_i32 s0, 0
	s_cbranch_scc1 .LBB9_33
; %bb.17:
	s_and_b32 s1, s0, 3
	s_cmp_eq_u32 s1, 3
	s_mov_b32 s4, s0
	s_cbranch_scc1 .LBB9_22
; %bb.18:
	s_lshl_b32 s4, s0, 5
	s_lshl_b32 s5, s17, 2
	s_add_i32 s1, s0, 1
	s_add_i32 s4, s4, s5
	s_and_b32 s1, s1, 3
	s_add_i32 s8, s4, -4
	s_mov_b32 s7, 0
	s_mov_b32 s4, s0
	;; [unrolled: 1-line block ×3, first 2 shown]
	s_branch .LBB9_20
.LBB9_19:                               ;   in Loop: Header=BB9_20 Depth=1
	s_mul_i32 s5, s4, 36
	v_mov_b32_e32 v5, s5
	ds_read_b32 v5, v5
	s_add_i32 s4, s4, -1
	s_add_i32 s9, s9, 1
	s_sub_i32 s8, s8, 32
	s_cmp_lg_u32 s9, s1
	s_waitcnt lgkmcnt(0)
	v_mul_f32_e32 v4, v4, v5
	global_store_dword v[2:3], v4, off
	s_cbranch_scc0 .LBB9_22
.LBB9_20:                               ; =>This Loop Header: Depth=1
                                        ;     Child Loop BB9_21 Depth 2
	s_mov_b32 s5, s7
	s_lshl_b64 s[10:11], s[4:5], 2
	v_mov_b32_e32 v3, s11
	v_add_co_u32_e32 v2, vcc, s10, v0
	v_addc_co_u32_e32 v3, vcc, v1, v3, vcc
	global_load_dword v4, v[2:3], off
	s_mov_b32 s5, s8
	s_cmp_le_i32 s3, s4
	s_mov_b32 s6, s3
	s_waitcnt vmcnt(0)
	v_mul_f32_e32 v4, s16, v4
	s_cbranch_scc1 .LBB9_19
.LBB9_21:                               ;   Parent Loop BB9_20 Depth=1
                                        ; =>  This Inner Loop Header: Depth=2
	s_lshl_b64 s[10:11], s[6:7], 2
	v_mov_b32_e32 v6, s11
	v_add_co_u32_e32 v5, vcc, s10, v0
	v_addc_co_u32_e32 v6, vcc, v1, v6, vcc
	global_load_dword v5, v[5:6], off
	v_mov_b32_e32 v6, s5
	ds_read_b32 v6, v6
	s_add_i32 s6, s6, -1
	s_add_i32 s5, s5, -4
	s_cmp_gt_i32 s6, s4
	s_waitcnt vmcnt(0) lgkmcnt(0)
	v_fma_f32 v4, -v5, v6, v4
	s_cbranch_scc1 .LBB9_21
	s_branch .LBB9_19
.LBB9_22:
	s_cmp_lt_u32 s0, 3
	s_cbranch_scc1 .LBB9_33
; %bb.23:
	s_lshl_b32 s0, s4, 5
	s_lshl_b32 s1, s17, 2
	s_add_i32 s0, s0, s1
	s_add_i32 s8, s0, -4
	s_sub_i32 s9, s0, 36
	s_add_i32 s10, s0, 0xffffffbc
	s_add_i32 s11, s0, 0xffffff9c
	s_mov_b32 s1, 0
	s_branch .LBB9_25
.LBB9_24:                               ;   in Loop: Header=BB9_25 Depth=1
	s_sub_i32 s0, s5, 36
	v_mov_b32_e32 v5, s0
	ds_read_b32 v5, v5
	s_add_i32 s0, s4, -4
	s_addk_i32 s8, 0xff80
	s_addk_i32 s9, 0xff80
	;; [unrolled: 1-line block ×4, first 2 shown]
	s_waitcnt lgkmcnt(0)
	v_mul_f32_e32 v4, v4, v5
	s_cmp_lt_i32 s4, 4
	s_mov_b32 s4, s0
	global_store_dword v[2:3], v4, off
	s_cbranch_scc1 .LBB9_33
.LBB9_25:                               ; =>This Loop Header: Depth=1
                                        ;     Child Loop BB9_26 Depth 2
                                        ;     Child Loop BB9_28 Depth 2
	;; [unrolled: 1-line block ×4, first 2 shown]
	s_mov_b32 s5, s1
	s_lshl_b64 s[6:7], s[4:5], 2
	v_mov_b32_e32 v2, s7
	v_add_co_u32_e32 v4, vcc, s6, v0
	v_addc_co_u32_e32 v5, vcc, v1, v2, vcc
	global_load_dword v2, v[4:5], off
	s_mov_b32 s5, s8
	s_cmp_le_i32 s3, s4
	s_mov_b32 s0, s3
	s_waitcnt vmcnt(0)
	v_mul_f32_e32 v6, s16, v2
	s_cbranch_scc1 .LBB9_27
.LBB9_26:                               ;   Parent Loop BB9_25 Depth=1
                                        ; =>  This Inner Loop Header: Depth=2
	s_lshl_b64 s[6:7], s[0:1], 2
	v_mov_b32_e32 v3, s7
	v_add_co_u32_e32 v2, vcc, s6, v0
	v_addc_co_u32_e32 v3, vcc, v1, v3, vcc
	global_load_dword v2, v[2:3], off
	v_mov_b32_e32 v3, s5
	ds_read_b32 v3, v3
	s_add_i32 s0, s0, -1
	s_add_i32 s5, s5, -4
	s_cmp_gt_i32 s0, s4
	s_waitcnt vmcnt(0) lgkmcnt(0)
	v_fma_f32 v6, -v2, v3, v6
	s_cbranch_scc1 .LBB9_26
.LBB9_27:                               ;   in Loop: Header=BB9_25 Depth=1
	s_add_i32 s0, s4, -1
	s_lshl_b64 s[6:7], s[0:1], 2
	v_mov_b32_e32 v3, s7
	v_add_co_u32_e32 v2, vcc, s6, v0
	v_addc_co_u32_e32 v3, vcc, v1, v3, vcc
	global_load_dword v7, v[2:3], off
	s_mul_i32 s5, s4, 36
	v_mov_b32_e32 v8, s5
	ds_read_b32 v8, v8
	s_mov_b32 s6, s9
	s_cmp_le_i32 s17, s4
	s_mov_b32 s0, s17
	s_waitcnt lgkmcnt(0)
	v_mul_f32_e32 v6, v6, v8
	global_store_dword v[4:5], v6, off
	s_waitcnt vmcnt(1)
	v_mul_f32_e32 v6, s16, v7
	s_cbranch_scc1 .LBB9_29
.LBB9_28:                               ;   Parent Loop BB9_25 Depth=1
                                        ; =>  This Inner Loop Header: Depth=2
	s_add_i32 s0, s0, -1
	s_lshl_b64 s[12:13], s[0:1], 2
	v_mov_b32_e32 v5, s13
	v_add_co_u32_e32 v4, vcc, s12, v0
	v_addc_co_u32_e32 v5, vcc, v1, v5, vcc
	global_load_dword v4, v[4:5], off
	v_mov_b32_e32 v5, s6
	ds_read_b32 v5, v5
	s_add_i32 s6, s6, -4
	s_cmp_gt_i32 s0, s4
	s_waitcnt vmcnt(0) lgkmcnt(0)
	v_fma_f32 v6, -v4, v5, v6
	s_cbranch_scc1 .LBB9_28
.LBB9_29:                               ;   in Loop: Header=BB9_25 Depth=1
	s_add_i32 s6, s4, -2
	s_mov_b32 s7, s1
	s_lshl_b64 s[12:13], s[6:7], 2
	v_mov_b32_e32 v5, s13
	v_add_co_u32_e32 v4, vcc, s12, v0
	v_addc_co_u32_e32 v5, vcc, v1, v5, vcc
	global_load_dword v7, v[4:5], off
	s_sub_i32 s5, s5, 36
	v_mov_b32_e32 v8, s5
	ds_read_b32 v8, v8
	s_mov_b32 s7, s10
	s_cmp_le_i32 s3, s6
	s_mov_b32 s0, s3
	s_waitcnt lgkmcnt(0)
	v_mul_f32_e32 v6, v6, v8
	global_store_dword v[2:3], v6, off
	s_waitcnt vmcnt(1)
	v_mul_f32_e32 v6, s16, v7
	s_cbranch_scc1 .LBB9_31
.LBB9_30:                               ;   Parent Loop BB9_25 Depth=1
                                        ; =>  This Inner Loop Header: Depth=2
	s_lshl_b64 s[12:13], s[0:1], 2
	v_mov_b32_e32 v3, s13
	v_add_co_u32_e32 v2, vcc, s12, v0
	v_addc_co_u32_e32 v3, vcc, v1, v3, vcc
	global_load_dword v2, v[2:3], off
	v_mov_b32_e32 v3, s7
	ds_read_b32 v3, v3
	s_add_i32 s0, s0, -1
	s_add_i32 s7, s7, -4
	s_cmp_gt_i32 s0, s6
	s_waitcnt vmcnt(0) lgkmcnt(0)
	v_fma_f32 v6, -v2, v3, v6
	s_cbranch_scc1 .LBB9_30
.LBB9_31:                               ;   in Loop: Header=BB9_25 Depth=1
	s_add_i32 s6, s4, -3
	s_mov_b32 s7, s1
	s_lshl_b64 s[12:13], s[6:7], 2
	v_mov_b32_e32 v3, s13
	v_add_co_u32_e32 v2, vcc, s12, v0
	v_addc_co_u32_e32 v3, vcc, v1, v3, vcc
	global_load_dword v7, v[2:3], off
	s_sub_i32 s5, s5, 36
	v_mov_b32_e32 v8, s5
	ds_read_b32 v8, v8
	s_mov_b32 s7, s11
	s_cmp_le_i32 s3, s6
	s_mov_b32 s0, s3
	s_waitcnt lgkmcnt(0)
	v_mul_f32_e32 v6, v6, v8
	global_store_dword v[4:5], v6, off
	s_waitcnt vmcnt(1)
	v_mul_f32_e32 v4, s16, v7
	s_cbranch_scc1 .LBB9_24
.LBB9_32:                               ;   Parent Loop BB9_25 Depth=1
                                        ; =>  This Inner Loop Header: Depth=2
	s_lshl_b64 s[12:13], s[0:1], 2
	v_mov_b32_e32 v6, s13
	v_add_co_u32_e32 v5, vcc, s12, v0
	v_addc_co_u32_e32 v6, vcc, v1, v6, vcc
	global_load_dword v5, v[5:6], off
	v_mov_b32_e32 v6, s7
	ds_read_b32 v6, v6
	s_add_i32 s0, s0, -1
	s_add_i32 s7, s7, -4
	s_cmp_gt_i32 s0, s6
	s_waitcnt vmcnt(0) lgkmcnt(0)
	v_fma_f32 v4, -v5, v6, v4
	s_cbranch_scc1 .LBB9_32
	s_branch .LBB9_24
.LBB9_33:
	s_mov_b64 s[0:1], 0
.LBB9_34:
	s_and_b64 vcc, exec, s[0:1]
	s_cbranch_vccz .LBB9_50
; %bb.35:
	s_cmp_gt_i32 s2, 7
	s_cbranch_scc0 .LBB9_37
; %bb.36:
	global_load_dwordx4 v[2:5], v[0:1], off
	v_mov_b32_e32 v14, 0
	ds_read_b128 v[6:9], v14
	ds_read_b128 v[10:13], v14 offset:16
	s_mov_b32 s0, 8
	s_waitcnt vmcnt(0)
	v_mul_f32_e32 v2, s16, v2
	s_waitcnt lgkmcnt(1)
	v_mul_f32_e32 v2, v2, v6
	v_mul_f32_e32 v6, v2, v7
	;; [unrolled: 1-line block ×4, first 2 shown]
	s_waitcnt lgkmcnt(0)
	v_mul_f32_e32 v9, v2, v10
	v_mul_f32_e32 v10, v2, v11
	;; [unrolled: 1-line block ×4, first 2 shown]
	v_fma_f32 v13, s16, v3, -v6
	v_fma_f32 v15, s16, v4, -v7
	;; [unrolled: 1-line block ×3, first 2 shown]
	global_load_dwordx4 v[3:6], v[0:1], off offset:16
	ds_read2_b32 v[7:8], v14 offset0:9 offset1:10
	s_waitcnt vmcnt(0)
	v_fma_f32 v17, s16, v3, -v9
	v_fma_f32 v18, s16, v4, -v10
	;; [unrolled: 1-line block ×3, first 2 shown]
	ds_read2_b32 v[4:5], v14 offset0:11 offset1:12
	ds_read2_b32 v[9:10], v14 offset0:13 offset1:14
	s_waitcnt lgkmcnt(2)
	v_mul_f32_e32 v3, v13, v7
	v_fma_f32 v12, s16, v6, -v12
	v_fma_f32 v13, -v3, v8, v15
	s_waitcnt lgkmcnt(1)
	v_fma_f32 v15, -v3, v4, v16
	v_fma_f32 v16, -v3, v5, v17
	ds_read2_b64 v[4:7], v14 offset0:9 offset1:10
	ds_read_b32 v17, v14 offset:60
	s_waitcnt lgkmcnt(2)
	v_fma_f32 v18, -v3, v9, v18
	ds_read_b64 v[8:9], v14 offset:88
	v_fma_f32 v19, -v3, v10, v11
	s_waitcnt lgkmcnt(2)
	v_mul_f32_e32 v4, v13, v4
	v_fma_f32 v15, -v4, v5, v15
	v_fma_f32 v16, -v4, v6, v16
	ds_read2_b32 v[5:6], v14 offset0:27 offset1:28
	ds_read2_b32 v[10:11], v14 offset0:29 offset1:30
	v_fma_f32 v7, -v4, v7, v18
	s_waitcnt lgkmcnt(3)
	v_fma_f32 v17, -v3, v17, v12
	ds_read2_b32 v[12:13], v14 offset0:31 offset1:47
	s_waitcnt lgkmcnt(3)
	v_fma_f32 v8, -v4, v8, v19
	s_waitcnt lgkmcnt(2)
	v_mul_f32_e32 v5, v15, v5
	v_fma_f32 v17, -v4, v9, v17
	v_fma_f32 v15, -v5, v6, v16
	s_waitcnt lgkmcnt(1)
	v_fma_f32 v16, -v5, v10, v7
	v_fma_f32 v18, -v5, v11, v8
	ds_read_b128 v[6:9], v14 offset:144
	ds_read2_b32 v[10:11], v14 offset0:45 offset1:46
	global_store_dwordx4 v[0:1], v[2:5], off
	s_waitcnt lgkmcnt(2)
	v_fma_f32 v3, -v5, v12, v17
	ds_read_b64 v[4:5], v14 offset:216
	ds_read_b32 v12, v14 offset:252
	s_waitcnt lgkmcnt(3)
	v_mul_f32_e32 v2, v15, v6
	v_fma_f32 v6, -v2, v7, v16
	v_fma_f32 v7, -v2, v8, v18
	;; [unrolled: 1-line block ×3, first 2 shown]
	s_waitcnt lgkmcnt(2)
	v_mul_f32_e32 v3, v6, v10
	v_fma_f32 v6, -v3, v11, v7
	v_fma_f32 v7, -v3, v13, v8
	s_waitcnt lgkmcnt(1)
	v_mul_f32_e32 v4, v6, v4
	v_fma_f32 v5, -v4, v5, v7
	s_waitcnt lgkmcnt(0)
	v_mul_f32_e32 v5, v5, v12
	global_store_dwordx4 v[0:1], v[2:5], off offset:16
	s_cmp_lt_i32 s0, s17
	s_cbranch_scc1 .LBB9_38
	s_branch .LBB9_50
.LBB9_37:
	s_mov_b32 s0, 0
	s_cmp_lt_i32 s0, s17
	s_cbranch_scc0 .LBB9_50
.LBB9_38:
	s_or_b32 s1, s0, 3
	s_cmp_ge_u32 s1, s17
	s_cbranch_scc1 .LBB9_44
; %bb.39:
	s_lshl_b32 s3, s0, 2
	s_mov_b32 s1, 0
.LBB9_40:                               ; =>This Loop Header: Depth=1
                                        ;     Child Loop BB9_41 Depth 2
	s_lshl_b64 s[4:5], s[0:1], 2
	v_mov_b32_e32 v3, s5
	v_add_co_u32_e32 v2, vcc, s4, v0
	v_addc_co_u32_e32 v3, vcc, v1, v3, vcc
	global_load_dwordx4 v[8:11], v[2:3], off
	v_mov_b32_e32 v5, v1
	v_mov_b32_e32 v4, v0
	s_mov_b32 s2, s3
	s_cmp_eq_u32 s0, 0
	s_mov_b32 s4, s0
	s_waitcnt vmcnt(0)
	v_mul_f32_e32 v8, s16, v8
	v_mul_f32_e32 v9, s16, v9
	;; [unrolled: 1-line block ×4, first 2 shown]
	s_cbranch_scc1 .LBB9_42
.LBB9_41:                               ;   Parent Loop BB9_40 Depth=1
                                        ; =>  This Inner Loop Header: Depth=2
	global_load_dword v14, v[4:5], off
	v_mov_b32_e32 v10, s2
	ds_read_b128 v[10:13], v10
	s_add_i32 s4, s4, -1
	s_add_i32 s2, s2, 32
	v_add_co_u32_e32 v4, vcc, 4, v4
	v_addc_co_u32_e32 v5, vcc, 0, v5, vcc
	s_cmp_lg_u32 s4, 0
	s_waitcnt vmcnt(0) lgkmcnt(0)
	v_fma_f32 v8, -v14, v10, v8
	v_fma_f32 v9, -v14, v11, v9
	;; [unrolled: 1-line block ×4, first 2 shown]
	s_cbranch_scc1 .LBB9_41
.LBB9_42:                               ;   in Loop: Header=BB9_40 Depth=1
	s_lshl_b32 s2, s0, 2
	s_lshl_b32 s4, s0, 5
	s_add_i32 s2, s2, s4
	v_mov_b32_e32 v16, s2
	ds_read_b128 v[10:13], v16
	ds_read2_b32 v[4:5], v16 offset0:9 offset1:10
	ds_read_b32 v17, v16 offset:44
	ds_read_b64 v[14:15], v16 offset:72
	s_add_i32 s2, s0, 4
	s_waitcnt lgkmcnt(3)
	v_mul_f32_e32 v8, v8, v10
	v_fma_f32 v9, -v8, v11, v9
	s_waitcnt lgkmcnt(2)
	v_mul_f32_e32 v9, v9, v4
	v_fma_f32 v4, -v8, v12, v7
	v_fma_f32 v4, -v9, v5, v4
	ds_read_b32 v5, v16 offset:108
	s_waitcnt lgkmcnt(1)
	v_mul_f32_e32 v10, v4, v14
	v_fma_f32 v4, -v8, v13, v6
	v_fma_f32 v4, -v9, v17, v4
	;; [unrolled: 1-line block ×3, first 2 shown]
	s_add_i32 s0, s0, 7
	s_add_i32 s3, s3, 16
	s_waitcnt lgkmcnt(0)
	v_mul_f32_e32 v11, v4, v5
	s_cmp_lt_i32 s0, s17
	global_store_dwordx4 v[2:3], v[8:11], off
	s_cbranch_scc0 .LBB9_45
; %bb.43:                               ;   in Loop: Header=BB9_40 Depth=1
	s_mov_b32 s0, s2
	s_branch .LBB9_40
.LBB9_44:
	s_mov_b32 s2, s0
.LBB9_45:
	s_cmp_ge_i32 s2, s17
	s_cbranch_scc1 .LBB9_50
; %bb.46:
	s_lshl_b32 s0, s2, 2
	s_branch .LBB9_48
.LBB9_47:                               ;   in Loop: Header=BB9_48 Depth=1
	s_mul_i32 s1, s2, 36
	v_mov_b32_e32 v4, s1
	ds_read_b32 v4, v4
	s_add_i32 s2, s2, 1
	s_add_i32 s0, s0, 4
	s_cmp_ge_i32 s2, s17
	s_waitcnt lgkmcnt(0)
	v_mul_f32_e32 v4, v6, v4
	global_store_dword v[2:3], v4, off
	s_cbranch_scc1 .LBB9_50
.LBB9_48:                               ; =>This Loop Header: Depth=1
                                        ;     Child Loop BB9_49 Depth 2
	s_ashr_i32 s3, s2, 31
	s_lshl_b64 s[4:5], s[2:3], 2
	v_mov_b32_e32 v3, s5
	v_add_co_u32_e32 v2, vcc, s4, v0
	v_addc_co_u32_e32 v3, vcc, v1, v3, vcc
	global_load_dword v6, v[2:3], off
	v_mov_b32_e32 v5, v1
	v_mov_b32_e32 v4, v0
	s_mov_b32 s1, s0
	s_cmp_eq_u32 s2, 0
	s_mov_b32 s3, s2
	s_waitcnt vmcnt(0)
	v_mul_f32_e32 v6, s16, v6
	s_cbranch_scc1 .LBB9_47
.LBB9_49:                               ;   Parent Loop BB9_48 Depth=1
                                        ; =>  This Inner Loop Header: Depth=2
	global_load_dword v7, v[4:5], off
	v_mov_b32_e32 v8, s1
	ds_read_b32 v8, v8
	s_add_i32 s3, s3, -1
	s_add_i32 s1, s1, 32
	v_add_co_u32_e32 v4, vcc, 4, v4
	v_addc_co_u32_e32 v5, vcc, 0, v5, vcc
	s_cmp_lg_u32 s3, 0
	s_waitcnt vmcnt(0) lgkmcnt(0)
	v_fma_f32 v6, -v7, v8, v6
	s_cbranch_scc1 .LBB9_49
	s_branch .LBB9_47
.LBB9_50:
	s_endpgm
	.section	.rodata,"a",@progbits
	.p2align	6, 0x0
	.amdhsa_kernel _ZL30rocblas_trsm_small_left_deviceILi8ELi8ELb1EffPKfPfEv13rocblas_fill_18rocblas_operation_17rocblas_diagonal_iiT3_T4_lilT5_lili
		.amdhsa_group_segment_fixed_size 256
		.amdhsa_private_segment_fixed_size 0
		.amdhsa_kernarg_size 352
		.amdhsa_user_sgpr_count 6
		.amdhsa_user_sgpr_private_segment_buffer 1
		.amdhsa_user_sgpr_dispatch_ptr 0
		.amdhsa_user_sgpr_queue_ptr 0
		.amdhsa_user_sgpr_kernarg_segment_ptr 1
		.amdhsa_user_sgpr_dispatch_id 0
		.amdhsa_user_sgpr_flat_scratch_init 0
		.amdhsa_user_sgpr_private_segment_size 0
		.amdhsa_uses_dynamic_stack 0
		.amdhsa_system_sgpr_private_segment_wavefront_offset 0
		.amdhsa_system_sgpr_workgroup_id_x 1
		.amdhsa_system_sgpr_workgroup_id_y 0
		.amdhsa_system_sgpr_workgroup_id_z 1
		.amdhsa_system_sgpr_workgroup_info 0
		.amdhsa_system_vgpr_workitem_id 0
		.amdhsa_next_free_vgpr 24
		.amdhsa_next_free_sgpr 24
		.amdhsa_reserve_vcc 1
		.amdhsa_reserve_flat_scratch 0
		.amdhsa_float_round_mode_32 0
		.amdhsa_float_round_mode_16_64 0
		.amdhsa_float_denorm_mode_32 3
		.amdhsa_float_denorm_mode_16_64 3
		.amdhsa_dx10_clamp 1
		.amdhsa_ieee_mode 1
		.amdhsa_fp16_overflow 0
		.amdhsa_exception_fp_ieee_invalid_op 0
		.amdhsa_exception_fp_denorm_src 0
		.amdhsa_exception_fp_ieee_div_zero 0
		.amdhsa_exception_fp_ieee_overflow 0
		.amdhsa_exception_fp_ieee_underflow 0
		.amdhsa_exception_fp_ieee_inexact 0
		.amdhsa_exception_int_div_zero 0
	.end_amdhsa_kernel
	.section	.text._ZL30rocblas_trsm_small_left_deviceILi8ELi8ELb1EffPKfPfEv13rocblas_fill_18rocblas_operation_17rocblas_diagonal_iiT3_T4_lilT5_lili,"axG",@progbits,_ZL30rocblas_trsm_small_left_deviceILi8ELi8ELb1EffPKfPfEv13rocblas_fill_18rocblas_operation_17rocblas_diagonal_iiT3_T4_lilT5_lili,comdat
.Lfunc_end9:
	.size	_ZL30rocblas_trsm_small_left_deviceILi8ELi8ELb1EffPKfPfEv13rocblas_fill_18rocblas_operation_17rocblas_diagonal_iiT3_T4_lilT5_lili, .Lfunc_end9-_ZL30rocblas_trsm_small_left_deviceILi8ELi8ELb1EffPKfPfEv13rocblas_fill_18rocblas_operation_17rocblas_diagonal_iiT3_T4_lilT5_lili
                                        ; -- End function
	.set _ZL30rocblas_trsm_small_left_deviceILi8ELi8ELb1EffPKfPfEv13rocblas_fill_18rocblas_operation_17rocblas_diagonal_iiT3_T4_lilT5_lili.num_vgpr, 24
	.set _ZL30rocblas_trsm_small_left_deviceILi8ELi8ELb1EffPKfPfEv13rocblas_fill_18rocblas_operation_17rocblas_diagonal_iiT3_T4_lilT5_lili.num_agpr, 0
	.set _ZL30rocblas_trsm_small_left_deviceILi8ELi8ELb1EffPKfPfEv13rocblas_fill_18rocblas_operation_17rocblas_diagonal_iiT3_T4_lilT5_lili.numbered_sgpr, 24
	.set _ZL30rocblas_trsm_small_left_deviceILi8ELi8ELb1EffPKfPfEv13rocblas_fill_18rocblas_operation_17rocblas_diagonal_iiT3_T4_lilT5_lili.num_named_barrier, 0
	.set _ZL30rocblas_trsm_small_left_deviceILi8ELi8ELb1EffPKfPfEv13rocblas_fill_18rocblas_operation_17rocblas_diagonal_iiT3_T4_lilT5_lili.private_seg_size, 0
	.set _ZL30rocblas_trsm_small_left_deviceILi8ELi8ELb1EffPKfPfEv13rocblas_fill_18rocblas_operation_17rocblas_diagonal_iiT3_T4_lilT5_lili.uses_vcc, 1
	.set _ZL30rocblas_trsm_small_left_deviceILi8ELi8ELb1EffPKfPfEv13rocblas_fill_18rocblas_operation_17rocblas_diagonal_iiT3_T4_lilT5_lili.uses_flat_scratch, 0
	.set _ZL30rocblas_trsm_small_left_deviceILi8ELi8ELb1EffPKfPfEv13rocblas_fill_18rocblas_operation_17rocblas_diagonal_iiT3_T4_lilT5_lili.has_dyn_sized_stack, 0
	.set _ZL30rocblas_trsm_small_left_deviceILi8ELi8ELb1EffPKfPfEv13rocblas_fill_18rocblas_operation_17rocblas_diagonal_iiT3_T4_lilT5_lili.has_recursion, 0
	.set _ZL30rocblas_trsm_small_left_deviceILi8ELi8ELb1EffPKfPfEv13rocblas_fill_18rocblas_operation_17rocblas_diagonal_iiT3_T4_lilT5_lili.has_indirect_call, 0
	.section	.AMDGPU.csdata,"",@progbits
; Kernel info:
; codeLenInByte = 3524
; TotalNumSgprs: 28
; NumVgprs: 24
; ScratchSize: 0
; MemoryBound: 0
; FloatMode: 240
; IeeeMode: 1
; LDSByteSize: 256 bytes/workgroup (compile time only)
; SGPRBlocks: 3
; VGPRBlocks: 5
; NumSGPRsForWavesPerEU: 28
; NumVGPRsForWavesPerEU: 24
; Occupancy: 10
; WaveLimiterHint : 0
; COMPUTE_PGM_RSRC2:SCRATCH_EN: 0
; COMPUTE_PGM_RSRC2:USER_SGPR: 6
; COMPUTE_PGM_RSRC2:TRAP_HANDLER: 0
; COMPUTE_PGM_RSRC2:TGID_X_EN: 1
; COMPUTE_PGM_RSRC2:TGID_Y_EN: 0
; COMPUTE_PGM_RSRC2:TGID_Z_EN: 1
; COMPUTE_PGM_RSRC2:TIDIG_COMP_CNT: 0
	.section	.text._ZL31rocblas_trsm_small_right_deviceIffPKfPfLi8EEv13rocblas_fill_18rocblas_operation_17rocblas_diagonal_iiT0_T1_lilT2_lili,"axG",@progbits,_ZL31rocblas_trsm_small_right_deviceIffPKfPfLi8EEv13rocblas_fill_18rocblas_operation_17rocblas_diagonal_iiT0_T1_lilT2_lili,comdat
	.globl	_ZL31rocblas_trsm_small_right_deviceIffPKfPfLi8EEv13rocblas_fill_18rocblas_operation_17rocblas_diagonal_iiT0_T1_lilT2_lili ; -- Begin function _ZL31rocblas_trsm_small_right_deviceIffPKfPfLi8EEv13rocblas_fill_18rocblas_operation_17rocblas_diagonal_iiT0_T1_lilT2_lili
	.p2align	8
	.type	_ZL31rocblas_trsm_small_right_deviceIffPKfPfLi8EEv13rocblas_fill_18rocblas_operation_17rocblas_diagonal_iiT0_T1_lilT2_lili,@function
_ZL31rocblas_trsm_small_right_deviceIffPKfPfLi8EEv13rocblas_fill_18rocblas_operation_17rocblas_diagonal_iiT0_T1_lilT2_lili: ; @_ZL31rocblas_trsm_small_right_deviceIffPKfPfLi8EEv13rocblas_fill_18rocblas_operation_17rocblas_diagonal_iiT0_T1_lilT2_lili
; %bb.0:
	s_load_dwordx4 s[8:11], s[4:5], 0x0
	s_load_dwordx2 s[12:13], s[4:5], 0x10
	s_load_dwordx4 s[0:3], s[4:5], 0x30
	s_load_dwordx2 s[14:15], s[4:5], 0x40
	s_waitcnt lgkmcnt(0)
	s_min_i32 s18, s12, 8
	v_cmp_gt_i32_e32 vcc, s18, v0
	s_and_saveexec_b64 s[16:17], vcc
	s_cbranch_execz .LBB10_5
; %bb.1:
	s_load_dword s24, s[4:5], 0x28
	s_load_dwordx4 s[20:23], s[4:5], 0x18
	s_mul_i32 s1, s1, s7
	s_mul_hi_u32 s19, s0, s7
	s_add_i32 s1, s19, s1
	s_mul_i32 s0, s0, s7
	s_waitcnt lgkmcnt(0)
	s_ashr_i32 s25, s24, 31
	s_lshl_b64 s[0:1], s[0:1], 2
	s_add_u32 s19, s20, s0
	s_addc_u32 s20, s21, s1
	s_lshl_b64 s[0:1], s[22:23], 2
	s_add_u32 s0, s19, s0
	s_addc_u32 s1, s20, s1
	v_lshlrev_b32_e32 v3, 2, v0
	v_mov_b32_e32 v2, s1
	v_add_co_u32_e32 v1, vcc, s0, v3
	s_lshl_b64 s[0:1], s[24:25], 2
	v_addc_co_u32_e32 v2, vcc, 0, v2, vcc
	v_mov_b32_e32 v4, s1
	v_mov_b32_e32 v5, v3
	s_mov_b32 s1, s18
.LBB10_2:                               ; =>This Inner Loop Header: Depth=1
	global_load_dword v6, v[1:2], off
	v_add_co_u32_e32 v1, vcc, s0, v1
	s_add_i32 s1, s1, -1
	v_addc_co_u32_e32 v2, vcc, v2, v4, vcc
	s_cmp_eq_u32 s1, 0
	s_waitcnt vmcnt(0)
	ds_write_b32 v5, v6
	v_add_u32_e32 v5, 32, v5
	s_cbranch_scc0 .LBB10_2
; %bb.3:
	s_cmpk_eq_i32 s10, 0x84
	s_cbranch_scc0 .LBB10_5
; %bb.4:
	v_lshl_or_b32 v1, v0, 5, v3
	v_mov_b32_e32 v2, 1.0
	ds_write_b32 v1, v2
.LBB10_5:
	s_or_b64 exec, exec, s[16:17]
	s_load_dword s0, s[4:5], 0x60
	s_load_dwordx2 s[16:17], s[4:5], 0x50
	s_load_dword s10, s[4:5], 0x48
	s_waitcnt lgkmcnt(0)
	s_mul_i32 s1, s17, s7
	s_mul_hi_u32 s5, s16, s7
	s_mul_i32 s4, s16, s7
	s_add_i32 s5, s5, s1
	s_lshl_b64 s[4:5], s[4:5], 2
	s_add_u32 s1, s2, s4
	s_addc_u32 s4, s3, s5
	s_lshl_b64 s[2:3], s[14:15], 2
	s_add_u32 s2, s1, s2
	s_addc_u32 s3, s4, s3
	s_lshl_b32 s1, s6, 3
	s_add_i32 s0, s0, -1
	s_sub_i32 s1, s11, s1
	s_cmp_ge_u32 s6, s0
	s_cselect_b32 s4, s1, 8
	s_ashr_i32 s7, s6, 31
	s_lshl_b64 s[0:1], s[6:7], 5
	s_add_u32 s14, s2, s0
	s_addc_u32 s15, s3, s1
	v_cmp_gt_i32_e64 s[0:1], s4, v0
	s_and_saveexec_b64 s[2:3], s[0:1]
	s_cbranch_execz .LBB10_9
; %bb.6:
	s_cmp_lt_i32 s12, 1
	s_cbranch_scc1 .LBB10_9
; %bb.7:
	s_ashr_i32 s11, s10, 31
	v_lshlrev_b32_e32 v3, 2, v0
	v_mov_b32_e32 v2, s15
	v_add_co_u32_e32 v1, vcc, s14, v3
	s_lshl_b64 s[4:5], s[10:11], 2
	v_addc_co_u32_e32 v2, vcc, 0, v2, vcc
	v_or_b32_e32 v3, 0x100, v3
	v_mov_b32_e32 v4, s5
	s_mov_b32 s5, s12
.LBB10_8:                               ; =>This Inner Loop Header: Depth=1
	global_load_dword v5, v[1:2], off
	s_add_i32 s5, s5, -1
	v_add_co_u32_e32 v1, vcc, s4, v1
	v_addc_co_u32_e32 v2, vcc, v2, v4, vcc
	s_cmp_lg_u32 s5, 0
	s_waitcnt vmcnt(0)
	v_mul_f32_e32 v5, s13, v5
	ds_write_b32 v3, v5
	v_add_u32_e32 v3, 32, v3
	s_cbranch_scc1 .LBB10_8
.LBB10_9:
	s_or_b64 exec, exec, s[2:3]
	s_cmpk_eq_i32 s9, 0x6f
	s_cselect_b64 s[2:3], -1, 0
	s_cmpk_lg_i32 s8, 0x79
	s_cselect_b64 s[4:5], -1, 0
	s_cmpk_eq_i32 s8, 0x79
	s_cselect_b64 s[6:7], -1, 0
	s_and_b64 s[6:7], s[6:7], s[2:3]
	s_andn2_b64 vcc, exec, s[6:7]
	s_mov_b64 s[6:7], -1
	s_waitcnt lgkmcnt(0)
	; wave barrier
	s_cbranch_vccz .LBB10_66
; %bb.10:
	s_cmpk_lg_i32 s8, 0x7a
	s_cselect_b64 s[16:17], -1, 0
	s_xor_b64 s[2:3], s[2:3], -1
	s_add_i32 s8, s18, -1
	s_or_b64 s[16:17], s[16:17], s[2:3]
	v_mov_b32_e32 v1, 0x100
	s_cmp_gt_i32 s12, 3
	v_lshl_or_b32 v3, v0, 2, v1
	s_cselect_b64 s[2:3], -1, 0
	s_and_b64 vcc, exec, s[16:17]
	s_cbranch_vccz .LBB10_45
; %bb.11:
	s_andn2_b64 vcc, exec, s[4:5]
	s_mov_b64 s[4:5], -1
	s_cbranch_vccnz .LBB10_24
; %bb.12:
	s_andn2_b64 vcc, exec, s[2:3]
	s_mov_b32 s6, 0
	s_cbranch_vccnz .LBB10_18
; %bb.13:
	v_mov_b32_e32 v1, 0x100
	v_lshl_or_b32 v4, v0, 2, v1
	s_mov_b32 s4, 0
	s_mov_b32 s5, 0
.LBB10_14:                              ; =>This Loop Header: Depth=1
                                        ;     Child Loop BB10_15 Depth 2
	s_lshl_b32 s7, s5, 5
	s_or_b32 s6, s5, 1
	v_add_u32_e32 v5, s7, v3
	v_lshl_add_u32 v7, s6, 5, v3
	s_or_b32 s9, s7, 0x60
	ds_read2_b32 v[1:2], v5 offset1:16
	v_add_u32_e32 v6, s9, v3
	ds_read_b32 v10, v7
	ds_read_b32 v8, v6
	s_cmp_eq_u32 s5, 0
	v_mov_b32_e32 v9, v4
	s_mov_b32 s9, s4
	s_mov_b32 s11, s5
	s_cbranch_scc1 .LBB10_16
.LBB10_15:                              ;   Parent Loop BB10_14 Depth=1
                                        ; =>  This Inner Loop Header: Depth=2
	v_mov_b32_e32 v11, s9
	ds_read_b32 v15, v9
	ds_read_b128 v[11:14], v11
	s_add_i32 s11, s11, -1
	s_add_i32 s9, s9, 32
	v_add_u32_e32 v9, 32, v9
	s_cmp_eq_u32 s11, 0
	s_waitcnt lgkmcnt(0)
	v_fma_f32 v1, -v15, v11, v1
	v_fma_f32 v10, -v15, v12, v10
	;; [unrolled: 1-line block ×4, first 2 shown]
	s_cbranch_scc0 .LBB10_15
.LBB10_16:                              ;   in Loop: Header=BB10_14 Depth=1
	s_lshl_b32 s9, s5, 2
	s_add_i32 s7, s9, s7
	v_mov_b32_e32 v17, s7
	ds_read_b128 v[11:14], v17
	ds_read2_b32 v[15:16], v17 offset0:9 offset1:10
	s_lshl_b32 s6, s6, 2
	s_add_i32 s7, s7, 36
	s_sub_i32 s6, s7, s6
	s_waitcnt lgkmcnt(1)
	v_div_scale_f32 v18, s[16:17], v11, v11, v1
	v_div_scale_f32 v19, vcc, v1, v11, v1
	s_add_i32 s6, s6, s9
	s_add_i32 s4, s4, 16
	v_add_u32_e32 v9, 64, v5
	v_rcp_f32_e32 v20, v18
	v_fma_f32 v21, -v18, v20, 1.0
	v_fmac_f32_e32 v20, v21, v20
	v_mul_f32_e32 v21, v19, v20
	v_fma_f32 v22, -v18, v21, v19
	v_fmac_f32_e32 v21, v22, v20
	v_fma_f32 v18, -v18, v21, v19
	v_div_fmas_f32 v18, v18, v20, v21
	v_div_fixup_f32 v1, v18, v11, v1
	v_fma_f32 v12, -v1, v12, v10
	s_waitcnt lgkmcnt(0)
	v_div_scale_f32 v10, s[16:17], v15, v15, v12
	v_div_scale_f32 v11, vcc, v12, v15, v12
	v_fma_f32 v2, -v1, v13, v2
	v_fma_f32 v8, -v1, v14, v8
	v_rcp_f32_e32 v18, v10
	v_fma_f32 v19, -v10, v18, 1.0
	v_fmac_f32_e32 v18, v19, v18
	v_mul_f32_e32 v19, v11, v18
	v_fma_f32 v20, -v10, v19, v11
	v_fmac_f32_e32 v19, v20, v18
	v_fma_f32 v10, -v10, v19, v11
	v_div_fmas_f32 v18, v10, v18, v19
	ds_read_b64 v[10:11], v17 offset:72
	ds_read_b32 v17, v17 offset:108
	v_div_fixup_f32 v12, v18, v15, v12
	v_fma_f32 v2, -v12, v16, v2
	s_waitcnt lgkmcnt(1)
	v_div_scale_f32 v13, s[16:17], v10, v10, v2
	v_div_scale_f32 v15, vcc, v2, v10, v2
	v_rcp_f32_e32 v16, v13
	v_fma_f32 v18, -v13, v16, 1.0
	v_fmac_f32_e32 v16, v18, v16
	v_mul_f32_e32 v18, v15, v16
	v_fma_f32 v19, -v13, v18, v15
	v_fmac_f32_e32 v18, v19, v16
	v_fma_f32 v13, -v13, v18, v15
	v_div_fmas_f32 v13, v13, v16, v18
	v_mov_b32_e32 v15, s6
	ds_read_b32 v15, v15 offset:12
	s_waitcnt lgkmcnt(0)
	v_fma_f32 v8, -v12, v15, v8
	v_div_fixup_f32 v2, v13, v10, v2
	v_fma_f32 v8, -v2, v11, v8
	v_div_scale_f32 v10, s[6:7], v17, v17, v8
	v_div_scale_f32 v11, vcc, v8, v17, v8
	s_add_i32 s6, s5, 4
	s_add_i32 s5, s5, 7
	ds_write_b32 v5, v1
	ds_write_b32 v7, v12
	;; [unrolled: 1-line block ×3, first 2 shown]
	s_cmp_ge_i32 s5, s18
	v_rcp_f32_e32 v13, v10
	v_fma_f32 v14, -v10, v13, 1.0
	v_fmac_f32_e32 v13, v14, v13
	v_mul_f32_e32 v14, v11, v13
	v_fma_f32 v15, -v10, v14, v11
	v_fmac_f32_e32 v14, v15, v13
	v_fma_f32 v10, -v10, v14, v11
	v_div_fmas_f32 v10, v10, v13, v14
	v_div_fixup_f32 v1, v10, v17, v8
	ds_write_b32 v6, v1
	s_cbranch_scc1 .LBB10_18
; %bb.17:                               ;   in Loop: Header=BB10_14 Depth=1
	s_mov_b32 s5, s6
	s_branch .LBB10_14
.LBB10_18:
	s_cmp_ge_i32 s6, s18
	s_cbranch_scc1 .LBB10_23
; %bb.19:
	v_mov_b32_e32 v1, 0x100
	s_lshl_b32 s4, s6, 2
	v_lshl_or_b32 v1, v0, 2, v1
	s_branch .LBB10_21
.LBB10_20:                              ;   in Loop: Header=BB10_21 Depth=1
	s_lshl_b32 s7, s6, 2
	s_add_i32 s5, s7, s5
	v_mov_b32_e32 v5, s5
	ds_read_b32 v5, v5
	s_add_i32 s6, s6, 1
	s_add_i32 s4, s4, 4
	s_cmp_ge_i32 s6, s18
	s_waitcnt lgkmcnt(0)
	v_div_scale_f32 v6, s[16:17], v5, v5, v4
	v_div_scale_f32 v7, vcc, v4, v5, v4
	v_rcp_f32_e32 v8, v6
	v_fma_f32 v9, -v6, v8, 1.0
	v_fmac_f32_e32 v8, v9, v8
	v_mul_f32_e32 v9, v7, v8
	v_fma_f32 v10, -v6, v9, v7
	v_fmac_f32_e32 v9, v10, v8
	v_fma_f32 v6, -v6, v9, v7
	v_div_fmas_f32 v6, v6, v8, v9
	v_div_fixup_f32 v4, v6, v5, v4
	ds_write_b32 v2, v4
	s_cbranch_scc1 .LBB10_23
.LBB10_21:                              ; =>This Loop Header: Depth=1
                                        ;     Child Loop BB10_22 Depth 2
	s_lshl_b32 s5, s6, 5
	v_add_u32_e32 v2, s5, v3
	ds_read_b32 v4, v2
	s_cmp_eq_u32 s6, 0
	v_mov_b32_e32 v5, v1
	s_mov_b32 s7, s4
	s_mov_b32 s9, s6
	s_cbranch_scc1 .LBB10_20
.LBB10_22:                              ;   Parent Loop BB10_21 Depth=1
                                        ; =>  This Inner Loop Header: Depth=2
	v_mov_b32_e32 v7, s7
	ds_read_b32 v6, v5
	ds_read_b32 v7, v7
	s_add_i32 s9, s9, -1
	s_add_i32 s7, s7, 32
	v_add_u32_e32 v5, 32, v5
	s_cmp_eq_u32 s9, 0
	s_waitcnt lgkmcnt(0)
	v_fma_f32 v4, -v6, v7, v4
	s_cbranch_scc0 .LBB10_22
	s_branch .LBB10_20
.LBB10_23:
	s_mov_b64 s[4:5], 0
.LBB10_24:
	s_and_b64 vcc, exec, s[4:5]
	s_cbranch_vccz .LBB10_44
; %bb.25:
	s_andn2_b64 vcc, exec, s[2:3]
	s_mov_b32 s6, s8
	s_cbranch_vccnz .LBB10_31
; %bb.26:
	v_lshlrev_b32_e32 v1, 2, v0
	s_mul_i32 s4, s18, 36
	v_lshl_or_b32 v1, s18, 5, v1
	s_sub_i32 s4, s4, 48
	v_add_u32_e32 v1, 0xe0, v1
	s_mov_b32 s5, s8
.LBB10_27:                              ; =>This Loop Header: Depth=1
                                        ;     Child Loop BB10_28 Depth 2
	s_add_i32 s11, s5, -3
	v_lshl_add_u32 v2, s5, 5, v3
	s_add_i32 s9, s5, -1
	s_add_i32 s6, s5, -2
	s_lshl_b32 s7, s11, 5
	v_lshl_add_u32 v4, s9, 5, v3
	v_lshl_add_u32 v5, s6, 5, v3
	v_add_u32_e32 v6, s7, v3
	ds_read_b32 v10, v2
	ds_read_b32 v9, v4
	;; [unrolled: 1-line block ×4, first 2 shown]
	s_cmp_le_i32 s8, s5
	v_mov_b32_e32 v11, v1
	s_mov_b32 s13, s4
	s_mov_b32 s16, s8
	s_cbranch_scc1 .LBB10_29
.LBB10_28:                              ;   Parent Loop BB10_27 Depth=1
                                        ; =>  This Inner Loop Header: Depth=2
	v_mov_b32_e32 v14, s13
	ds_read_b32 v16, v11
	ds_read2_b32 v[12:13], v14 offset0:2 offset1:3
	ds_read2_b32 v[14:15], v14 offset1:1
	s_add_i32 s16, s16, -1
	s_sub_i32 s13, s13, 32
	v_subrev_u32_e32 v11, 32, v11
	s_cmp_le_i32 s16, s5
	s_waitcnt lgkmcnt(1)
	v_fma_f32 v10, -v16, v13, v10
	v_fma_f32 v9, -v16, v12, v9
	s_waitcnt lgkmcnt(0)
	v_fma_f32 v8, -v16, v15, v8
	v_fma_f32 v7, -v16, v14, v7
	s_cbranch_scc0 .LBB10_28
.LBB10_29:                              ;   in Loop: Header=BB10_27 Depth=1
	s_lshl_b32 s13, s5, 2
	s_lshl_b32 s16, s9, 5
	s_add_i32 s16, s13, s16
	s_lshl_b32 s17, s5, 5
	s_add_i32 s16, s16, -4
	s_lshl_b32 s9, s9, 2
	s_add_i32 s17, s13, s17
	s_sub_i32 s9, s16, s9
	s_lshl_b32 s11, s11, 2
	s_add_i32 s19, s17, -4
	s_add_i32 s17, s17, -12
	s_add_i32 s9, s9, s11
	v_mov_b32_e32 v11, s19
	v_mov_b32_e32 v13, s16
	;; [unrolled: 1-line block ×4, first 2 shown]
	ds_read2_b32 v[11:12], v11 offset1:1
	ds_read_b32 v17, v13
	ds_read2_b32 v[13:14], v14 offset1:1
	ds_read2_b32 v[15:16], v15 offset1:1
	s_lshl_b32 s9, s6, 5
	s_waitcnt lgkmcnt(3)
	v_div_scale_f32 v18, s[16:17], v12, v12, v10
	v_div_scale_f32 v19, vcc, v10, v12, v10
	s_lshl_b32 s6, s6, 2
	s_add_i32 s9, s13, s9
	s_sub_i32 s6, s9, s6
	s_add_i32 s7, s13, s7
	s_add_i32 s6, s6, s11
	s_add_i32 s7, s7, -12
	s_add_i32 s6, s6, -8
	;; [unrolled: 1-line block ×3, first 2 shown]
	v_rcp_f32_e32 v20, v18
	v_fma_f32 v21, -v18, v20, 1.0
	v_fmac_f32_e32 v20, v21, v20
	v_mul_f32_e32 v21, v19, v20
	v_fma_f32 v22, -v18, v21, v19
	v_fmac_f32_e32 v21, v22, v20
	v_fma_f32 v18, -v18, v21, v19
	v_div_fmas_f32 v18, v18, v20, v21
	v_div_fixup_f32 v12, v18, v12, v10
	v_fma_f32 v11, -v12, v11, v9
	s_waitcnt lgkmcnt(2)
	v_div_scale_f32 v9, s[16:17], v17, v17, v11
	v_div_scale_f32 v10, vcc, v11, v17, v11
	s_waitcnt lgkmcnt(1)
	v_fma_f32 v8, -v12, v14, v8
	v_fma_f32 v7, -v12, v13, v7
	v_rcp_f32_e32 v18, v9
	v_fma_f32 v19, -v9, v18, 1.0
	v_fmac_f32_e32 v18, v19, v18
	v_mul_f32_e32 v19, v10, v18
	v_fma_f32 v20, -v9, v19, v10
	v_fmac_f32_e32 v19, v20, v18
	v_fma_f32 v9, -v9, v19, v10
	v_div_fmas_f32 v18, v9, v18, v19
	v_mov_b32_e32 v19, s7
	v_mov_b32_e32 v9, s6
	ds_read2_b32 v[9:10], v9 offset1:1
	ds_read_b32 v19, v19
	v_div_fixup_f32 v11, v18, v17, v11
	s_waitcnt lgkmcnt(2)
	v_fma_f32 v8, -v11, v16, v8
	s_waitcnt lgkmcnt(1)
	v_div_scale_f32 v14, s[6:7], v10, v10, v8
	v_div_scale_f32 v16, vcc, v8, v10, v8
	v_fma_f32 v7, -v11, v15, v7
	v_rcp_f32_e32 v17, v14
	v_fma_f32 v18, -v14, v17, 1.0
	v_fmac_f32_e32 v17, v18, v17
	v_mul_f32_e32 v18, v16, v17
	v_fma_f32 v20, -v14, v18, v16
	v_fmac_f32_e32 v18, v20, v17
	v_fma_f32 v14, -v14, v18, v16
	v_div_fmas_f32 v14, v14, v17, v18
	v_div_fixup_f32 v8, v14, v10, v8
	v_fma_f32 v7, -v8, v9, v7
	s_waitcnt lgkmcnt(0)
	v_div_scale_f32 v9, s[6:7], v19, v19, v7
	v_div_scale_f32 v10, vcc, v7, v19, v7
	s_add_i32 s6, s5, -4
	ds_write_b32 v2, v12
	ds_write_b32 v4, v11
	;; [unrolled: 1-line block ×3, first 2 shown]
	s_cmp_lt_i32 s5, 7
	v_rcp_f32_e32 v13, v9
	v_fma_f32 v14, -v9, v13, 1.0
	v_fmac_f32_e32 v13, v14, v13
	v_mul_f32_e32 v14, v10, v13
	v_fma_f32 v15, -v9, v14, v10
	v_fmac_f32_e32 v14, v15, v13
	v_fma_f32 v9, -v9, v14, v10
	v_div_fmas_f32 v9, v9, v13, v14
	v_div_fixup_f32 v2, v9, v19, v7
	ds_write_b32 v6, v2
	s_cbranch_scc1 .LBB10_31
; %bb.30:                               ;   in Loop: Header=BB10_27 Depth=1
	s_mov_b32 s5, s6
	s_branch .LBB10_27
.LBB10_31:
	s_cmp_lt_i32 s6, 0
	s_cbranch_scc1 .LBB10_44
; %bb.32:
	s_bitcmp1_b32 s6, 0
	s_cselect_b64 s[4:5], -1, 0
	s_and_b64 vcc, exec, s[4:5]
	s_mov_b32 s4, s6
	s_cbranch_vccnz .LBB10_37
; %bb.33:
	s_lshl_b32 s4, s6, 5
	v_add_u32_e32 v1, s4, v3
	ds_read_b32 v2, v1
	s_cmp_le_i32 s8, s6
	s_cbranch_scc1 .LBB10_36
; %bb.34:
	s_lshl_b32 s7, s18, 5
	s_lshl_b32 s5, s6, 2
	s_add_i32 s5, s7, s5
	v_lshl_or_b32 v4, v0, 2, s7
	s_sub_i32 s5, s5, 32
	v_add_u32_e32 v4, 0xe0, v4
	s_mov_b32 s7, s8
.LBB10_35:                              ; =>This Inner Loop Header: Depth=1
	v_mov_b32_e32 v6, s5
	ds_read_b32 v5, v4
	ds_read_b32 v6, v6
	s_add_i32 s7, s7, -1
	s_sub_i32 s5, s5, 32
	v_subrev_u32_e32 v4, 32, v4
	s_cmp_gt_u32 s7, s6
	s_waitcnt lgkmcnt(0)
	v_fma_f32 v2, -v5, v6, v2
	s_cbranch_scc1 .LBB10_35
.LBB10_36:
	s_lshl_b32 s5, s6, 2
	s_add_i32 s4, s5, s4
	v_mov_b32_e32 v4, s4
	ds_read_b32 v4, v4
	s_waitcnt lgkmcnt(0)
	v_div_scale_f32 v5, s[4:5], v4, v4, v2
	v_div_scale_f32 v6, vcc, v2, v4, v2
	s_add_i32 s4, s6, -1
	v_rcp_f32_e32 v7, v5
	v_fma_f32 v8, -v5, v7, 1.0
	v_fmac_f32_e32 v7, v8, v7
	v_mul_f32_e32 v8, v6, v7
	v_fma_f32 v9, -v5, v8, v6
	v_fmac_f32_e32 v8, v9, v7
	v_fma_f32 v5, -v5, v8, v6
	v_div_fmas_f32 v5, v5, v7, v8
	v_div_fixup_f32 v2, v5, v4, v2
	ds_write_b32 v1, v2
.LBB10_37:
	s_cmp_eq_u32 s6, 0
	s_cbranch_scc1 .LBB10_44
; %bb.38:
	s_lshl_b32 s6, s18, 5
	s_lshl_b32 s5, s4, 2
	s_add_i32 s7, s6, s5
	v_lshl_or_b32 v1, v0, 2, s6
	s_sub_i32 s5, s7, 32
	v_add_u32_e32 v1, 0xe0, v1
	s_sub_i32 s6, s7, 36
	s_branch .LBB10_40
.LBB10_39:                              ;   in Loop: Header=BB10_40 Depth=1
	s_add_i32 s9, s9, s11
	s_add_i32 s9, s9, -4
	v_mov_b32_e32 v4, s9
	ds_read_b32 v4, v4
	s_add_i32 s4, s4, -2
	s_add_i32 s5, s5, -8
	;; [unrolled: 1-line block ×3, first 2 shown]
	s_cmp_eq_u32 s7, 0
	s_waitcnt lgkmcnt(0)
	v_div_scale_f32 v6, s[16:17], v4, v4, v5
	v_div_scale_f32 v7, vcc, v5, v4, v5
	v_rcp_f32_e32 v8, v6
	v_fma_f32 v9, -v6, v8, 1.0
	v_fmac_f32_e32 v8, v9, v8
	v_mul_f32_e32 v9, v7, v8
	v_fma_f32 v10, -v6, v9, v7
	v_fmac_f32_e32 v9, v10, v8
	v_fma_f32 v6, -v6, v9, v7
	v_div_fmas_f32 v6, v6, v8, v9
	v_div_fixup_f32 v4, v6, v4, v5
	ds_write_b32 v2, v4
	s_cbranch_scc1 .LBB10_44
.LBB10_40:                              ; =>This Loop Header: Depth=1
                                        ;     Child Loop BB10_41 Depth 2
                                        ;     Child Loop BB10_43 Depth 2
	s_lshl_b32 s7, s4, 5
	v_add_u32_e32 v4, s7, v3
	ds_read_b32 v6, v4
	s_cmp_le_i32 s8, s4
	v_mov_b32_e32 v2, v1
	s_mov_b32 s9, s5
	s_mov_b32 s11, s8
	s_cbranch_scc1 .LBB10_42
.LBB10_41:                              ;   Parent Loop BB10_40 Depth=1
                                        ; =>  This Inner Loop Header: Depth=2
	v_mov_b32_e32 v7, s9
	ds_read_b32 v5, v2
	ds_read_b32 v7, v7
	s_add_i32 s11, s11, -1
	s_sub_i32 s9, s9, 32
	v_subrev_u32_e32 v2, 32, v2
	s_cmp_le_u32 s11, s4
	s_waitcnt lgkmcnt(0)
	v_fma_f32 v6, -v5, v7, v6
	s_cbranch_scc0 .LBB10_41
.LBB10_42:                              ;   in Loop: Header=BB10_40 Depth=1
	s_lshl_b32 s9, s4, 2
	s_add_i32 s7, s9, s7
	v_mov_b32_e32 v2, s7
	ds_read_b32 v8, v2
	s_add_i32 s7, s4, -1
	s_lshl_b32 s11, s7, 5
	v_add_u32_e32 v2, s11, v3
	ds_read_b32 v5, v2
	s_waitcnt lgkmcnt(1)
	v_div_scale_f32 v7, s[16:17], v8, v8, v6
	v_div_scale_f32 v9, vcc, v6, v8, v6
	s_mov_b32 s13, s6
	s_cmp_le_i32 s18, s4
	s_mov_b32 s16, s8
	v_rcp_f32_e32 v10, v7
	v_fma_f32 v11, -v7, v10, 1.0
	v_fmac_f32_e32 v10, v11, v10
	v_mul_f32_e32 v11, v9, v10
	v_fma_f32 v12, -v7, v11, v9
	v_fmac_f32_e32 v11, v12, v10
	v_fma_f32 v7, -v7, v11, v9
	v_div_fmas_f32 v9, v7, v10, v11
	v_mov_b32_e32 v7, v1
	v_div_fixup_f32 v6, v9, v8, v6
	ds_write_b32 v4, v6
	s_cbranch_scc1 .LBB10_39
.LBB10_43:                              ;   Parent Loop BB10_40 Depth=1
                                        ; =>  This Inner Loop Header: Depth=2
	v_mov_b32_e32 v6, s13
	ds_read_b32 v4, v7
	ds_read_b32 v6, v6
	s_add_i32 s16, s16, -1
	s_sub_i32 s13, s13, 32
	v_subrev_u32_e32 v7, 32, v7
	s_cmp_gt_u32 s16, s7
	s_waitcnt lgkmcnt(0)
	v_fma_f32 v5, -v4, v6, v5
	s_cbranch_scc1 .LBB10_43
	s_branch .LBB10_39
.LBB10_44:
	s_mov_b64 s[6:7], 0
.LBB10_45:
	s_andn2_b64 vcc, exec, s[6:7]
	s_cbranch_vccnz .LBB10_65
; %bb.46:
	s_andn2_b64 vcc, exec, s[2:3]
	s_mov_b32 s4, s8
	s_cbranch_vccnz .LBB10_52
; %bb.47:
	v_lshlrev_b32_e32 v1, 2, v0
	v_lshl_or_b32 v1, s18, 5, v1
	s_mul_i32 s2, s18, 36
	v_add_u32_e32 v1, 0xe0, v1
	s_addk_i32 s2, 0xff7c
	s_mov_b32 s3, s8
.LBB10_48:                              ; =>This Loop Header: Depth=1
                                        ;     Child Loop BB10_49 Depth 2
	v_lshl_add_u32 v2, s3, 5, v3
	s_add_i32 s7, s3, -1
	s_add_i32 s5, s3, -2
	;; [unrolled: 1-line block ×3, first 2 shown]
	v_lshl_add_u32 v4, s7, 5, v3
	v_lshl_add_u32 v5, s5, 5, v3
	;; [unrolled: 1-line block ×3, first 2 shown]
	ds_read_b32 v10, v2
	ds_read_b32 v9, v4
	;; [unrolled: 1-line block ×4, first 2 shown]
	s_cmp_le_i32 s8, s3
	s_mov_b32 s6, s2
	v_mov_b32_e32 v11, v1
	s_mov_b32 s9, s8
	s_cbranch_scc1 .LBB10_50
.LBB10_49:                              ;   Parent Loop BB10_48 Depth=1
                                        ; =>  This Inner Loop Header: Depth=2
	v_mov_b32_e32 v14, s6
	ds_read_b32 v16, v11
	ds_read2_b32 v[12:13], v14 offset0:16 offset1:24
	ds_read2_b32 v[14:15], v14 offset1:8
	s_add_i32 s9, s9, -1
	s_add_i32 s6, s6, -4
	v_subrev_u32_e32 v11, 32, v11
	s_cmp_le_i32 s9, s3
	s_waitcnt lgkmcnt(1)
	v_fma_f32 v10, -v16, v13, v10
	v_fma_f32 v9, -v16, v12, v9
	s_waitcnt lgkmcnt(0)
	v_fma_f32 v8, -v16, v15, v8
	v_fma_f32 v7, -v16, v14, v7
	s_cbranch_scc0 .LBB10_49
.LBB10_50:                              ;   in Loop: Header=BB10_48 Depth=1
	s_lshl_b32 s11, s7, 3
	s_lshl_b32 s11, s11, 2
	;; [unrolled: 1-line block ×4, first 2 shown]
	s_add_i32 s7, s11, s7
	v_mov_b32_e32 v12, s7
	s_lshl_b32 s7, s9, 2
	s_lshl_b32 s9, s3, 2
	;; [unrolled: 1-line block ×3, first 2 shown]
	s_mul_i32 s13, s3, 36
	s_add_i32 s11, s7, s9
	s_add_i32 s5, s7, s5
	v_mov_b32_e32 v11, s13
	v_mov_b32_e32 v13, s11
	;; [unrolled: 1-line block ×3, first 2 shown]
	ds_read_b32 v15, v11
	ds_read2_b32 v[11:12], v12 offset1:1
	ds_read_b32 v16, v13
	ds_read2_b32 v[13:14], v14 offset1:1
	s_lshl_b32 s6, s4, 3
	s_waitcnt lgkmcnt(3)
	v_div_scale_f32 v17, s[16:17], v15, v15, v10
	v_div_scale_f32 v18, vcc, v10, v15, v10
	s_lshl_b32 s5, s6, 2
	s_add_i32 s6, s5, s9
	s_add_i32 s6, s6, -4
	s_lshl_b32 s4, s4, 2
	s_add_i32 s4, s5, s4
	s_addk_i32 s2, 0xff80
	v_rcp_f32_e32 v19, v17
	v_fma_f32 v20, -v17, v19, 1.0
	v_fmac_f32_e32 v19, v20, v19
	v_mul_f32_e32 v20, v18, v19
	v_fma_f32 v21, -v17, v20, v18
	v_fmac_f32_e32 v20, v21, v19
	v_fma_f32 v17, -v17, v20, v18
	v_div_fmas_f32 v17, v17, v19, v20
	v_div_fixup_f32 v15, v17, v15, v10
	s_waitcnt lgkmcnt(2)
	v_fma_f32 v9, -v15, v12, v9
	v_div_scale_f32 v10, s[16:17], v11, v11, v9
	v_div_scale_f32 v12, vcc, v9, v11, v9
	s_waitcnt lgkmcnt(1)
	v_fma_f32 v8, -v15, v16, v8
	v_rcp_f32_e32 v17, v10
	v_fma_f32 v18, -v10, v17, 1.0
	v_fmac_f32_e32 v17, v18, v17
	v_mul_f32_e32 v18, v12, v17
	v_fma_f32 v19, -v10, v18, v12
	v_fmac_f32_e32 v18, v19, v17
	v_fma_f32 v10, -v10, v18, v12
	v_div_fmas_f32 v10, v10, v17, v18
	v_div_fixup_f32 v12, v10, v11, v9
	s_waitcnt lgkmcnt(0)
	v_fma_f32 v14, -v12, v14, v8
	v_div_scale_f32 v8, s[16:17], v13, v13, v14
	v_div_scale_f32 v9, vcc, v14, v13, v14
	v_rcp_f32_e32 v10, v8
	v_fma_f32 v11, -v8, v10, 1.0
	v_fmac_f32_e32 v10, v11, v10
	v_mul_f32_e32 v11, v9, v10
	v_fma_f32 v16, -v8, v11, v9
	v_fmac_f32_e32 v11, v16, v10
	v_fma_f32 v8, -v8, v11, v9
	v_div_fmas_f32 v16, v8, v10, v11
	v_mov_b32_e32 v8, s6
	ds_read2_b32 v[8:9], v8 offset1:1
	v_mov_b32_e32 v10, s4
	ds_read2_b32 v[10:11], v10 offset1:1
	s_waitcnt lgkmcnt(1)
	v_fma_f32 v7, -v15, v9, v7
	v_fma_f32 v7, -v12, v8, v7
	v_div_fixup_f32 v8, v16, v13, v14
	s_waitcnt lgkmcnt(0)
	v_fma_f32 v7, -v8, v11, v7
	v_div_scale_f32 v9, s[4:5], v10, v10, v7
	v_div_scale_f32 v11, vcc, v7, v10, v7
	s_add_i32 s4, s3, -4
	ds_write_b32 v2, v15
	ds_write_b32 v4, v12
	;; [unrolled: 1-line block ×3, first 2 shown]
	s_cmp_lt_i32 s3, 7
	v_rcp_f32_e32 v13, v9
	v_fma_f32 v14, -v9, v13, 1.0
	v_fmac_f32_e32 v13, v14, v13
	v_mul_f32_e32 v14, v11, v13
	v_fma_f32 v16, -v9, v14, v11
	v_fmac_f32_e32 v14, v16, v13
	v_fma_f32 v9, -v9, v14, v11
	v_div_fmas_f32 v9, v9, v13, v14
	v_div_fixup_f32 v2, v9, v10, v7
	ds_write_b32 v6, v2
	s_cbranch_scc1 .LBB10_52
; %bb.51:                               ;   in Loop: Header=BB10_48 Depth=1
	s_mov_b32 s3, s4
	s_branch .LBB10_48
.LBB10_52:
	s_cmp_lt_i32 s4, 0
	s_cbranch_scc1 .LBB10_65
; %bb.53:
	s_bitcmp1_b32 s4, 0
	s_cselect_b64 s[2:3], -1, 0
	s_and_b64 vcc, exec, s[2:3]
	s_mov_b32 s2, s4
	s_cbranch_vccnz .LBB10_58
; %bb.54:
	v_lshl_add_u32 v1, s4, 5, v3
	ds_read_b32 v2, v1
	s_cmp_le_i32 s8, s4
	s_cbranch_scc1 .LBB10_57
; %bb.55:
	s_lshl_b32 s2, s4, 5
	s_lshl_b32 s3, s18, 2
	v_lshlrev_b32_e32 v4, 2, v0
	s_add_i32 s2, s2, s3
	v_lshl_or_b32 v4, s18, 5, v4
	s_add_i32 s2, s2, -4
	v_add_u32_e32 v4, 0xe0, v4
	s_mov_b32 s3, s8
.LBB10_56:                              ; =>This Inner Loop Header: Depth=1
	v_mov_b32_e32 v6, s2
	ds_read_b32 v5, v4
	ds_read_b32 v6, v6
	s_add_i32 s3, s3, -1
	s_add_i32 s2, s2, -4
	v_subrev_u32_e32 v4, 32, v4
	s_cmp_gt_u32 s3, s4
	s_waitcnt lgkmcnt(0)
	v_fma_f32 v2, -v5, v6, v2
	s_cbranch_scc1 .LBB10_56
.LBB10_57:
	s_mul_i32 s2, s4, 36
	v_mov_b32_e32 v4, s2
	ds_read_b32 v4, v4
	s_waitcnt lgkmcnt(0)
	v_div_scale_f32 v5, s[2:3], v4, v4, v2
	v_div_scale_f32 v6, vcc, v2, v4, v2
	s_add_i32 s2, s4, -1
	v_rcp_f32_e32 v7, v5
	v_fma_f32 v8, -v5, v7, 1.0
	v_fmac_f32_e32 v7, v8, v7
	v_mul_f32_e32 v8, v6, v7
	v_fma_f32 v9, -v5, v8, v6
	v_fmac_f32_e32 v8, v9, v7
	v_fma_f32 v5, -v5, v8, v6
	v_div_fmas_f32 v5, v5, v7, v8
	v_div_fixup_f32 v2, v5, v4, v2
	ds_write_b32 v1, v2
.LBB10_58:
	s_cmp_eq_u32 s4, 0
	s_cbranch_scc1 .LBB10_65
; %bb.59:
	v_lshlrev_b32_e32 v1, 2, v0
	s_lshl_b32 s3, s2, 5
	s_lshl_b32 s4, s18, 2
	v_lshl_or_b32 v1, s18, 5, v1
	s_add_i32 s4, s3, s4
	v_add_u32_e32 v1, 0xe0, v1
	s_add_i32 s3, s4, -4
	s_sub_i32 s4, s4, 36
	s_branch .LBB10_61
.LBB10_60:                              ;   in Loop: Header=BB10_61 Depth=1
	s_sub_i32 s6, s6, 36
	v_mov_b32_e32 v4, s6
	ds_read_b32 v4, v4
	s_add_i32 s2, s2, -2
	s_sub_i32 s3, s3, 64
	s_sub_i32 s4, s4, 64
	s_cmp_eq_u32 s5, 0
	s_waitcnt lgkmcnt(0)
	v_div_scale_f32 v6, s[6:7], v4, v4, v5
	v_div_scale_f32 v7, vcc, v5, v4, v5
	v_rcp_f32_e32 v8, v6
	v_fma_f32 v9, -v6, v8, 1.0
	v_fmac_f32_e32 v8, v9, v8
	v_mul_f32_e32 v9, v7, v8
	v_fma_f32 v10, -v6, v9, v7
	v_fmac_f32_e32 v9, v10, v8
	v_fma_f32 v6, -v6, v9, v7
	v_div_fmas_f32 v6, v6, v8, v9
	v_div_fixup_f32 v4, v6, v4, v5
	ds_write_b32 v2, v4
	s_cbranch_scc1 .LBB10_65
.LBB10_61:                              ; =>This Loop Header: Depth=1
                                        ;     Child Loop BB10_62 Depth 2
                                        ;     Child Loop BB10_64 Depth 2
	v_lshl_add_u32 v4, s2, 5, v3
	ds_read_b32 v6, v4
	s_cmp_le_i32 s8, s2
	s_mov_b32 s5, s3
	v_mov_b32_e32 v2, v1
	s_mov_b32 s6, s8
	s_cbranch_scc1 .LBB10_63
.LBB10_62:                              ;   Parent Loop BB10_61 Depth=1
                                        ; =>  This Inner Loop Header: Depth=2
	v_mov_b32_e32 v7, s5
	ds_read_b32 v5, v2
	ds_read_b32 v7, v7
	s_add_i32 s6, s6, -1
	s_add_i32 s5, s5, -4
	v_subrev_u32_e32 v2, 32, v2
	s_cmp_le_u32 s6, s2
	s_waitcnt lgkmcnt(0)
	v_fma_f32 v6, -v5, v7, v6
	s_cbranch_scc0 .LBB10_62
.LBB10_63:                              ;   in Loop: Header=BB10_61 Depth=1
	s_mul_i32 s6, s2, 36
	v_mov_b32_e32 v2, s6
	ds_read_b32 v8, v2
	s_add_i32 s5, s2, -1
	v_lshl_add_u32 v2, s5, 5, v3
	ds_read_b32 v5, v2
	s_mov_b32 s7, s4
	s_waitcnt lgkmcnt(1)
	v_div_scale_f32 v7, s[16:17], v8, v8, v6
	v_div_scale_f32 v9, vcc, v6, v8, v6
	s_cmp_le_i32 s18, s2
	s_mov_b32 s9, s8
	v_rcp_f32_e32 v10, v7
	v_fma_f32 v11, -v7, v10, 1.0
	v_fmac_f32_e32 v10, v11, v10
	v_mul_f32_e32 v11, v9, v10
	v_fma_f32 v12, -v7, v11, v9
	v_fmac_f32_e32 v11, v12, v10
	v_fma_f32 v7, -v7, v11, v9
	v_div_fmas_f32 v9, v7, v10, v11
	v_mov_b32_e32 v7, v1
	v_div_fixup_f32 v6, v9, v8, v6
	ds_write_b32 v4, v6
	s_cbranch_scc1 .LBB10_60
.LBB10_64:                              ;   Parent Loop BB10_61 Depth=1
                                        ; =>  This Inner Loop Header: Depth=2
	v_mov_b32_e32 v6, s7
	ds_read_b32 v4, v7
	ds_read_b32 v6, v6
	s_add_i32 s9, s9, -1
	s_add_i32 s7, s7, -4
	v_subrev_u32_e32 v7, 32, v7
	s_cmp_gt_u32 s9, s5
	s_waitcnt lgkmcnt(0)
	v_fma_f32 v5, -v4, v6, v5
	s_cbranch_scc1 .LBB10_64
	s_branch .LBB10_60
.LBB10_65:
	s_mov_b64 s[6:7], 0
.LBB10_66:
	s_andn2_b64 vcc, exec, s[6:7]
	s_cbranch_vccnz .LBB10_78
; %bb.67:
	v_mov_b32_e32 v1, 0x100
	v_lshl_or_b32 v1, v0, 2, v1
	s_cmp_lt_i32 s12, 4
	s_mov_b32 s4, 0
	s_cbranch_scc1 .LBB10_73
; %bb.68:
	s_mov_b32 s2, 0
	s_mov_b32 s3, 0
.LBB10_69:                              ; =>This Loop Header: Depth=1
                                        ;     Child Loop BB10_70 Depth 2
	s_or_b32 s4, s3, 3
	v_lshl_add_u32 v2, s3, 5, v1
	s_or_b32 s5, s3, 1
	s_or_b32 s6, s3, 2
	v_lshl_add_u32 v3, s5, 5, v1
	v_lshl_add_u32 v5, s6, 5, v1
	;; [unrolled: 1-line block ×3, first 2 shown]
	ds_read_b32 v9, v2
	ds_read_b32 v8, v3
	;; [unrolled: 1-line block ×4, first 2 shown]
	s_cmp_eq_u32 s3, 0
	s_mov_b32 s7, s2
	v_mov_b32_e32 v10, v1
	s_mov_b32 s8, s3
	s_cbranch_scc1 .LBB10_71
.LBB10_70:                              ;   Parent Loop BB10_69 Depth=1
                                        ; =>  This Inner Loop Header: Depth=2
	v_mov_b32_e32 v13, s7
	ds_read_b32 v15, v10
	ds_read2_b32 v[11:12], v13 offset1:8
	ds_read2_b32 v[13:14], v13 offset0:16 offset1:24
	s_add_i32 s8, s8, -1
	s_add_i32 s7, s7, 4
	v_add_u32_e32 v10, 32, v10
	s_cmp_eq_u32 s8, 0
	s_waitcnt lgkmcnt(1)
	v_fma_f32 v9, -v15, v11, v9
	v_fma_f32 v8, -v15, v12, v8
	s_waitcnt lgkmcnt(0)
	v_fma_f32 v7, -v15, v13, v7
	v_fma_f32 v6, -v15, v14, v6
	s_cbranch_scc0 .LBB10_70
.LBB10_71:                              ;   in Loop: Header=BB10_69 Depth=1
	s_lshl_b32 s7, s5, 3
	s_lshl_b32 s5, s6, 3
	s_mul_i32 s6, s3, 36
	v_mov_b32_e32 v10, s6
	ds_read_b32 v15, v10
	s_lshl_b32 s6, s7, 2
	s_lshl_b32 s8, s3, 2
	s_add_i32 s6, s6, s8
	v_mov_b32_e32 v10, s6
	s_waitcnt lgkmcnt(0)
	v_div_scale_f32 v16, s[6:7], v15, v15, v9
	v_div_scale_f32 v17, vcc, v9, v15, v9
	s_lshl_b32 s5, s5, 2
	s_add_i32 s5, s5, s8
	v_mov_b32_e32 v11, s5
	ds_read_b64 v[13:14], v10
	ds_read_b96 v[10:12], v11
	s_lshl_b32 s4, s4, 3
	s_lshl_b32 s4, s4, 2
	s_add_i32 s4, s4, s8
	s_addk_i32 s2, 0x80
	v_rcp_f32_e32 v18, v16
	v_fma_f32 v19, -v16, v18, 1.0
	v_fmac_f32_e32 v18, v19, v18
	v_mul_f32_e32 v19, v17, v18
	v_fma_f32 v20, -v16, v19, v17
	v_fmac_f32_e32 v19, v20, v18
	v_fma_f32 v16, -v16, v19, v17
	v_div_fmas_f32 v16, v16, v18, v19
	v_div_fixup_f32 v15, v16, v15, v9
	s_waitcnt lgkmcnt(1)
	v_fma_f32 v8, -v15, v13, v8
	v_div_scale_f32 v9, s[6:7], v14, v14, v8
	v_div_scale_f32 v13, vcc, v8, v14, v8
	s_waitcnt lgkmcnt(0)
	v_fma_f32 v7, -v15, v10, v7
	v_rcp_f32_e32 v16, v9
	v_fma_f32 v17, -v9, v16, 1.0
	v_fmac_f32_e32 v16, v17, v16
	v_mul_f32_e32 v17, v13, v16
	v_fma_f32 v18, -v9, v17, v13
	v_fmac_f32_e32 v17, v18, v16
	v_fma_f32 v9, -v9, v17, v13
	v_div_fmas_f32 v9, v9, v16, v17
	v_div_fixup_f32 v13, v9, v14, v8
	v_fma_f32 v11, -v13, v11, v7
	v_div_scale_f32 v7, s[6:7], v12, v12, v11
	v_div_scale_f32 v8, vcc, v11, v12, v11
	v_rcp_f32_e32 v9, v7
	v_fma_f32 v10, -v7, v9, 1.0
	v_fmac_f32_e32 v9, v10, v9
	v_mul_f32_e32 v10, v8, v9
	v_fma_f32 v14, -v7, v10, v8
	v_fmac_f32_e32 v10, v14, v9
	v_fma_f32 v7, -v7, v10, v8
	v_div_fmas_f32 v14, v7, v9, v10
	v_mov_b32_e32 v7, s4
	ds_read_b128 v[7:10], v7
	s_waitcnt lgkmcnt(0)
	v_fma_f32 v6, -v15, v7, v6
	v_fma_f32 v6, -v13, v8, v6
	v_div_fixup_f32 v7, v14, v12, v11
	v_fma_f32 v6, -v7, v9, v6
	v_div_scale_f32 v8, s[4:5], v10, v10, v6
	v_div_scale_f32 v9, vcc, v6, v10, v6
	s_add_i32 s4, s3, 4
	s_add_i32 s3, s3, 7
	ds_write_b32 v2, v15
	ds_write_b32 v3, v13
	;; [unrolled: 1-line block ×3, first 2 shown]
	s_cmp_ge_i32 s3, s18
	v_rcp_f32_e32 v11, v8
	v_fma_f32 v12, -v8, v11, 1.0
	v_fmac_f32_e32 v11, v12, v11
	v_mul_f32_e32 v12, v9, v11
	v_fma_f32 v14, -v8, v12, v9
	v_fmac_f32_e32 v12, v14, v11
	v_fma_f32 v8, -v8, v12, v9
	v_div_fmas_f32 v8, v8, v11, v12
	v_div_fixup_f32 v2, v8, v10, v6
	ds_write_b32 v4, v2
	s_cbranch_scc1 .LBB10_73
; %bb.72:                               ;   in Loop: Header=BB10_69 Depth=1
	s_mov_b32 s3, s4
	s_branch .LBB10_69
.LBB10_73:
	s_cmp_ge_i32 s4, s18
	s_cbranch_scc1 .LBB10_78
; %bb.74:
	v_mov_b32_e32 v2, 0x100
	v_lshl_or_b32 v2, v0, 2, v2
	s_lshl_b32 s2, s4, 5
	s_branch .LBB10_76
.LBB10_75:                              ;   in Loop: Header=BB10_76 Depth=1
	s_mul_i32 s3, s4, 36
	v_mov_b32_e32 v5, s3
	ds_read_b32 v5, v5
	s_add_i32 s4, s4, 1
	s_add_i32 s2, s2, 32
	s_cmp_ge_i32 s4, s18
	s_waitcnt lgkmcnt(0)
	v_div_scale_f32 v6, s[6:7], v5, v5, v4
	v_div_scale_f32 v7, vcc, v4, v5, v4
	v_rcp_f32_e32 v8, v6
	v_fma_f32 v9, -v6, v8, 1.0
	v_fmac_f32_e32 v8, v9, v8
	v_mul_f32_e32 v9, v7, v8
	v_fma_f32 v10, -v6, v9, v7
	v_fmac_f32_e32 v9, v10, v8
	v_fma_f32 v6, -v6, v9, v7
	v_div_fmas_f32 v6, v6, v8, v9
	v_div_fixup_f32 v4, v6, v5, v4
	ds_write_b32 v3, v4
	s_cbranch_scc1 .LBB10_78
.LBB10_76:                              ; =>This Loop Header: Depth=1
                                        ;     Child Loop BB10_77 Depth 2
	v_lshl_add_u32 v3, s4, 5, v1
	ds_read_b32 v4, v3
	s_cmp_eq_u32 s4, 0
	s_mov_b32 s3, s2
	v_mov_b32_e32 v5, v2
	s_mov_b32 s5, s4
	s_cbranch_scc1 .LBB10_75
.LBB10_77:                              ;   Parent Loop BB10_76 Depth=1
                                        ; =>  This Inner Loop Header: Depth=2
	v_mov_b32_e32 v7, s3
	ds_read_b32 v6, v5
	ds_read_b32 v7, v7
	s_add_i32 s5, s5, -1
	s_add_i32 s3, s3, 4
	v_add_u32_e32 v5, 32, v5
	s_cmp_eq_u32 s5, 0
	s_waitcnt lgkmcnt(0)
	v_fma_f32 v4, -v6, v7, v4
	s_cbranch_scc0 .LBB10_77
	s_branch .LBB10_75
.LBB10_78:
	s_and_saveexec_b64 s[2:3], s[0:1]
	s_cbranch_execz .LBB10_82
; %bb.79:
	s_cmp_lt_i32 s12, 1
	s_cbranch_scc1 .LBB10_82
; %bb.80:
	s_ashr_i32 s11, s10, 31
	v_lshlrev_b32_e32 v2, 2, v0
	v_mov_b32_e32 v1, s15
	v_add_co_u32_e32 v0, vcc, s14, v2
	s_lshl_b64 s[0:1], s[10:11], 2
	v_addc_co_u32_e32 v1, vcc, 0, v1, vcc
	v_or_b32_e32 v2, 0x100, v2
	v_mov_b32_e32 v3, s1
.LBB10_81:                              ; =>This Inner Loop Header: Depth=1
	ds_read_b32 v4, v2
	s_add_i32 s12, s12, -1
	v_add_u32_e32 v2, 32, v2
	s_cmp_lg_u32 s12, 0
	s_waitcnt lgkmcnt(0)
	global_store_dword v[0:1], v4, off
	v_add_co_u32_e32 v0, vcc, s0, v0
	v_addc_co_u32_e32 v1, vcc, v1, v3, vcc
	s_cbranch_scc1 .LBB10_81
.LBB10_82:
	s_endpgm
	.section	.rodata,"a",@progbits
	.p2align	6, 0x0
	.amdhsa_kernel _ZL31rocblas_trsm_small_right_deviceIffPKfPfLi8EEv13rocblas_fill_18rocblas_operation_17rocblas_diagonal_iiT0_T1_lilT2_lili
		.amdhsa_group_segment_fixed_size 512
		.amdhsa_private_segment_fixed_size 0
		.amdhsa_kernarg_size 352
		.amdhsa_user_sgpr_count 6
		.amdhsa_user_sgpr_private_segment_buffer 1
		.amdhsa_user_sgpr_dispatch_ptr 0
		.amdhsa_user_sgpr_queue_ptr 0
		.amdhsa_user_sgpr_kernarg_segment_ptr 1
		.amdhsa_user_sgpr_dispatch_id 0
		.amdhsa_user_sgpr_flat_scratch_init 0
		.amdhsa_user_sgpr_private_segment_size 0
		.amdhsa_uses_dynamic_stack 0
		.amdhsa_system_sgpr_private_segment_wavefront_offset 0
		.amdhsa_system_sgpr_workgroup_id_x 1
		.amdhsa_system_sgpr_workgroup_id_y 0
		.amdhsa_system_sgpr_workgroup_id_z 1
		.amdhsa_system_sgpr_workgroup_info 0
		.amdhsa_system_vgpr_workitem_id 0
		.amdhsa_next_free_vgpr 23
		.amdhsa_next_free_sgpr 26
		.amdhsa_reserve_vcc 1
		.amdhsa_reserve_flat_scratch 0
		.amdhsa_float_round_mode_32 0
		.amdhsa_float_round_mode_16_64 0
		.amdhsa_float_denorm_mode_32 3
		.amdhsa_float_denorm_mode_16_64 3
		.amdhsa_dx10_clamp 1
		.amdhsa_ieee_mode 1
		.amdhsa_fp16_overflow 0
		.amdhsa_exception_fp_ieee_invalid_op 0
		.amdhsa_exception_fp_denorm_src 0
		.amdhsa_exception_fp_ieee_div_zero 0
		.amdhsa_exception_fp_ieee_overflow 0
		.amdhsa_exception_fp_ieee_underflow 0
		.amdhsa_exception_fp_ieee_inexact 0
		.amdhsa_exception_int_div_zero 0
	.end_amdhsa_kernel
	.section	.text._ZL31rocblas_trsm_small_right_deviceIffPKfPfLi8EEv13rocblas_fill_18rocblas_operation_17rocblas_diagonal_iiT0_T1_lilT2_lili,"axG",@progbits,_ZL31rocblas_trsm_small_right_deviceIffPKfPfLi8EEv13rocblas_fill_18rocblas_operation_17rocblas_diagonal_iiT0_T1_lilT2_lili,comdat
.Lfunc_end10:
	.size	_ZL31rocblas_trsm_small_right_deviceIffPKfPfLi8EEv13rocblas_fill_18rocblas_operation_17rocblas_diagonal_iiT0_T1_lilT2_lili, .Lfunc_end10-_ZL31rocblas_trsm_small_right_deviceIffPKfPfLi8EEv13rocblas_fill_18rocblas_operation_17rocblas_diagonal_iiT0_T1_lilT2_lili
                                        ; -- End function
	.set _ZL31rocblas_trsm_small_right_deviceIffPKfPfLi8EEv13rocblas_fill_18rocblas_operation_17rocblas_diagonal_iiT0_T1_lilT2_lili.num_vgpr, 23
	.set _ZL31rocblas_trsm_small_right_deviceIffPKfPfLi8EEv13rocblas_fill_18rocblas_operation_17rocblas_diagonal_iiT0_T1_lilT2_lili.num_agpr, 0
	.set _ZL31rocblas_trsm_small_right_deviceIffPKfPfLi8EEv13rocblas_fill_18rocblas_operation_17rocblas_diagonal_iiT0_T1_lilT2_lili.numbered_sgpr, 26
	.set _ZL31rocblas_trsm_small_right_deviceIffPKfPfLi8EEv13rocblas_fill_18rocblas_operation_17rocblas_diagonal_iiT0_T1_lilT2_lili.num_named_barrier, 0
	.set _ZL31rocblas_trsm_small_right_deviceIffPKfPfLi8EEv13rocblas_fill_18rocblas_operation_17rocblas_diagonal_iiT0_T1_lilT2_lili.private_seg_size, 0
	.set _ZL31rocblas_trsm_small_right_deviceIffPKfPfLi8EEv13rocblas_fill_18rocblas_operation_17rocblas_diagonal_iiT0_T1_lilT2_lili.uses_vcc, 1
	.set _ZL31rocblas_trsm_small_right_deviceIffPKfPfLi8EEv13rocblas_fill_18rocblas_operation_17rocblas_diagonal_iiT0_T1_lilT2_lili.uses_flat_scratch, 0
	.set _ZL31rocblas_trsm_small_right_deviceIffPKfPfLi8EEv13rocblas_fill_18rocblas_operation_17rocblas_diagonal_iiT0_T1_lilT2_lili.has_dyn_sized_stack, 0
	.set _ZL31rocblas_trsm_small_right_deviceIffPKfPfLi8EEv13rocblas_fill_18rocblas_operation_17rocblas_diagonal_iiT0_T1_lilT2_lili.has_recursion, 0
	.set _ZL31rocblas_trsm_small_right_deviceIffPKfPfLi8EEv13rocblas_fill_18rocblas_operation_17rocblas_diagonal_iiT0_T1_lilT2_lili.has_indirect_call, 0
	.section	.AMDGPU.csdata,"",@progbits
; Kernel info:
; codeLenInByte = 5564
; TotalNumSgprs: 30
; NumVgprs: 23
; ScratchSize: 0
; MemoryBound: 0
; FloatMode: 240
; IeeeMode: 1
; LDSByteSize: 512 bytes/workgroup (compile time only)
; SGPRBlocks: 3
; VGPRBlocks: 5
; NumSGPRsForWavesPerEU: 30
; NumVGPRsForWavesPerEU: 23
; Occupancy: 10
; WaveLimiterHint : 0
; COMPUTE_PGM_RSRC2:SCRATCH_EN: 0
; COMPUTE_PGM_RSRC2:USER_SGPR: 6
; COMPUTE_PGM_RSRC2:TRAP_HANDLER: 0
; COMPUTE_PGM_RSRC2:TGID_X_EN: 1
; COMPUTE_PGM_RSRC2:TGID_Y_EN: 0
; COMPUTE_PGM_RSRC2:TGID_Z_EN: 1
; COMPUTE_PGM_RSRC2:TIDIG_COMP_CNT: 0
	.section	.text._ZL38rocblas_trsm_small_left_device_sharedBILi12ELi12ELb0EffPKfPfEv13rocblas_fill_18rocblas_operation_17rocblas_diagonal_iiT3_T4_lilT5_lili,"axG",@progbits,_ZL38rocblas_trsm_small_left_device_sharedBILi12ELi12ELb0EffPKfPfEv13rocblas_fill_18rocblas_operation_17rocblas_diagonal_iiT3_T4_lilT5_lili,comdat
	.globl	_ZL38rocblas_trsm_small_left_device_sharedBILi12ELi12ELb0EffPKfPfEv13rocblas_fill_18rocblas_operation_17rocblas_diagonal_iiT3_T4_lilT5_lili ; -- Begin function _ZL38rocblas_trsm_small_left_device_sharedBILi12ELi12ELb0EffPKfPfEv13rocblas_fill_18rocblas_operation_17rocblas_diagonal_iiT3_T4_lilT5_lili
	.p2align	8
	.type	_ZL38rocblas_trsm_small_left_device_sharedBILi12ELi12ELb0EffPKfPfEv13rocblas_fill_18rocblas_operation_17rocblas_diagonal_iiT3_T4_lilT5_lili,@function
_ZL38rocblas_trsm_small_left_device_sharedBILi12ELi12ELb0EffPKfPfEv13rocblas_fill_18rocblas_operation_17rocblas_diagonal_iiT3_T4_lilT5_lili: ; @_ZL38rocblas_trsm_small_left_device_sharedBILi12ELi12ELb0EffPKfPfEv13rocblas_fill_18rocblas_operation_17rocblas_diagonal_iiT3_T4_lilT5_lili
; %bb.0:
	s_load_dwordx4 s[8:11], s[4:5], 0x4
	s_load_dword s17, s[4:5], 0x14
	s_load_dwordx4 s[0:3], s[4:5], 0x30
	s_load_dwordx2 s[12:13], s[4:5], 0x40
	s_waitcnt lgkmcnt(0)
	s_min_i32 s16, s10, 12
	v_cmp_gt_i32_e32 vcc, s16, v0
	s_and_saveexec_b64 s[14:15], vcc
	s_cbranch_execz .LBB11_6
; %bb.1:
	s_load_dword s18, s[4:5], 0x28
	s_load_dwordx4 s[20:23], s[4:5], 0x18
	s_mul_i32 s1, s1, s7
	s_mul_hi_u32 s19, s0, s7
	s_add_i32 s1, s19, s1
	s_mul_i32 s0, s0, s7
	s_waitcnt lgkmcnt(0)
	s_ashr_i32 s19, s18, 31
	s_lshl_b64 s[0:1], s[0:1], 2
	s_add_u32 s20, s20, s0
	s_addc_u32 s21, s21, s1
	s_lshl_b64 s[0:1], s[22:23], 2
	s_add_u32 s0, s20, s0
	s_addc_u32 s1, s21, s1
	v_lshlrev_b32_e32 v3, 2, v0
	v_mov_b32_e32 v2, s1
	v_add_co_u32_e32 v1, vcc, s0, v3
	s_lshl_b64 s[0:1], s[18:19], 2
	v_addc_co_u32_e32 v2, vcc, 0, v2, vcc
	v_mov_b32_e32 v4, s1
	v_mov_b32_e32 v5, v3
	s_mov_b32 s1, s16
.LBB11_2:                               ; =>This Inner Loop Header: Depth=1
	global_load_dword v6, v[1:2], off
	v_add_co_u32_e32 v1, vcc, s0, v1
	s_add_i32 s1, s1, -1
	v_addc_co_u32_e32 v2, vcc, v2, v4, vcc
	s_cmp_eq_u32 s1, 0
	s_waitcnt vmcnt(0)
	ds_write_b32 v5, v6
	v_add_u32_e32 v5, 48, v5
	s_cbranch_scc0 .LBB11_2
; %bb.3:
	v_mul_u32_u24_e32 v1, 48, v0
	s_cmpk_lg_i32 s9, 0x84
	v_mov_b32_e32 v2, 1.0
	v_add_u32_e32 v1, v3, v1
	s_cbranch_scc0 .LBB11_5
; %bb.4:
	ds_read_b32 v2, v1
	s_waitcnt lgkmcnt(0)
	v_div_scale_f32 v3, s[0:1], v2, v2, 1.0
	v_div_scale_f32 v4, vcc, 1.0, v2, 1.0
	v_rcp_f32_e32 v5, v3
	v_fma_f32 v6, -v3, v5, 1.0
	v_fmac_f32_e32 v5, v6, v5
	v_mul_f32_e32 v6, v4, v5
	v_fma_f32 v7, -v3, v6, v4
	v_fmac_f32_e32 v6, v7, v5
	v_fma_f32 v3, -v3, v6, v4
	v_div_fmas_f32 v3, v3, v5, v6
	v_div_fixup_f32 v2, v3, v2, 1.0
.LBB11_5:
	ds_write_b32 v1, v2
.LBB11_6:
	s_or_b64 exec, exec, s[14:15]
	s_load_dword s0, s[4:5], 0x60
	s_load_dwordx2 s[14:15], s[4:5], 0x50
	s_load_dword s9, s[4:5], 0x48
	s_waitcnt lgkmcnt(0)
	s_mul_i32 s1, s15, s7
	s_mul_hi_u32 s5, s14, s7
	s_mul_i32 s4, s14, s7
	s_add_i32 s5, s5, s1
	s_lshl_b64 s[4:5], s[4:5], 2
	s_add_u32 s1, s2, s4
	s_addc_u32 s4, s3, s5
	s_lshl_b64 s[2:3], s[12:13], 2
	s_add_u32 s2, s1, s2
	s_mul_i32 s1, s6, -12
	s_addc_u32 s3, s4, s3
	s_add_i32 s0, s0, -1
	s_add_i32 s1, s11, s1
	s_cmp_ge_u32 s6, s0
	s_mul_i32 s6, s6, 12
	s_cselect_b32 s4, s1, 12
	s_mul_hi_i32 s1, s9, s6
	s_mul_i32 s0, s9, s6
	s_lshl_b64 s[0:1], s[0:1], 2
	s_add_u32 s6, s2, s0
	s_addc_u32 s7, s3, s1
	s_cmp_gt_i32 s10, 0
	v_cmp_gt_i32_e64 s[0:1], s4, v0
	s_cselect_b64 s[2:3], -1, 0
	s_and_b64 s[12:13], s[0:1], s[2:3]
	s_and_saveexec_b64 s[4:5], s[12:13]
	s_cbranch_execz .LBB11_9
; %bb.7:
	v_mad_i64_i32 v[1:2], s[12:13], s9, v0, 0
	v_mov_b32_e32 v3, s7
	s_mov_b32 s11, s16
	v_lshlrev_b64 v[1:2], 2, v[1:2]
	v_add_co_u32_e32 v1, vcc, s6, v1
	v_addc_co_u32_e32 v2, vcc, v3, v2, vcc
	v_mov_b32_e32 v3, 0x240
	v_lshl_or_b32 v3, v0, 2, v3
.LBB11_8:                               ; =>This Inner Loop Header: Depth=1
	global_load_dword v4, v[1:2], off
	s_add_i32 s11, s11, -1
	v_add_co_u32_e32 v1, vcc, 4, v1
	v_addc_co_u32_e32 v2, vcc, 0, v2, vcc
	s_cmp_lg_u32 s11, 0
	s_waitcnt vmcnt(0)
	v_mul_f32_e32 v4, s17, v4
	ds_write_b32 v3, v4
	v_add_u32_e32 v3, 48, v3
	s_cbranch_scc1 .LBB11_8
.LBB11_9:
	s_or_b64 exec, exec, s[4:5]
	v_mov_b32_e32 v1, 0x240
	s_cmpk_eq_i32 s8, 0x6f
	v_lshl_or_b32 v9, v0, 2, v1
	s_mov_b64 s[4:5], -1
	s_waitcnt lgkmcnt(0)
	; wave barrier
	s_cbranch_scc1 .LBB11_24
; %bb.10:
	s_cmp_gt_i32 s10, 11
	s_cselect_b64 s[4:5], -1, 0
	s_and_b64 vcc, exec, s[4:5]
	s_cbranch_vccz .LBB11_12
; %bb.11:
	v_mov_b32_e32 v20, 0
	ds_read2_b32 v[1:2], v9 offset1:12
	ds_read2_b32 v[10:11], v9 offset0:24 offset1:36
	ds_read2_b32 v[12:13], v9 offset0:48 offset1:60
	;; [unrolled: 1-line block ×3, first 2 shown]
	ds_read_b32 v8, v20
	ds_read_b64 v[3:4], v20 offset:48
	ds_read2_b32 v[16:17], v9 offset0:96 offset1:108
	ds_read2_b32 v[18:19], v9 offset0:120 offset1:132
	ds_read_b96 v[5:7], v20 offset:96
	s_waitcnt lgkmcnt(4)
	v_mul_f32_e32 v21, v1, v8
	s_waitcnt lgkmcnt(3)
	v_fma_f32 v1, -v21, v3, v2
	v_mul_f32_e32 v22, v1, v4
	ds_read_b128 v[1:4], v20 offset:144
	s_waitcnt lgkmcnt(1)
	v_fma_f32 v5, -v21, v5, v10
	v_fma_f32 v5, -v22, v6, v5
	v_mul_f32_e32 v23, v5, v7
	ds_read_b128 v[5:8], v20 offset:192
	s_waitcnt lgkmcnt(1)
	v_fma_f32 v1, -v21, v1, v11
	v_fma_f32 v1, -v22, v2, v1
	;; [unrolled: 1-line block ×3, first 2 shown]
	v_mul_f32_e32 v24, v1, v4
	s_waitcnt lgkmcnt(0)
	v_fma_f32 v1, -v21, v5, v12
	ds_read_b32 v10, v20 offset:208
	v_fma_f32 v5, -v22, v6, v1
	ds_read_b128 v[1:4], v20 offset:240
	v_fma_f32 v5, -v23, v7, v5
	v_fma_f32 v5, -v24, v8, v5
	s_waitcnt lgkmcnt(1)
	v_mul_f32_e32 v25, v5, v10
	ds_read_b64 v[5:6], v20 offset:256
	s_waitcnt lgkmcnt(1)
	v_fma_f32 v1, -v21, v1, v13
	v_fma_f32 v1, -v22, v2, v1
	v_fma_f32 v1, -v23, v3, v1
	v_fma_f32 v7, -v24, v4, v1
	ds_read_b128 v[1:4], v20 offset:288
	s_waitcnt lgkmcnt(1)
	v_fma_f32 v5, -v25, v5, v7
	v_mul_f32_e32 v26, v5, v6
	ds_read_b96 v[5:7], v20 offset:304
	ds_write2_b32 v9, v21, v22 offset1:12
	s_waitcnt lgkmcnt(2)
	v_fma_f32 v1, -v21, v1, v14
	v_fma_f32 v1, -v22, v2, v1
	;; [unrolled: 1-line block ×4, first 2 shown]
	ds_read_b128 v[1:4], v20 offset:336
	s_waitcnt lgkmcnt(2)
	v_fma_f32 v5, -v25, v5, v8
	v_fma_f32 v5, -v26, v6, v5
	v_mul_f32_e32 v14, v5, v7
	ds_read_b128 v[5:8], v20 offset:352
	s_waitcnt lgkmcnt(1)
	v_fma_f32 v1, -v21, v1, v15
	v_fma_f32 v1, -v22, v2, v1
	;; [unrolled: 1-line block ×4, first 2 shown]
	ds_read_b128 v[1:4], v20 offset:384
	s_waitcnt lgkmcnt(1)
	v_fma_f32 v5, -v25, v5, v10
	v_fma_f32 v5, -v26, v6, v5
	;; [unrolled: 1-line block ×3, first 2 shown]
	v_mul_f32_e32 v15, v5, v8
	ds_write2_b32 v9, v23, v24 offset0:24 offset1:36
	ds_write2_b32 v9, v25, v26 offset0:48 offset1:60
	;; [unrolled: 1-line block ×3, first 2 shown]
	ds_read_b128 v[5:8], v20 offset:400
	ds_read_b32 v10, v20 offset:416
	s_waitcnt lgkmcnt(5)
	v_fma_f32 v1, -v21, v1, v16
	v_fma_f32 v1, -v22, v2, v1
	;; [unrolled: 1-line block ×4, first 2 shown]
	s_waitcnt lgkmcnt(1)
	v_fma_f32 v1, -v25, v5, v1
	v_fma_f32 v1, -v26, v6, v1
	;; [unrolled: 1-line block ×3, first 2 shown]
	ds_read_b128 v[1:4], v20 offset:432
	v_fma_f32 v5, -v15, v8, v5
	s_waitcnt lgkmcnt(1)
	v_mul_f32_e32 v16, v5, v10
	ds_read_b128 v[5:8], v20 offset:448
	ds_read_b64 v[10:11], v20 offset:464
	s_mov_b32 s8, 12
	s_waitcnt lgkmcnt(2)
	v_fma_f32 v1, -v21, v1, v17
	v_fma_f32 v1, -v22, v2, v1
	;; [unrolled: 1-line block ×4, first 2 shown]
	s_waitcnt lgkmcnt(1)
	v_fma_f32 v1, -v25, v5, v1
	v_fma_f32 v1, -v26, v6, v1
	v_fma_f32 v1, -v14, v7, v1
	v_fma_f32 v5, -v15, v8, v1
	ds_read_b128 v[1:4], v20 offset:480
	s_waitcnt lgkmcnt(1)
	v_fma_f32 v5, -v16, v10, v5
	v_mul_f32_e32 v17, v5, v11
	ds_write2_b32 v9, v16, v17 offset0:96 offset1:108
	ds_read_b128 v[5:8], v20 offset:496
	ds_read_b96 v[10:12], v20 offset:512
	s_waitcnt lgkmcnt(3)
	v_fma_f32 v1, -v21, v1, v18
	v_fma_f32 v1, -v22, v2, v1
	;; [unrolled: 1-line block ×4, first 2 shown]
	s_waitcnt lgkmcnt(1)
	v_fma_f32 v1, -v25, v5, v1
	v_fma_f32 v1, -v26, v6, v1
	;; [unrolled: 1-line block ×4, first 2 shown]
	s_waitcnt lgkmcnt(0)
	v_fma_f32 v5, -v16, v10, v1
	ds_read_b128 v[1:4], v20 offset:528
	v_fma_f32 v5, -v17, v11, v5
	v_mul_f32_e32 v18, v5, v12
	ds_read_b128 v[5:8], v20 offset:544
	ds_read_b128 v[10:13], v20 offset:560
	s_waitcnt lgkmcnt(2)
	v_fma_f32 v1, -v21, v1, v19
	v_fma_f32 v1, -v22, v2, v1
	;; [unrolled: 1-line block ×4, first 2 shown]
	s_waitcnt lgkmcnt(1)
	v_fma_f32 v1, -v25, v5, v1
	v_fma_f32 v1, -v26, v6, v1
	;; [unrolled: 1-line block ×4, first 2 shown]
	s_waitcnt lgkmcnt(0)
	v_fma_f32 v1, -v16, v10, v1
	v_fma_f32 v1, -v17, v11, v1
	;; [unrolled: 1-line block ×3, first 2 shown]
	v_mul_f32_e32 v1, v1, v13
	ds_write2_b32 v9, v18, v1 offset0:120 offset1:132
	s_cmp_lt_i32 s8, s16
	s_cbranch_scc1 .LBB11_13
	s_branch .LBB11_23
.LBB11_12:
	s_mov_b32 s8, 0
	s_cmp_lt_i32 s8, s16
	s_cbranch_scc0 .LBB11_23
.LBB11_13:
	s_add_i32 s11, s8, 7
	s_cmp_ge_u32 s11, s16
	s_cbranch_scc1 .LBB11_18
; %bb.14:
	s_mul_i32 s11, s8, 48
	v_add_u32_e32 v10, s11, v9
	ds_read2_b32 v[7:8], v10 offset1:12
	ds_read2_b32 v[5:6], v10 offset0:24 offset1:36
	ds_read2_b32 v[3:4], v10 offset0:48 offset1:60
	;; [unrolled: 1-line block ×3, first 2 shown]
	s_andn2_b64 vcc, exec, s[4:5]
	s_cbranch_vccnz .LBB11_17
; %bb.15:
	v_mov_b32_e32 v11, 0x240
	v_lshl_or_b32 v11, v0, 2, v11
	s_mov_b32 s4, s8
	s_mov_b32 s5, s11
.LBB11_16:                              ; =>This Inner Loop Header: Depth=1
	v_mov_b32_e32 v24, s5
	ds_read2_b32 v[28:29], v11 offset1:12
	ds_read2_b32 v[30:31], v11 offset0:24 offset1:36
	ds_read_b128 v[12:15], v24
	ds_read_b128 v[16:19], v24 offset:48
	ds_read_b128 v[20:23], v24 offset:96
	s_add_i32 s5, s5, 16
	s_add_i32 s4, s4, -4
	s_waitcnt lgkmcnt(2)
	v_fma_f32 v7, -v28, v12, v7
	v_fma_f32 v7, -v29, v13, v7
	;; [unrolled: 1-line block ×4, first 2 shown]
	ds_read_b128 v[12:15], v24 offset:144
	s_waitcnt lgkmcnt(2)
	v_fma_f32 v8, -v28, v16, v8
	v_fma_f32 v8, -v29, v17, v8
	v_fma_f32 v8, -v30, v18, v8
	v_fma_f32 v8, -v31, v19, v8
	ds_read_b128 v[16:19], v24 offset:192
	s_waitcnt lgkmcnt(2)
	v_fma_f32 v5, -v28, v20, v5
	s_waitcnt lgkmcnt(1)
	v_fma_f32 v6, -v28, v12, v6
	v_fma_f32 v5, -v29, v21, v5
	;; [unrolled: 1-line block ×6, first 2 shown]
	ds_read_b128 v[20:23], v24 offset:240
	v_fma_f32 v6, -v31, v15, v6
	ds_read_b128 v[12:15], v24 offset:288
	ds_read_b128 v[24:27], v24 offset:336
	s_waitcnt lgkmcnt(3)
	v_fma_f32 v3, -v28, v16, v3
	s_waitcnt lgkmcnt(2)
	v_fma_f32 v4, -v28, v20, v4
	v_fma_f32 v3, -v29, v17, v3
	s_waitcnt lgkmcnt(1)
	v_fma_f32 v1, -v28, v12, v1
	s_waitcnt lgkmcnt(0)
	v_fma_f32 v2, -v28, v24, v2
	v_fma_f32 v4, -v29, v21, v4
	;; [unrolled: 1-line block ×8, first 2 shown]
	v_add_u32_e32 v11, 0xc0, v11
	s_cmp_lg_u32 s4, 0
	v_fma_f32 v3, -v31, v19, v3
	v_fma_f32 v4, -v31, v23, v4
	;; [unrolled: 1-line block ×4, first 2 shown]
	s_cbranch_scc1 .LBB11_16
.LBB11_17:
	s_lshl_b32 s4, s8, 2
	s_add_i32 s5, s4, s11
	v_mov_b32_e32 v11, s5
	ds_read2_b32 v[17:18], v11 offset1:52
	s_add_i32 s5, s11, 48
	s_add_i32 s12, s4, s5
	v_mov_b32_e32 v11, s12
	s_add_i32 s12, s11, 0x60
	s_add_i32 s13, s4, s12
	ds_read_b64 v[13:14], v11
	s_waitcnt lgkmcnt(1)
	v_mul_f32_e32 v19, v7, v17
	v_mov_b32_e32 v7, s13
	ds_write_b32 v10, v19
	ds_read_b96 v[10:12], v7
	s_waitcnt lgkmcnt(2)
	v_fma_f32 v7, -v19, v13, v8
	v_mul_f32_e32 v20, v7, v14
	v_add_u32_e32 v7, s5, v9
	s_add_i32 s5, s11, 0x90
	s_waitcnt lgkmcnt(0)
	v_fma_f32 v5, -v19, v10, v5
	v_fma_f32 v5, -v20, v11, v5
	v_mul_f32_e32 v21, v5, v12
	v_add_u32_e32 v5, s12, v9
	s_add_i32 s12, s4, s5
	ds_write_b32 v5, v21
	v_mov_b32_e32 v5, s12
	ds_read_b128 v[10:13], v5
	s_add_i32 s12, s11, 0xc0
	s_add_i32 s13, s4, s12
	v_mov_b32_e32 v5, s13
	ds_read_b128 v[14:17], v5
	s_waitcnt lgkmcnt(1)
	v_fma_f32 v5, -v19, v10, v6
	v_fma_f32 v5, -v20, v11, v5
	;; [unrolled: 1-line block ×3, first 2 shown]
	v_mul_f32_e32 v22, v5, v13
	v_add_u32_e32 v5, s5, v9
	s_add_i32 s5, s11, 0xf0
	s_add_i32 s13, s4, s5
	v_mov_b32_e32 v10, s13
	ds_write_b32 v7, v20
	ds_write_b32 v5, v22
	s_waitcnt lgkmcnt(2)
	v_fma_f32 v3, -v19, v14, v3
	ds_read_b128 v[5:8], v10
	v_fma_f32 v3, -v20, v15, v3
	v_fma_f32 v3, -v21, v16, v3
	;; [unrolled: 1-line block ×3, first 2 shown]
	v_mul_f32_e32 v14, v3, v18
	v_add_u32_e32 v3, s12, v9
	ds_read_b64 v[10:11], v10 offset:16
	ds_write_b32 v3, v14
	s_waitcnt lgkmcnt(2)
	v_fma_f32 v3, -v19, v5, v4
	v_fma_f32 v3, -v20, v6, v3
	s_add_i32 s12, s11, 0x120
	v_fma_f32 v3, -v21, v7, v3
	s_add_i32 s13, s4, s12
	v_fma_f32 v3, -v22, v8, v3
	v_mov_b32_e32 v8, s13
	s_waitcnt lgkmcnt(1)
	v_fma_f32 v7, -v14, v10, v3
	ds_read_b128 v[3:6], v8
	v_mul_f32_e32 v7, v7, v11
	v_add_u32_e32 v10, s5, v9
	ds_write_b32 v10, v7
	ds_read_b96 v[10:12], v8 offset:16
	s_waitcnt lgkmcnt(2)
	v_fma_f32 v1, -v19, v3, v1
	s_addk_i32 s11, 0x150
	v_fma_f32 v1, -v20, v4, v1
	s_add_i32 s4, s4, s11
	v_fma_f32 v1, -v21, v5, v1
	v_mov_b32_e32 v8, s4
	v_fma_f32 v1, -v22, v6, v1
	ds_read_b128 v[3:6], v8
	s_waitcnt lgkmcnt(1)
	v_fma_f32 v1, -v14, v10, v1
	v_fma_f32 v1, -v7, v11, v1
	v_mul_f32_e32 v1, v1, v12
	v_add_u32_e32 v10, s12, v9
	ds_write_b32 v10, v1
	ds_read_b128 v[10:13], v8 offset:16
	s_waitcnt lgkmcnt(2)
	v_fma_f32 v2, -v19, v3, v2
	v_fma_f32 v2, -v20, v4, v2
	;; [unrolled: 1-line block ×4, first 2 shown]
	s_waitcnt lgkmcnt(0)
	v_fma_f32 v2, -v14, v10, v2
	v_fma_f32 v2, -v7, v11, v2
	;; [unrolled: 1-line block ×3, first 2 shown]
	v_mul_f32_e32 v1, v1, v13
	v_add_u32_e32 v2, s11, v9
	s_add_i32 s8, s8, 8
	ds_write_b32 v2, v1
.LBB11_18:
	s_cmp_ge_i32 s8, s16
	s_cbranch_scc1 .LBB11_23
; %bb.19:
	v_mov_b32_e32 v1, 0x240
	s_mul_i32 s4, s8, 48
	v_lshl_or_b32 v1, v0, 2, v1
	s_branch .LBB11_21
.LBB11_20:                              ;   in Loop: Header=BB11_21 Depth=1
	s_mul_i32 s5, s8, 52
	v_mov_b32_e32 v4, s5
	ds_read_b32 v4, v4
	s_add_i32 s8, s8, 1
	s_add_i32 s4, s4, 48
	s_cmp_ge_i32 s8, s16
	s_waitcnt lgkmcnt(0)
	v_mul_f32_e32 v3, v3, v4
	ds_write_b32 v2, v3
	s_cbranch_scc1 .LBB11_23
.LBB11_21:                              ; =>This Loop Header: Depth=1
                                        ;     Child Loop BB11_22 Depth 2
	s_mul_i32 s5, s8, 48
	v_add_u32_e32 v2, s5, v9
	ds_read_b32 v3, v2
	s_cmp_eq_u32 s8, 0
	v_mov_b32_e32 v4, v1
	s_mov_b32 s5, s8
	s_mov_b32 s11, s4
	s_cbranch_scc1 .LBB11_20
.LBB11_22:                              ;   Parent Loop BB11_21 Depth=1
                                        ; =>  This Inner Loop Header: Depth=2
	v_mov_b32_e32 v6, s11
	ds_read_b32 v5, v4
	ds_read_b32 v6, v6
	s_add_i32 s11, s11, 4
	s_add_i32 s5, s5, -1
	v_add_u32_e32 v4, 48, v4
	s_cmp_lg_u32 s5, 0
	s_waitcnt lgkmcnt(0)
	v_fma_f32 v3, -v5, v6, v3
	s_cbranch_scc1 .LBB11_22
	s_branch .LBB11_20
.LBB11_23:
	s_mov_b64 s[4:5], 0
.LBB11_24:
	s_and_b64 vcc, exec, s[4:5]
	s_cbranch_vccz .LBB11_50
; %bb.25:
	s_add_i32 s4, s16, -1
	s_cmp_gt_i32 s10, 11
	s_mov_b32 s5, -1
	s_cbranch_scc0 .LBB11_27
; %bb.26:
	ds_read2_b32 v[10:11], v9 offset0:120 offset1:132
	v_mov_b32_e32 v18, 0
	ds_read_b128 v[1:4], v18 offset:560
	ds_read2_b32 v[12:13], v9 offset0:96 offset1:108
	ds_read2_b32 v[14:15], v9 offset0:72 offset1:84
	;; [unrolled: 1-line block ×3, first 2 shown]
	s_waitcnt lgkmcnt(3)
	v_mul_f32_e32 v19, v11, v4
	ds_read_b128 v[4:7], v18 offset:544
	v_fma_f32 v8, -v19, v3, v10
	s_waitcnt lgkmcnt(3)
	v_fma_f32 v20, -v19, v2, v13
	v_fma_f32 v21, -v19, v1, v12
	ds_read_b128 v[10:13], v18 offset:528
	ds_read2_b32 v[1:2], v9 offset0:24 offset1:36
	s_waitcnt lgkmcnt(2)
	v_fma_f32 v22, -v19, v7, v15
	v_fma_f32 v23, -v19, v6, v14
	ds_read2_b32 v[6:7], v9 offset1:12
	v_fma_f32 v24, -v19, v4, v16
	s_waitcnt lgkmcnt(1)
	v_fma_f32 v25, -v19, v13, v2
	v_fma_f32 v26, -v19, v12, v1
	ds_read_b96 v[14:16], v18 offset:512
	ds_read_b128 v[1:4], v18 offset:496
	v_fma_f32 v5, -v19, v5, v17
	s_waitcnt lgkmcnt(2)
	v_fma_f32 v27, -v19, v11, v7
	v_fma_f32 v28, -v19, v10, v6
	s_waitcnt lgkmcnt(1)
	v_mul_f32_e32 v29, v8, v16
	ds_read_b64 v[16:17], v18 offset:464
	s_waitcnt lgkmcnt(1)
	v_fma_f32 v30, -v29, v2, v5
	v_fma_f32 v5, -v29, v15, v20
	;; [unrolled: 1-line block ×5, first 2 shown]
	ds_read_b128 v[1:4], v18 offset:480
	s_waitcnt lgkmcnt(1)
	v_mul_f32_e32 v20, v5, v17
	ds_read_b128 v[5:8], v18 offset:448
	ds_read_b128 v[10:13], v18 offset:432
	s_waitcnt lgkmcnt(2)
	v_fma_f32 v4, -v29, v4, v25
	s_waitcnt lgkmcnt(1)
	v_fma_f32 v17, -v20, v7, v23
	v_fma_f32 v23, -v20, v5, v24
	;; [unrolled: 1-line block ×6, first 2 shown]
	ds_read_b32 v16, v18 offset:416
	ds_read_b128 v[5:8], v18 offset:400
	v_fma_f32 v3, -v29, v3, v26
	v_fma_f32 v2, -v29, v2, v27
	;; [unrolled: 1-line block ×3, first 2 shown]
	s_waitcnt lgkmcnt(1)
	v_mul_f32_e32 v21, v14, v16
	s_waitcnt lgkmcnt(0)
	v_fma_f32 v24, -v21, v8, v15
	v_fma_f32 v30, -v21, v7, v17
	;; [unrolled: 1-line block ×4, first 2 shown]
	ds_read_b128 v[5:8], v18 offset:352
	ds_read_b128 v[14:17], v18 offset:384
	ds_write2_b32 v9, v29, v19 offset0:120 offset1:132
	ds_write2_b32 v9, v21, v20 offset0:96 offset1:108
	v_fma_f32 v4, -v20, v13, v4
	v_fma_f32 v3, -v20, v12, v3
	s_waitcnt lgkmcnt(3)
	v_mul_f32_e32 v24, v24, v8
	v_fma_f32 v8, -v24, v7, v30
	v_fma_f32 v22, -v24, v6, v22
	;; [unrolled: 1-line block ×3, first 2 shown]
	ds_read_b96 v[5:7], v18 offset:304
	v_fma_f32 v2, -v20, v11, v2
	v_fma_f32 v1, -v20, v10, v1
	s_waitcnt lgkmcnt(3)
	v_fma_f32 v12, -v21, v17, v4
	v_fma_f32 v13, -v21, v16, v3
	;; [unrolled: 1-line block ×4, first 2 shown]
	ds_read_b128 v[1:4], v18 offset:336
	s_waitcnt lgkmcnt(1)
	v_mul_f32_e32 v16, v8, v7
	ds_read_b64 v[10:11], v18 offset:256
	v_fma_f32 v17, -v16, v6, v22
	v_fma_f32 v19, -v16, v5, v23
	ds_read_b128 v[5:8], v18 offset:288
	ds_write2_b32 v9, v16, v24 offset0:72 offset1:84
	s_waitcnt lgkmcnt(2)
	v_mul_f32_e32 v17, v17, v11
	v_fma_f32 v4, -v24, v4, v12
	v_fma_f32 v10, -v17, v10, v19
	s_waitcnt lgkmcnt(1)
	v_fma_f32 v19, -v16, v8, v4
	v_fma_f32 v8, -v24, v3, v13
	;; [unrolled: 1-line block ×4, first 2 shown]
	ds_read_b32 v13, v18 offset:208
	ds_read_b128 v[1:4], v18 offset:240
	v_fma_f32 v14, -v16, v7, v8
	v_fma_f32 v15, -v16, v6, v11
	;; [unrolled: 1-line block ×3, first 2 shown]
	ds_read_b128 v[5:8], v18 offset:192
	s_waitcnt lgkmcnt(2)
	v_mul_f32_e32 v20, v10, v13
	ds_read_b128 v[10:13], v18 offset:144
	s_waitcnt lgkmcnt(2)
	v_fma_f32 v4, -v17, v4, v19
	ds_write2_b32 v9, v20, v17 offset0:48 offset1:60
	s_waitcnt lgkmcnt(2)
	v_fma_f32 v4, -v20, v8, v4
	v_fma_f32 v8, -v17, v3, v14
	;; [unrolled: 1-line block ×4, first 2 shown]
	ds_read_b96 v[1:3], v18 offset:96
	s_waitcnt lgkmcnt(2)
	v_mul_f32_e32 v4, v4, v13
	v_fma_f32 v7, -v20, v7, v8
	v_fma_f32 v12, -v4, v12, v7
	ds_read_b64 v[7:8], v18 offset:48
	v_fma_f32 v6, -v20, v6, v14
	s_waitcnt lgkmcnt(1)
	v_mul_f32_e32 v3, v12, v3
	v_fma_f32 v6, -v4, v11, v6
	v_fma_f32 v2, -v3, v2, v6
	ds_read_b32 v6, v18
	v_fma_f32 v5, -v20, v5, v15
	ds_write2_b32 v9, v3, v4 offset0:24 offset1:36
	v_fma_f32 v4, -v4, v10, v5
	s_waitcnt lgkmcnt(2)
	v_mul_f32_e32 v2, v2, v8
	v_fma_f32 v1, -v3, v1, v4
	v_fma_f32 v1, -v2, v7, v1
	s_waitcnt lgkmcnt(1)
	v_mul_f32_e32 v1, v1, v6
	ds_write2_b32 v9, v1, v2 offset1:12
	s_cmp_gt_i32 s5, -1
	s_cbranch_scc1 .LBB11_28
	s_branch .LBB11_50
.LBB11_27:
	s_mov_b32 s5, s4
	s_cmp_gt_i32 s5, -1
	s_cbranch_scc0 .LBB11_50
.LBB11_28:
	s_cmp_lt_u32 s5, 7
	s_cbranch_scc1 .LBB11_33
; %bb.29:
	s_mul_i32 s8, s5, 48
	v_add_u32_e32 v6, s8, v9
	v_subrev_u32_e32 v1, 48, v6
	v_add_u32_e32 v2, 0xffffffa0, v6
	v_add_u32_e32 v3, 0xffffff70, v6
	;; [unrolled: 1-line block ×6, first 2 shown]
	ds_read_b32 v10, v6
	ds_read_b32 v8, v1
	;; [unrolled: 1-line block ×8, first 2 shown]
	s_cmp_le_i32 s4, s5
	s_cbranch_scc1 .LBB11_32
; %bb.30:
	s_mul_i32 s10, s16, 48
	s_lshl_b32 s11, s5, 2
	v_lshl_add_u32 v11, v0, 2, s10
	s_add_i32 s10, s10, s11
	v_add_u32_e32 v11, 0x210, v11
	s_addk_i32 s10, 0xffb4
	s_mov_b32 s11, s4
.LBB11_31:                              ; =>This Inner Loop Header: Depth=1
	v_mov_b32_e32 v18, s10
	ds_read_b32 v20, v11
	ds_read2_b32 v[12:13], v18 offset0:6 offset1:7
	ds_read2_b32 v[14:15], v18 offset0:4 offset1:5
	;; [unrolled: 1-line block ×3, first 2 shown]
	ds_read2_b32 v[18:19], v18 offset1:1
	s_add_i32 s11, s11, -1
	s_sub_i32 s10, s10, 48
	v_subrev_u32_e32 v11, 48, v11
	s_cmp_gt_i32 s11, s5
	s_waitcnt lgkmcnt(3)
	v_fma_f32 v10, -v20, v13, v10
	v_fma_f32 v8, -v20, v12, v8
	s_waitcnt lgkmcnt(2)
	v_fma_f32 v7, -v20, v15, v7
	v_fma_f32 v5, -v20, v14, v5
	;; [unrolled: 3-line block ×4, first 2 shown]
	s_cbranch_scc1 .LBB11_31
.LBB11_32:
	s_lshl_b32 s10, s5, 2
	s_add_i32 s11, s10, -4
	s_add_i32 s11, s11, s8
	v_mov_b32_e32 v11, s11
	ds_read2_b32 v[11:12], v11 offset1:1
	s_sub_i32 s11, s11, 48
	v_mov_b32_e32 v13, s11
	s_sub_i32 s11, s8, 48
	s_add_i32 s12, s10, -12
	s_add_i32 s13, s12, s8
	s_add_i32 s14, s12, s11
	v_mov_b32_e32 v14, s13
	v_mov_b32_e32 v15, s14
	ds_read_b32 v17, v13
	ds_read2_b32 v[13:14], v14 offset1:1
	ds_read2_b32 v[15:16], v15 offset1:1
	s_waitcnt lgkmcnt(3)
	v_mul_f32_e32 v18, v10, v12
	ds_write_b32 v6, v18
	v_fma_f32 v6, -v18, v11, v8
	s_waitcnt lgkmcnt(3)
	v_mul_f32_e32 v19, v6, v17
	v_add_u32_e32 v6, s11, v9
	s_add_i32 s14, s8, 0xffffffa0
	ds_write_b32 v6, v19
	s_waitcnt lgkmcnt(3)
	v_fma_f32 v6, -v18, v14, v7
	s_add_i32 s12, s12, s14
	s_waitcnt lgkmcnt(2)
	v_fma_f32 v8, -v19, v16, v6
	v_mov_b32_e32 v6, s12
	s_add_i32 s12, s13, 0xffffff70
	v_mov_b32_e32 v10, s12
	s_sub_i32 s12, s10, 20
	s_add_i32 s13, s12, s8
	v_mov_b32_e32 v11, s13
	s_add_i32 s15, s12, s11
	ds_read2_b32 v[6:7], v6 offset1:1
	v_mov_b32_e32 v12, s15
	ds_read_b32 v14, v10
	ds_read2_b32 v[10:11], v11 offset1:1
	ds_read2_b32 v[16:17], v12 offset1:1
	v_fma_f32 v5, -v18, v13, v5
	s_add_i32 s15, s8, 0xffffff70
	s_add_i32 s17, s12, s14
	s_waitcnt lgkmcnt(1)
	v_fma_f32 v4, -v18, v11, v4
	v_mul_f32_e32 v20, v8, v7
	v_fma_f32 v5, -v19, v15, v5
	s_waitcnt lgkmcnt(0)
	v_fma_f32 v8, -v19, v17, v4
	v_mov_b32_e32 v4, s17
	s_add_i32 s17, s12, s15
	v_fma_f32 v5, -v20, v6, v5
	v_mov_b32_e32 v6, s17
	s_add_i32 s17, s8, 0xffffff40
	v_add_u32_e32 v7, s14, v9
	v_mul_f32_e32 v13, v5, v14
	v_add_u32_e32 v5, s15, v9
	s_add_i32 s12, s12, s17
	ds_write_b32 v7, v20
	ds_write_b32 v5, v13
	v_mov_b32_e32 v11, s12
	ds_read2_b32 v[4:5], v4 offset1:1
	ds_read2_b32 v[6:7], v6 offset1:1
	;; [unrolled: 1-line block ×3, first 2 shown]
	s_add_i32 s12, s13, 0xffffff10
	v_mov_b32_e32 v14, s12
	ds_read_b32 v14, v14
	s_waitcnt lgkmcnt(3)
	v_fma_f32 v5, -v20, v5, v8
	v_fma_f32 v3, -v18, v10, v3
	s_waitcnt lgkmcnt(2)
	v_fma_f32 v5, -v13, v7, v5
	v_fma_f32 v3, -v19, v16, v3
	s_sub_i32 s10, s10, 28
	s_waitcnt lgkmcnt(1)
	v_mul_f32_e32 v15, v5, v12
	v_add_u32_e32 v5, s17, v9
	v_fma_f32 v3, -v20, v4, v3
	s_add_i32 s11, s10, s11
	ds_write_b32 v5, v15
	v_fma_f32 v3, -v13, v6, v3
	v_mov_b32_e32 v5, s11
	s_add_i32 s11, s10, s14
	v_fma_f32 v3, -v15, v11, v3
	s_add_i32 s13, s10, s8
	v_mov_b32_e32 v7, s11
	s_add_i32 s11, s10, s15
	s_waitcnt lgkmcnt(1)
	v_mul_f32_e32 v14, v3, v14
	v_mov_b32_e32 v3, s13
	v_mov_b32_e32 v10, s11
	ds_read2_b32 v[3:4], v3 offset1:1
	ds_read2_b32 v[5:6], v5 offset1:1
	;; [unrolled: 1-line block ×4, first 2 shown]
	s_add_i32 s12, s8, 0xffffff10
	s_waitcnt lgkmcnt(3)
	v_fma_f32 v2, -v18, v4, v2
	s_waitcnt lgkmcnt(2)
	v_fma_f32 v2, -v19, v6, v2
	;; [unrolled: 2-line block ×3, first 2 shown]
	s_add_i32 s11, s10, s17
	v_add_u32_e32 v12, s12, v9
	s_waitcnt lgkmcnt(0)
	v_fma_f32 v6, -v13, v11, v2
	v_mov_b32_e32 v2, s11
	s_add_i32 s11, s10, s12
	s_addk_i32 s8, 0xfee0
	ds_write_b32 v12, v14
	v_mov_b32_e32 v4, s11
	s_add_i32 s10, s10, s8
	v_mov_b32_e32 v8, s10
	v_fma_f32 v16, -v18, v3, v1
	ds_read2_b32 v[1:2], v2 offset1:1
	ds_read2_b32 v[3:4], v4 offset1:1
	;; [unrolled: 1-line block ×3, first 2 shown]
	s_add_i32 s10, s13, 0xfffffeb0
	v_fma_f32 v5, -v19, v5, v16
	v_mov_b32_e32 v8, s10
	ds_read_b32 v8, v8
	v_fma_f32 v5, -v20, v7, v5
	s_waitcnt lgkmcnt(3)
	v_fma_f32 v2, -v15, v2, v6
	v_fma_f32 v5, -v13, v10, v5
	s_waitcnt lgkmcnt(2)
	v_fma_f32 v2, -v14, v4, v2
	v_fma_f32 v1, -v15, v1, v5
	s_waitcnt lgkmcnt(1)
	v_mul_f32_e32 v2, v2, v12
	v_fma_f32 v1, -v14, v3, v1
	v_add_u32_e32 v4, s8, v9
	v_fma_f32 v1, -v2, v11, v1
	ds_write_b32 v4, v2
	s_waitcnt lgkmcnt(1)
	v_mul_f32_e32 v1, v1, v8
	v_subrev_u32_e32 v2, 48, v4
	s_add_i32 s5, s5, -8
	ds_write_b32 v2, v1
.LBB11_33:
	s_cmp_lt_i32 s5, 0
	s_cbranch_scc1 .LBB11_50
; %bb.34:
	s_and_b32 s8, s5, 3
	s_cmp_eq_u32 s8, 3
	s_mul_i32 s10, s16, 48
	s_mov_b32 s8, s5
	s_cbranch_scc1 .LBB11_39
; %bb.35:
	s_add_i32 s8, s5, 1
	s_and_b32 s11, s8, 3
	s_lshl_b32 s8, s5, 2
	s_add_i32 s8, s10, s8
	v_lshl_add_u32 v1, v0, 2, s10
	s_sub_i32 s12, s8, 48
	v_add_u32_e32 v1, 0x210, v1
	s_mov_b32 s13, 0
	s_mov_b32 s8, s5
	s_branch .LBB11_37
.LBB11_36:                              ;   in Loop: Header=BB11_37 Depth=1
	s_mul_i32 s14, s8, 52
	v_mov_b32_e32 v4, s14
	ds_read_b32 v4, v4
	s_add_i32 s8, s8, -1
	s_add_i32 s13, s13, 1
	s_add_i32 s12, s12, -4
	s_cmp_lg_u32 s13, s11
	s_waitcnt lgkmcnt(0)
	v_mul_f32_e32 v3, v3, v4
	ds_write_b32 v2, v3
	s_cbranch_scc0 .LBB11_39
.LBB11_37:                              ; =>This Loop Header: Depth=1
                                        ;     Child Loop BB11_38 Depth 2
	s_mul_i32 s14, s8, 48
	v_add_u32_e32 v2, s14, v9
	ds_read_b32 v3, v2
	s_cmp_le_i32 s4, s8
	v_mov_b32_e32 v4, v1
	s_mov_b32 s14, s12
	s_mov_b32 s15, s4
	s_cbranch_scc1 .LBB11_36
.LBB11_38:                              ;   Parent Loop BB11_37 Depth=1
                                        ; =>  This Inner Loop Header: Depth=2
	v_mov_b32_e32 v6, s14
	ds_read_b32 v5, v4
	ds_read_b32 v6, v6
	s_add_i32 s15, s15, -1
	s_sub_i32 s14, s14, 48
	v_subrev_u32_e32 v4, 48, v4
	s_cmp_gt_i32 s15, s8
	s_waitcnt lgkmcnt(0)
	v_fma_f32 v3, -v5, v6, v3
	s_cbranch_scc1 .LBB11_38
	s_branch .LBB11_36
.LBB11_39:
	s_cmp_lt_u32 s5, 3
	s_cbranch_scc1 .LBB11_50
; %bb.40:
	s_lshl_b32 s5, s8, 2
	s_add_i32 s12, s10, s5
	v_lshl_add_u32 v1, v0, 2, s10
	s_sub_i32 s5, s12, 48
	v_add_u32_e32 v1, 0x210, v1
	s_sub_i32 s10, s12, 52
	s_sub_i32 s11, s12, 56
	;; [unrolled: 1-line block ×3, first 2 shown]
	s_branch .LBB11_42
.LBB11_41:                              ;   in Loop: Header=BB11_42 Depth=1
	s_sub_i32 s13, s14, 52
	v_mov_b32_e32 v3, s13
	ds_read_b32 v3, v3
	s_add_i32 s13, s8, -4
	s_add_i32 s5, s5, -16
	;; [unrolled: 1-line block ×5, first 2 shown]
	s_waitcnt lgkmcnt(0)
	v_mul_f32_e32 v3, v5, v3
	s_cmp_lt_i32 s8, 4
	s_mov_b32 s8, s13
	ds_write_b32 v2, v3
	s_cbranch_scc1 .LBB11_50
.LBB11_42:                              ; =>This Loop Header: Depth=1
                                        ;     Child Loop BB11_43 Depth 2
                                        ;     Child Loop BB11_45 Depth 2
	;; [unrolled: 1-line block ×4, first 2 shown]
	s_mul_i32 s13, s8, 48
	v_add_u32_e32 v3, s13, v9
	ds_read_b32 v4, v3
	s_cmp_le_i32 s4, s8
	v_mov_b32_e32 v2, v1
	s_mov_b32 s14, s5
	s_mov_b32 s15, s4
	s_cbranch_scc1 .LBB11_44
.LBB11_43:                              ;   Parent Loop BB11_42 Depth=1
                                        ; =>  This Inner Loop Header: Depth=2
	v_mov_b32_e32 v6, s14
	ds_read_b32 v5, v2
	ds_read_b32 v6, v6
	s_add_i32 s15, s15, -1
	s_sub_i32 s14, s14, 48
	v_subrev_u32_e32 v2, 48, v2
	s_cmp_gt_i32 s15, s8
	s_waitcnt lgkmcnt(0)
	v_fma_f32 v4, -v5, v6, v4
	s_cbranch_scc1 .LBB11_43
.LBB11_44:                              ;   in Loop: Header=BB11_42 Depth=1
	s_mul_i32 s14, s8, 52
	v_mov_b32_e32 v2, s14
	ds_read_b32 v6, v2
	s_sub_i32 s13, s13, 48
	v_add_u32_e32 v2, s13, v9
	ds_read_b32 v5, v2
	s_cmp_le_i32 s16, s8
	s_waitcnt lgkmcnt(1)
	v_mul_f32_e32 v4, v4, v6
	ds_write_b32 v3, v4
	v_mov_b32_e32 v3, v1
	s_mov_b32 s15, s10
	s_mov_b32 s17, s16
	s_cbranch_scc1 .LBB11_46
.LBB11_45:                              ;   Parent Loop BB11_42 Depth=1
                                        ; =>  This Inner Loop Header: Depth=2
	v_mov_b32_e32 v6, s15
	ds_read_b32 v4, v3
	ds_read_b32 v6, v6
	s_add_i32 s17, s17, -1
	s_sub_i32 s15, s15, 48
	v_subrev_u32_e32 v3, 48, v3
	s_cmp_gt_i32 s17, s8
	s_waitcnt lgkmcnt(0)
	v_fma_f32 v5, -v4, v6, v5
	s_cbranch_scc1 .LBB11_45
.LBB11_46:                              ;   in Loop: Header=BB11_42 Depth=1
	s_sub_i32 s14, s14, 52
	v_mov_b32_e32 v3, s14
	ds_read_b32 v6, v3
	s_sub_i32 s13, s13, 48
	v_add_u32_e32 v3, s13, v9
	ds_read_b32 v4, v3
	s_add_i32 s15, s8, -2
	s_waitcnt lgkmcnt(1)
	v_mul_f32_e32 v5, v5, v6
	ds_write_b32 v2, v5
	s_cmp_le_i32 s4, s15
	v_mov_b32_e32 v2, v1
	s_mov_b32 s17, s11
	s_mov_b32 s18, s4
	s_cbranch_scc1 .LBB11_48
.LBB11_47:                              ;   Parent Loop BB11_42 Depth=1
                                        ; =>  This Inner Loop Header: Depth=2
	v_mov_b32_e32 v6, s17
	ds_read_b32 v5, v2
	ds_read_b32 v6, v6
	s_add_i32 s18, s18, -1
	s_sub_i32 s17, s17, 48
	v_subrev_u32_e32 v2, 48, v2
	s_cmp_gt_i32 s18, s15
	s_waitcnt lgkmcnt(0)
	v_fma_f32 v4, -v5, v6, v4
	s_cbranch_scc1 .LBB11_47
.LBB11_48:                              ;   in Loop: Header=BB11_42 Depth=1
	s_sub_i32 s14, s14, 52
	v_mov_b32_e32 v2, s14
	ds_read_b32 v6, v2
	s_sub_i32 s13, s13, 48
	v_add_u32_e32 v2, s13, v9
	ds_read_b32 v5, v2
	s_add_i32 s15, s8, -3
	s_waitcnt lgkmcnt(1)
	v_mul_f32_e32 v4, v4, v6
	ds_write_b32 v3, v4
	s_cmp_le_i32 s4, s15
	v_mov_b32_e32 v3, v1
	s_mov_b32 s13, s12
	s_mov_b32 s17, s4
	s_cbranch_scc1 .LBB11_41
.LBB11_49:                              ;   Parent Loop BB11_42 Depth=1
                                        ; =>  This Inner Loop Header: Depth=2
	v_mov_b32_e32 v6, s13
	ds_read_b32 v4, v3
	ds_read_b32 v6, v6
	s_add_i32 s17, s17, -1
	s_sub_i32 s13, s13, 48
	v_subrev_u32_e32 v3, 48, v3
	s_cmp_gt_i32 s17, s15
	s_waitcnt lgkmcnt(0)
	v_fma_f32 v5, -v4, v6, v5
	s_cbranch_scc1 .LBB11_49
	s_branch .LBB11_41
.LBB11_50:
	s_waitcnt lgkmcnt(0)
	; wave barrier
	s_and_saveexec_b64 s[4:5], s[0:1]
	s_cbranch_execz .LBB11_54
; %bb.51:
	s_andn2_b64 vcc, exec, s[2:3]
	s_cbranch_vccnz .LBB11_54
; %bb.52:
	v_mad_i64_i32 v[1:2], s[0:1], s9, v0, 0
	v_mov_b32_e32 v3, s7
	v_lshlrev_b64 v[1:2], 2, v[1:2]
	v_add_co_u32_e32 v1, vcc, s6, v1
	v_addc_co_u32_e32 v2, vcc, v3, v2, vcc
	v_mov_b32_e32 v3, 0x240
	v_lshl_or_b32 v0, v0, 2, v3
.LBB11_53:                              ; =>This Inner Loop Header: Depth=1
	ds_read_b32 v3, v0
	s_add_i32 s16, s16, -1
	v_add_u32_e32 v0, 48, v0
	s_cmp_lg_u32 s16, 0
	s_waitcnt lgkmcnt(0)
	global_store_dword v[1:2], v3, off
	v_add_co_u32_e32 v1, vcc, 4, v1
	v_addc_co_u32_e32 v2, vcc, 0, v2, vcc
	s_cbranch_scc1 .LBB11_53
.LBB11_54:
	s_endpgm
	.section	.rodata,"a",@progbits
	.p2align	6, 0x0
	.amdhsa_kernel _ZL38rocblas_trsm_small_left_device_sharedBILi12ELi12ELb0EffPKfPfEv13rocblas_fill_18rocblas_operation_17rocblas_diagonal_iiT3_T4_lilT5_lili
		.amdhsa_group_segment_fixed_size 1152
		.amdhsa_private_segment_fixed_size 0
		.amdhsa_kernarg_size 352
		.amdhsa_user_sgpr_count 6
		.amdhsa_user_sgpr_private_segment_buffer 1
		.amdhsa_user_sgpr_dispatch_ptr 0
		.amdhsa_user_sgpr_queue_ptr 0
		.amdhsa_user_sgpr_kernarg_segment_ptr 1
		.amdhsa_user_sgpr_dispatch_id 0
		.amdhsa_user_sgpr_flat_scratch_init 0
		.amdhsa_user_sgpr_private_segment_size 0
		.amdhsa_uses_dynamic_stack 0
		.amdhsa_system_sgpr_private_segment_wavefront_offset 0
		.amdhsa_system_sgpr_workgroup_id_x 1
		.amdhsa_system_sgpr_workgroup_id_y 0
		.amdhsa_system_sgpr_workgroup_id_z 1
		.amdhsa_system_sgpr_workgroup_info 0
		.amdhsa_system_vgpr_workitem_id 0
		.amdhsa_next_free_vgpr 32
		.amdhsa_next_free_sgpr 24
		.amdhsa_reserve_vcc 1
		.amdhsa_reserve_flat_scratch 0
		.amdhsa_float_round_mode_32 0
		.amdhsa_float_round_mode_16_64 0
		.amdhsa_float_denorm_mode_32 3
		.amdhsa_float_denorm_mode_16_64 3
		.amdhsa_dx10_clamp 1
		.amdhsa_ieee_mode 1
		.amdhsa_fp16_overflow 0
		.amdhsa_exception_fp_ieee_invalid_op 0
		.amdhsa_exception_fp_denorm_src 0
		.amdhsa_exception_fp_ieee_div_zero 0
		.amdhsa_exception_fp_ieee_overflow 0
		.amdhsa_exception_fp_ieee_underflow 0
		.amdhsa_exception_fp_ieee_inexact 0
		.amdhsa_exception_int_div_zero 0
	.end_amdhsa_kernel
	.section	.text._ZL38rocblas_trsm_small_left_device_sharedBILi12ELi12ELb0EffPKfPfEv13rocblas_fill_18rocblas_operation_17rocblas_diagonal_iiT3_T4_lilT5_lili,"axG",@progbits,_ZL38rocblas_trsm_small_left_device_sharedBILi12ELi12ELb0EffPKfPfEv13rocblas_fill_18rocblas_operation_17rocblas_diagonal_iiT3_T4_lilT5_lili,comdat
.Lfunc_end11:
	.size	_ZL38rocblas_trsm_small_left_device_sharedBILi12ELi12ELb0EffPKfPfEv13rocblas_fill_18rocblas_operation_17rocblas_diagonal_iiT3_T4_lilT5_lili, .Lfunc_end11-_ZL38rocblas_trsm_small_left_device_sharedBILi12ELi12ELb0EffPKfPfEv13rocblas_fill_18rocblas_operation_17rocblas_diagonal_iiT3_T4_lilT5_lili
                                        ; -- End function
	.set _ZL38rocblas_trsm_small_left_device_sharedBILi12ELi12ELb0EffPKfPfEv13rocblas_fill_18rocblas_operation_17rocblas_diagonal_iiT3_T4_lilT5_lili.num_vgpr, 32
	.set _ZL38rocblas_trsm_small_left_device_sharedBILi12ELi12ELb0EffPKfPfEv13rocblas_fill_18rocblas_operation_17rocblas_diagonal_iiT3_T4_lilT5_lili.num_agpr, 0
	.set _ZL38rocblas_trsm_small_left_device_sharedBILi12ELi12ELb0EffPKfPfEv13rocblas_fill_18rocblas_operation_17rocblas_diagonal_iiT3_T4_lilT5_lili.numbered_sgpr, 24
	.set _ZL38rocblas_trsm_small_left_device_sharedBILi12ELi12ELb0EffPKfPfEv13rocblas_fill_18rocblas_operation_17rocblas_diagonal_iiT3_T4_lilT5_lili.num_named_barrier, 0
	.set _ZL38rocblas_trsm_small_left_device_sharedBILi12ELi12ELb0EffPKfPfEv13rocblas_fill_18rocblas_operation_17rocblas_diagonal_iiT3_T4_lilT5_lili.private_seg_size, 0
	.set _ZL38rocblas_trsm_small_left_device_sharedBILi12ELi12ELb0EffPKfPfEv13rocblas_fill_18rocblas_operation_17rocblas_diagonal_iiT3_T4_lilT5_lili.uses_vcc, 1
	.set _ZL38rocblas_trsm_small_left_device_sharedBILi12ELi12ELb0EffPKfPfEv13rocblas_fill_18rocblas_operation_17rocblas_diagonal_iiT3_T4_lilT5_lili.uses_flat_scratch, 0
	.set _ZL38rocblas_trsm_small_left_device_sharedBILi12ELi12ELb0EffPKfPfEv13rocblas_fill_18rocblas_operation_17rocblas_diagonal_iiT3_T4_lilT5_lili.has_dyn_sized_stack, 0
	.set _ZL38rocblas_trsm_small_left_device_sharedBILi12ELi12ELb0EffPKfPfEv13rocblas_fill_18rocblas_operation_17rocblas_diagonal_iiT3_T4_lilT5_lili.has_recursion, 0
	.set _ZL38rocblas_trsm_small_left_device_sharedBILi12ELi12ELb0EffPKfPfEv13rocblas_fill_18rocblas_operation_17rocblas_diagonal_iiT3_T4_lilT5_lili.has_indirect_call, 0
	.section	.AMDGPU.csdata,"",@progbits
; Kernel info:
; codeLenInByte = 5900
; TotalNumSgprs: 28
; NumVgprs: 32
; ScratchSize: 0
; MemoryBound: 0
; FloatMode: 240
; IeeeMode: 1
; LDSByteSize: 1152 bytes/workgroup (compile time only)
; SGPRBlocks: 3
; VGPRBlocks: 7
; NumSGPRsForWavesPerEU: 28
; NumVGPRsForWavesPerEU: 32
; Occupancy: 8
; WaveLimiterHint : 0
; COMPUTE_PGM_RSRC2:SCRATCH_EN: 0
; COMPUTE_PGM_RSRC2:USER_SGPR: 6
; COMPUTE_PGM_RSRC2:TRAP_HANDLER: 0
; COMPUTE_PGM_RSRC2:TGID_X_EN: 1
; COMPUTE_PGM_RSRC2:TGID_Y_EN: 0
; COMPUTE_PGM_RSRC2:TGID_Z_EN: 1
; COMPUTE_PGM_RSRC2:TIDIG_COMP_CNT: 0
	.section	.text._ZL30rocblas_trsm_small_left_deviceILi12ELi12ELb0EffPKfPfEv13rocblas_fill_18rocblas_operation_17rocblas_diagonal_iiT3_T4_lilT5_lili,"axG",@progbits,_ZL30rocblas_trsm_small_left_deviceILi12ELi12ELb0EffPKfPfEv13rocblas_fill_18rocblas_operation_17rocblas_diagonal_iiT3_T4_lilT5_lili,comdat
	.globl	_ZL30rocblas_trsm_small_left_deviceILi12ELi12ELb0EffPKfPfEv13rocblas_fill_18rocblas_operation_17rocblas_diagonal_iiT3_T4_lilT5_lili ; -- Begin function _ZL30rocblas_trsm_small_left_deviceILi12ELi12ELb0EffPKfPfEv13rocblas_fill_18rocblas_operation_17rocblas_diagonal_iiT3_T4_lilT5_lili
	.p2align	8
	.type	_ZL30rocblas_trsm_small_left_deviceILi12ELi12ELb0EffPKfPfEv13rocblas_fill_18rocblas_operation_17rocblas_diagonal_iiT3_T4_lilT5_lili,@function
_ZL30rocblas_trsm_small_left_deviceILi12ELi12ELb0EffPKfPfEv13rocblas_fill_18rocblas_operation_17rocblas_diagonal_iiT3_T4_lilT5_lili: ; @_ZL30rocblas_trsm_small_left_deviceILi12ELi12ELb0EffPKfPfEv13rocblas_fill_18rocblas_operation_17rocblas_diagonal_iiT3_T4_lilT5_lili
; %bb.0:
	s_load_dwordx4 s[0:3], s[4:5], 0x4
	s_load_dword s16, s[4:5], 0x14
	s_load_dwordx4 s[8:11], s[4:5], 0x30
	s_load_dwordx2 s[12:13], s[4:5], 0x40
	s_waitcnt lgkmcnt(0)
	s_min_i32 s17, s2, 12
	v_cmp_gt_i32_e32 vcc, s17, v0
	s_and_saveexec_b64 s[14:15], vcc
	s_cbranch_execz .LBB12_6
; %bb.1:
	s_load_dword s18, s[4:5], 0x28
	s_load_dwordx4 s[20:23], s[4:5], 0x18
	s_mul_i32 s9, s9, s7
	s_mul_hi_u32 s19, s8, s7
	s_add_i32 s9, s19, s9
	s_mul_i32 s8, s8, s7
	s_waitcnt lgkmcnt(0)
	s_ashr_i32 s19, s18, 31
	s_lshl_b64 s[8:9], s[8:9], 2
	s_add_u32 s20, s20, s8
	s_addc_u32 s21, s21, s9
	s_lshl_b64 s[8:9], s[22:23], 2
	s_add_u32 s8, s20, s8
	s_addc_u32 s9, s21, s9
	v_lshlrev_b32_e32 v3, 2, v0
	v_mov_b32_e32 v2, s9
	v_add_co_u32_e32 v1, vcc, s8, v3
	s_lshl_b64 s[8:9], s[18:19], 2
	v_addc_co_u32_e32 v2, vcc, 0, v2, vcc
	v_mov_b32_e32 v4, s9
	v_mov_b32_e32 v5, v3
	s_mov_b32 s9, s17
.LBB12_2:                               ; =>This Inner Loop Header: Depth=1
	global_load_dword v6, v[1:2], off
	v_add_co_u32_e32 v1, vcc, s8, v1
	s_add_i32 s9, s9, -1
	v_addc_co_u32_e32 v2, vcc, v2, v4, vcc
	s_cmp_eq_u32 s9, 0
	s_waitcnt vmcnt(0)
	ds_write_b32 v5, v6
	v_add_u32_e32 v5, 48, v5
	s_cbranch_scc0 .LBB12_2
; %bb.3:
	v_mul_u32_u24_e32 v1, 48, v0
	s_cmpk_lg_i32 s1, 0x84
	v_mov_b32_e32 v2, 1.0
	v_add_u32_e32 v1, v3, v1
	s_cbranch_scc0 .LBB12_5
; %bb.4:
	ds_read_b32 v2, v1
	s_waitcnt lgkmcnt(0)
	v_div_scale_f32 v3, s[8:9], v2, v2, 1.0
	v_div_scale_f32 v4, vcc, 1.0, v2, 1.0
	v_rcp_f32_e32 v5, v3
	v_fma_f32 v6, -v3, v5, 1.0
	v_fmac_f32_e32 v5, v6, v5
	v_mul_f32_e32 v6, v4, v5
	v_fma_f32 v7, -v3, v6, v4
	v_fmac_f32_e32 v6, v7, v5
	v_fma_f32 v3, -v3, v6, v4
	v_div_fmas_f32 v3, v3, v5, v6
	v_div_fixup_f32 v2, v3, v2, 1.0
.LBB12_5:
	ds_write_b32 v1, v2
.LBB12_6:
	s_or_b64 exec, exec, s[14:15]
	s_load_dword s1, s[4:5], 0x60
	s_mul_i32 s8, s6, -12
	s_add_i32 s3, s3, s8
	s_waitcnt lgkmcnt(0)
	; wave barrier
	s_add_i32 s1, s1, -1
	s_cmp_ge_u32 s6, s1
	s_cselect_b32 s1, s3, 12
	v_cmp_gt_i32_e32 vcc, s1, v0
	s_and_saveexec_b64 s[8:9], vcc
	s_cbranch_execz .LBB12_51
; %bb.7:
	s_load_dwordx2 s[8:9], s[4:5], 0x50
	s_load_dword s1, s[4:5], 0x48
	s_waitcnt lgkmcnt(0)
	s_mul_i32 s3, s9, s7
	s_mul_hi_u32 s5, s8, s7
	s_mul_i32 s4, s8, s7
	v_mad_u64_u32 v[0:1], s[6:7], s6, 12, v[0:1]
	s_add_i32 s5, s5, s3
	s_lshl_b64 s[4:5], s[4:5], 2
	v_mad_i64_i32 v[0:1], s[6:7], s1, v0, 0
	s_add_u32 s3, s10, s4
	s_addc_u32 s8, s11, s5
	s_lshl_b64 s[6:7], s[12:13], 2
	s_add_u32 s1, s3, s6
	v_lshlrev_b64 v[2:3], 2, v[0:1]
	s_addc_u32 s3, s8, s7
	v_mov_b32_e32 v1, s3
	v_add_co_u32_e32 v0, vcc, s1, v2
	v_addc_co_u32_e32 v1, vcc, v1, v3, vcc
	s_cmpk_eq_i32 s0, 0x6f
	s_mov_b64 s[0:1], -1
	s_cbranch_scc1 .LBB12_25
; %bb.8:
	s_cmp_lt_i32 s2, 12
	s_cselect_b64 s[0:1], -1, 0
	s_cmp_gt_i32 s2, 11
	s_cbranch_scc0 .LBB12_10
; %bb.9:
	global_load_dwordx4 v[4:7], v[0:1], off
	v_mov_b32_e32 v28, 0
	ds_read_b32 v8, v28
	ds_read_b64 v[13:14], v28 offset:48
	s_mov_b32 s8, 12
	ds_read_b128 v[16:19], v28 offset:240
	ds_read_b128 v[20:23], v28 offset:288
	;; [unrolled: 1-line block ×3, first 2 shown]
	s_waitcnt vmcnt(0)
	v_mul_f32_e32 v4, s16, v4
	s_waitcnt lgkmcnt(4)
	v_mul_f32_e32 v4, v4, v8
	s_waitcnt lgkmcnt(3)
	v_mul_f32_e32 v8, v4, v13
	ds_read_b96 v[11:13], v28 offset:96
	v_fma_f32 v5, s16, v5, -v8
	v_mul_f32_e32 v5, v5, v14
	s_waitcnt lgkmcnt(0)
	v_mul_f32_e32 v8, v4, v11
	v_fma_f32 v6, s16, v6, -v8
	v_fma_f32 v6, -v5, v12, v6
	v_mul_f32_e32 v6, v6, v13
	global_load_dwordx4 v[12:15], v[0:1], off offset:16
	ds_read_b128 v[8:11], v28 offset:144
	s_waitcnt lgkmcnt(0)
	v_mul_f32_e32 v8, v4, v8
	v_fma_f32 v7, s16, v7, -v8
	v_fma_f32 v7, -v5, v9, v7
	v_fma_f32 v7, -v6, v10, v7
	v_mul_f32_e32 v7, v7, v11
	ds_read_b128 v[8:11], v28 offset:192
	s_waitcnt lgkmcnt(0)
	v_mul_f32_e32 v8, v4, v8
	s_waitcnt vmcnt(0)
	v_fma_f32 v8, s16, v12, -v8
	v_mul_f32_e32 v12, v4, v16
	v_fma_f32 v12, s16, v13, -v12
	v_mul_f32_e32 v13, v4, v20
	v_fma_f32 v8, -v5, v9, v8
	v_fma_f32 v9, -v5, v17, v12
	v_fma_f32 v13, s16, v14, -v13
	v_fma_f32 v8, -v6, v10, v8
	v_fma_f32 v9, -v6, v18, v9
	v_mul_f32_e32 v14, v4, v24
	v_fma_f32 v8, -v7, v11, v8
	v_fma_f32 v11, -v7, v19, v9
	;; [unrolled: 1-line block ×3, first 2 shown]
	v_fma_f32 v14, s16, v15, -v14
	v_fma_f32 v9, -v6, v22, v9
	v_fma_f32 v13, -v7, v23, v9
	v_fma_f32 v9, -v5, v25, v14
	v_fma_f32 v9, -v6, v26, v9
	v_fma_f32 v15, -v7, v27, v9
	ds_read_b32 v12, v28 offset:208
	ds_read_b64 v[9:10], v28 offset:256
	global_load_dwordx4 v[16:19], v[0:1], off offset:32
	s_waitcnt lgkmcnt(1)
	v_mul_f32_e32 v8, v8, v12
	s_waitcnt lgkmcnt(0)
	v_fma_f32 v9, -v8, v9, v11
	v_mul_f32_e32 v9, v9, v10
	ds_read_b96 v[10:12], v28 offset:304
	s_waitcnt lgkmcnt(0)
	v_fma_f32 v10, -v8, v10, v13
	v_fma_f32 v10, -v9, v11, v10
	v_mul_f32_e32 v10, v10, v12
	ds_read_b128 v[11:14], v28 offset:352
	s_waitcnt lgkmcnt(0)
	v_fma_f32 v11, -v8, v11, v15
	v_fma_f32 v11, -v9, v12, v11
	;; [unrolled: 1-line block ×3, first 2 shown]
	v_mul_f32_e32 v11, v11, v14
	ds_read_b128 v[12:15], v28 offset:384
	s_waitcnt lgkmcnt(0)
	v_mul_f32_e32 v12, v4, v12
	s_waitcnt vmcnt(0)
	v_fma_f32 v12, s16, v16, -v12
	v_fma_f32 v12, -v5, v13, v12
	v_fma_f32 v12, -v6, v14, v12
	;; [unrolled: 1-line block ×3, first 2 shown]
	ds_read_b128 v[12:15], v28 offset:432
	s_waitcnt lgkmcnt(0)
	v_mul_f32_e32 v12, v4, v12
	v_fma_f32 v12, s16, v17, -v12
	v_fma_f32 v12, -v5, v13, v12
	v_fma_f32 v12, -v6, v14, v12
	;; [unrolled: 1-line block ×3, first 2 shown]
	ds_read_b128 v[12:15], v28 offset:480
	s_waitcnt lgkmcnt(0)
	v_mul_f32_e32 v12, v4, v12
	v_fma_f32 v12, s16, v18, -v12
	v_fma_f32 v12, -v5, v13, v12
	v_fma_f32 v12, -v6, v14, v12
	v_fma_f32 v18, -v7, v15, v12
	ds_read_b128 v[12:15], v28 offset:400
	s_waitcnt lgkmcnt(0)
	v_fma_f32 v12, -v8, v12, v16
	v_fma_f32 v12, -v9, v13, v12
	v_fma_f32 v12, -v10, v14, v12
	v_fma_f32 v16, -v11, v15, v12
	ds_read_b128 v[12:15], v28 offset:448
	s_waitcnt lgkmcnt(0)
	v_fma_f32 v12, -v8, v12, v17
	;; [unrolled: 6-line block ×3, first 2 shown]
	v_fma_f32 v12, -v9, v13, v12
	v_fma_f32 v12, -v10, v14, v12
	;; [unrolled: 1-line block ×3, first 2 shown]
	ds_read_b32 v12, v28 offset:416
	ds_read_b64 v[13:14], v28 offset:464
	global_store_dwordx4 v[0:1], v[4:7], off
	global_store_dwordx4 v[0:1], v[8:11], off offset:16
	s_waitcnt lgkmcnt(1)
	v_mul_f32_e32 v12, v16, v12
	s_waitcnt lgkmcnt(0)
	v_fma_f32 v13, -v12, v13, v17
	v_mul_f32_e32 v13, v13, v14
	ds_read_b96 v[14:16], v28 offset:512
	s_waitcnt lgkmcnt(0)
	v_fma_f32 v14, -v12, v14, v18
	v_fma_f32 v14, -v13, v15, v14
	v_mul_f32_e32 v14, v14, v16
	ds_read_b128 v[15:18], v28 offset:528
	s_waitcnt lgkmcnt(0)
	v_mul_f32_e32 v15, v4, v15
	v_fma_f32 v15, s16, v19, -v15
	v_fma_f32 v15, -v5, v16, v15
	v_fma_f32 v15, -v6, v17, v15
	;; [unrolled: 1-line block ×3, first 2 shown]
	ds_read_b128 v[4:7], v28 offset:544
	s_waitcnt lgkmcnt(0)
	v_fma_f32 v4, -v8, v4, v15
	v_fma_f32 v4, -v9, v5, v4
	;; [unrolled: 1-line block ×4, first 2 shown]
	ds_read_b128 v[4:7], v28 offset:560
	s_waitcnt lgkmcnt(0)
	v_fma_f32 v4, -v12, v4, v15
	v_fma_f32 v4, -v13, v5, v4
	;; [unrolled: 1-line block ×3, first 2 shown]
	v_mul_f32_e32 v15, v4, v7
	global_store_dwordx4 v[0:1], v[12:15], off offset:32
	s_cmp_lt_i32 s8, s17
	s_cbranch_scc1 .LBB12_11
	s_branch .LBB12_24
.LBB12_10:
	s_mov_b32 s8, 0
	s_cmp_lt_i32 s8, s17
	s_cbranch_scc0 .LBB12_24
.LBB12_11:
	s_add_i32 s3, s8, 7
	s_cmp_ge_u32 s3, s17
	s_cbranch_scc1 .LBB12_19
; %bb.12:
	s_lshl_b32 s3, s8, 2
	v_add_co_u32_e32 v4, vcc, s3, v0
	v_addc_co_u32_e32 v5, vcc, 0, v1, vcc
	global_load_dwordx4 v[6:9], v[4:5], off
	global_load_dwordx4 v[14:17], v[4:5], off offset:16
	s_andn2_b64 vcc, exec, s[0:1]
	s_waitcnt vmcnt(1)
	v_mul_f32_e32 v13, s16, v6
	v_mul_f32_e32 v12, s16, v7
	;; [unrolled: 1-line block ×4, first 2 shown]
	s_waitcnt vmcnt(0)
	v_mul_f32_e32 v9, s16, v14
	v_mul_f32_e32 v8, s16, v15
	;; [unrolled: 1-line block ×4, first 2 shown]
	s_cbranch_vccnz .LBB12_14
; %bb.13:
	s_mul_i32 s9, s8, 48
	s_mov_b64 s[0:1], 0
	s_branch .LBB12_15
.LBB12_14:
	s_mov_b64 s[0:1], -1
                                        ; implicit-def: $sgpr9
.LBB12_15:
	s_andn2_b64 vcc, exec, s[0:1]
	s_cbranch_vccnz .LBB12_18
; %bb.16:
	s_add_u32 s0, s10, s6
	s_addc_u32 s1, s11, s7
	s_add_u32 s0, s0, s4
	s_addc_u32 s1, s1, s5
	v_mov_b32_e32 v14, s1
	v_add_co_u32_e32 v2, vcc, s0, v2
	v_addc_co_u32_e32 v3, vcc, v14, v3, vcc
	s_mul_i32 s9, s8, 48
	v_add_co_u32_e32 v2, vcc, 8, v2
	v_addc_co_u32_e32 v3, vcc, 0, v3, vcc
	s_mov_b32 s0, s8
	s_mov_b32 s1, s9
.LBB12_17:                              ; =>This Inner Loop Header: Depth=1
	global_load_dwordx4 v[14:17], v[2:3], off offset:-8
	v_mov_b32_e32 v26, s1
	ds_read_b128 v[18:21], v26
	ds_read_b128 v[22:25], v26 offset:48
	s_add_i32 s1, s1, 16
	s_add_i32 s0, s0, -4
	v_add_co_u32_e32 v2, vcc, 16, v2
	v_addc_co_u32_e32 v3, vcc, 0, v3, vcc
	s_cmp_lg_u32 s0, 0
	s_waitcnt vmcnt(0) lgkmcnt(1)
	v_fma_f32 v13, -v14, v18, v13
	s_waitcnt lgkmcnt(0)
	v_fma_f32 v12, -v14, v22, v12
	v_fma_f32 v13, -v15, v19, v13
	;; [unrolled: 1-line block ×6, first 2 shown]
	ds_read_b128 v[18:21], v26 offset:96
	v_fma_f32 v12, -v17, v25, v12
	ds_read_b128 v[22:25], v26 offset:144
	s_waitcnt lgkmcnt(1)
	v_fma_f32 v11, -v14, v18, v11
	v_fma_f32 v11, -v15, v19, v11
	s_waitcnt lgkmcnt(0)
	v_fma_f32 v10, -v14, v22, v10
	v_fma_f32 v10, -v15, v23, v10
	v_fma_f32 v11, -v16, v20, v11
	v_fma_f32 v10, -v16, v24, v10
	v_fma_f32 v11, -v17, v21, v11
	ds_read_b128 v[18:21], v26 offset:192
	v_fma_f32 v10, -v17, v25, v10
	ds_read_b128 v[22:25], v26 offset:240
	s_waitcnt lgkmcnt(1)
	v_fma_f32 v9, -v14, v18, v9
	v_fma_f32 v9, -v15, v19, v9
	s_waitcnt lgkmcnt(0)
	v_fma_f32 v8, -v14, v22, v8
	v_fma_f32 v8, -v15, v23, v8
	v_fma_f32 v9, -v16, v20, v9
	v_fma_f32 v8, -v16, v24, v8
	v_fma_f32 v9, -v17, v21, v9
	ds_read_b128 v[18:21], v26 offset:288
	v_fma_f32 v8, -v17, v25, v8
	ds_read_b128 v[22:25], v26 offset:336
	s_waitcnt lgkmcnt(1)
	v_fma_f32 v7, -v14, v18, v7
	v_fma_f32 v7, -v15, v19, v7
	s_waitcnt lgkmcnt(0)
	v_fma_f32 v6, -v14, v22, v6
	v_fma_f32 v6, -v15, v23, v6
	v_fma_f32 v7, -v16, v20, v7
	v_fma_f32 v6, -v16, v24, v6
	v_fma_f32 v7, -v17, v21, v7
	v_fma_f32 v6, -v17, v25, v6
	s_cbranch_scc1 .LBB12_17
.LBB12_18:
	s_add_i32 s0, s3, s9
	v_mov_b32_e32 v2, s0
	s_or_b32 s0, s8, 1
	s_mul_i32 s0, s0, 48
	s_add_i32 s0, s3, s0
	ds_read2_b32 v[2:3], v2 offset1:52
	v_mov_b32_e32 v26, s0
	ds_read2_b64 v[14:17], v26 offset1:26
	ds_read_b96 v[20:22], v26 offset:48
	s_add_i32 s8, s8, 8
	s_waitcnt lgkmcnt(2)
	v_mul_f32_e32 v18, v13, v2
	s_waitcnt lgkmcnt(1)
	v_fma_f32 v2, -v18, v14, v12
	v_mul_f32_e32 v19, v2, v15
	ds_read_b128 v[12:15], v26 offset:96
	s_waitcnt lgkmcnt(1)
	v_fma_f32 v2, -v18, v20, v11
	v_fma_f32 v2, -v19, v21, v2
	v_mul_f32_e32 v20, v2, v22
	s_waitcnt lgkmcnt(0)
	v_fma_f32 v2, -v18, v12, v10
	v_fma_f32 v2, -v19, v13, v2
	ds_read_b128 v[10:13], v26 offset:144
	ds_read_b128 v[22:25], v26 offset:192
	v_fma_f32 v2, -v20, v14, v2
	v_mul_f32_e32 v21, v2, v15
	global_store_dwordx4 v[4:5], v[18:21], off
	s_waitcnt lgkmcnt(1)
	v_fma_f32 v2, -v18, v10, v9
	s_waitcnt lgkmcnt(0)
	v_fma_f32 v8, -v18, v22, v8
	v_fma_f32 v2, -v19, v11, v2
	;; [unrolled: 1-line block ×7, first 2 shown]
	ds_read_b128 v[8:11], v26 offset:240
	v_mul_f32_e32 v12, v2, v3
	v_fma_f32 v2, -v12, v16, v13
	v_mul_f32_e32 v13, v2, v17
	ds_read_b96 v[14:16], v26 offset:256
	s_waitcnt lgkmcnt(1)
	v_fma_f32 v2, -v18, v8, v7
	v_fma_f32 v2, -v19, v9, v2
	;; [unrolled: 1-line block ×3, first 2 shown]
	ds_read_b128 v[7:10], v26 offset:288
	ds_read_b128 v[22:25], v26 offset:304
	v_fma_f32 v2, -v21, v11, v2
	s_waitcnt lgkmcnt(2)
	v_fma_f32 v2, -v12, v14, v2
	v_fma_f32 v2, -v13, v15, v2
	v_mul_f32_e32 v14, v2, v16
	s_waitcnt lgkmcnt(1)
	v_fma_f32 v2, -v18, v7, v6
	v_fma_f32 v2, -v19, v8, v2
	;; [unrolled: 1-line block ×4, first 2 shown]
	s_waitcnt lgkmcnt(0)
	v_fma_f32 v2, -v12, v22, v2
	v_fma_f32 v2, -v13, v23, v2
	;; [unrolled: 1-line block ×3, first 2 shown]
	v_mul_f32_e32 v15, v2, v25
	global_store_dwordx4 v[4:5], v[12:15], off offset:16
.LBB12_19:
	s_cmp_ge_i32 s8, s17
	s_cbranch_scc1 .LBB12_24
; %bb.20:
	s_mul_i32 s0, s8, 48
	s_mov_b32 s9, 0
	s_branch .LBB12_22
.LBB12_21:                              ;   in Loop: Header=BB12_22 Depth=1
	s_mul_i32 s1, s8, 52
	v_mov_b32_e32 v4, s1
	ds_read_b32 v4, v4
	s_add_i32 s8, s8, 1
	s_add_i32 s0, s0, 48
	s_cmp_ge_i32 s8, s17
	s_waitcnt lgkmcnt(0)
	v_mul_f32_e32 v4, v6, v4
	global_store_dword v[2:3], v4, off
	s_cbranch_scc1 .LBB12_24
.LBB12_22:                              ; =>This Loop Header: Depth=1
                                        ;     Child Loop BB12_23 Depth 2
	s_lshl_b64 s[4:5], s[8:9], 2
	v_mov_b32_e32 v3, s5
	v_add_co_u32_e32 v2, vcc, s4, v0
	v_addc_co_u32_e32 v3, vcc, v1, v3, vcc
	global_load_dword v6, v[2:3], off
	v_mov_b32_e32 v5, v1
	v_mov_b32_e32 v4, v0
	s_mov_b32 s1, s8
	s_cmp_eq_u32 s8, 0
	s_mov_b32 s3, s0
	s_waitcnt vmcnt(0)
	v_mul_f32_e32 v6, s16, v6
	s_cbranch_scc1 .LBB12_21
.LBB12_23:                              ;   Parent Loop BB12_22 Depth=1
                                        ; =>  This Inner Loop Header: Depth=2
	global_load_dword v7, v[4:5], off
	v_mov_b32_e32 v8, s3
	ds_read_b32 v8, v8
	s_add_i32 s3, s3, 4
	s_add_i32 s1, s1, -1
	v_add_co_u32_e32 v4, vcc, 4, v4
	v_addc_co_u32_e32 v5, vcc, 0, v5, vcc
	s_cmp_lg_u32 s1, 0
	s_waitcnt vmcnt(0) lgkmcnt(0)
	v_fma_f32 v6, -v7, v8, v6
	s_cbranch_scc1 .LBB12_23
	s_branch .LBB12_21
.LBB12_24:
	s_mov_b64 s[0:1], 0
.LBB12_25:
	s_and_b64 vcc, exec, s[0:1]
	s_cbranch_vccz .LBB12_51
; %bb.26:
	s_add_i32 s6, s17, -1
	s_cmp_gt_i32 s2, 11
	s_mov_b32 s0, -1
	s_cbranch_scc0 .LBB12_28
; %bb.27:
	global_load_dwordx4 v[2:5], v[0:1], off offset:32
	v_mov_b32_e32 v18, 0
	ds_read_b128 v[6:9], v18 offset:560
	ds_read_b128 v[10:13], v18 offset:544
	s_waitcnt vmcnt(0)
	v_mul_f32_e32 v5, s16, v5
	s_waitcnt lgkmcnt(1)
	v_mul_f32_e32 v5, v5, v9
	v_mul_f32_e32 v14, v5, v8
	;; [unrolled: 1-line block ×4, first 2 shown]
	ds_read_b128 v[6:9], v18 offset:528
	s_waitcnt lgkmcnt(1)
	v_mul_f32_e32 v19, v5, v13
	v_mul_f32_e32 v20, v5, v12
	;; [unrolled: 1-line block ×4, first 2 shown]
	v_fma_f32 v23, s16, v4, -v14
	v_fma_f32 v24, s16, v3, -v15
	;; [unrolled: 1-line block ×3, first 2 shown]
	global_load_dwordx4 v[10:13], v[0:1], off offset:16
	global_load_dwordx4 v[14:17], v[0:1], off
	s_waitcnt lgkmcnt(0)
	v_mul_f32_e32 v2, v5, v9
	v_mul_f32_e32 v3, v5, v8
	;; [unrolled: 1-line block ×4, first 2 shown]
	s_waitcnt vmcnt(1)
	v_fma_f32 v13, s16, v13, -v19
	v_fma_f32 v12, s16, v12, -v20
	s_waitcnt vmcnt(0)
	v_fma_f32 v17, s16, v17, -v2
	v_fma_f32 v16, s16, v16, -v3
	;; [unrolled: 1-line block ×4, first 2 shown]
	ds_read_b96 v[2:4], v18 offset:512
	ds_read_b128 v[6:9], v18 offset:496
	v_fma_f32 v11, s16, v11, -v21
	v_fma_f32 v10, s16, v10, -v22
	s_waitcnt lgkmcnt(1)
	v_mul_f32_e32 v4, v23, v4
	s_waitcnt lgkmcnt(0)
	v_fma_f32 v21, -v4, v9, v13
	v_fma_f32 v22, -v4, v8, v12
	;; [unrolled: 1-line block ×4, first 2 shown]
	ds_read_b128 v[6:9], v18 offset:480
	ds_read_b64 v[14:15], v18 offset:464
	v_fma_f32 v3, -v4, v3, v24
	v_fma_f32 v2, -v4, v2, v25
	s_waitcnt lgkmcnt(1)
	v_fma_f32 v17, -v4, v9, v17
	v_fma_f32 v16, -v4, v8, v16
	;; [unrolled: 1-line block ×4, first 2 shown]
	ds_read_b128 v[6:9], v18 offset:448
	ds_read_b128 v[10:13], v18 offset:432
	s_waitcnt lgkmcnt(2)
	v_mul_f32_e32 v3, v3, v15
	ds_read_b32 v24, v18 offset:416
	v_fma_f32 v2, -v3, v14, v2
	s_waitcnt lgkmcnt(2)
	v_fma_f32 v15, -v3, v9, v21
	v_fma_f32 v21, -v3, v8, v22
	;; [unrolled: 1-line block ×4, first 2 shown]
	ds_read_b128 v[6:9], v18 offset:400
	s_waitcnt lgkmcnt(2)
	v_fma_f32 v17, -v3, v13, v17
	v_fma_f32 v16, -v3, v12, v16
	;; [unrolled: 1-line block ×4, first 2 shown]
	ds_read_b128 v[10:13], v18 offset:384
	s_waitcnt lgkmcnt(2)
	v_mul_f32_e32 v2, v2, v24
	s_waitcnt lgkmcnt(1)
	v_fma_f32 v14, -v2, v9, v15
	v_fma_f32 v15, -v2, v8, v21
	;; [unrolled: 1-line block ×4, first 2 shown]
	ds_read_b128 v[6:9], v18 offset:352
	s_waitcnt lgkmcnt(1)
	v_fma_f32 v17, -v2, v13, v17
	v_fma_f32 v16, -v2, v12, v16
	;; [unrolled: 1-line block ×4, first 2 shown]
	ds_read_b128 v[10:13], v18 offset:336
	global_store_dwordx4 v[0:1], v[2:5], off offset:32
	ds_read_b96 v[2:4], v18 offset:304
	s_waitcnt lgkmcnt(2)
	v_mul_f32_e32 v5, v14, v9
	v_fma_f32 v14, -v5, v8, v15
	v_fma_f32 v15, -v5, v7, v21
	;; [unrolled: 1-line block ×3, first 2 shown]
	s_waitcnt lgkmcnt(1)
	v_fma_f32 v13, -v5, v13, v17
	v_fma_f32 v12, -v5, v12, v16
	;; [unrolled: 1-line block ×4, first 2 shown]
	ds_read_b128 v[6:9], v18 offset:288
	ds_read_b64 v[10:11], v18 offset:256
	s_waitcnt lgkmcnt(2)
	v_mul_f32_e32 v4, v14, v4
	v_fma_f32 v3, -v4, v3, v15
	v_fma_f32 v2, -v4, v2, v21
	s_waitcnt lgkmcnt(1)
	v_fma_f32 v13, -v4, v9, v13
	v_fma_f32 v12, -v4, v8, v12
	;; [unrolled: 1-line block ×4, first 2 shown]
	ds_read_b128 v[6:9], v18 offset:240
	ds_read_b32 v17, v18 offset:208
	s_waitcnt lgkmcnt(2)
	v_mul_f32_e32 v3, v3, v11
	v_fma_f32 v2, -v3, v10, v2
	s_waitcnt lgkmcnt(1)
	v_fma_f32 v15, -v3, v9, v13
	v_fma_f32 v19, -v3, v8, v12
	;; [unrolled: 1-line block ×4, first 2 shown]
	ds_read_b128 v[6:9], v18 offset:192
	ds_read_b128 v[10:13], v18 offset:144
	s_waitcnt lgkmcnt(2)
	v_mul_f32_e32 v2, v2, v17
	global_store_dwordx4 v[0:1], v[2:5], off offset:16
	s_waitcnt lgkmcnt(1)
	v_fma_f32 v9, -v2, v9, v15
	v_fma_f32 v8, -v2, v8, v19
	;; [unrolled: 1-line block ×4, first 2 shown]
	ds_read_b96 v[2:4], v18 offset:96
	s_waitcnt lgkmcnt(1)
	v_mul_f32_e32 v5, v9, v13
	v_fma_f32 v9, -v5, v11, v7
	ds_read_b64 v[6:7], v18 offset:48
	v_fma_f32 v8, -v5, v12, v8
	s_waitcnt lgkmcnt(1)
	v_mul_f32_e32 v4, v8, v4
	ds_read_b32 v8, v18
	v_fma_f32 v10, -v5, v10, v14
	v_fma_f32 v3, -v4, v3, v9
	s_waitcnt lgkmcnt(1)
	v_mul_f32_e32 v3, v3, v7
	v_fma_f32 v2, -v4, v2, v10
	v_fma_f32 v2, -v3, v6, v2
	s_waitcnt lgkmcnt(0)
	v_mul_f32_e32 v2, v2, v8
	global_store_dwordx4 v[0:1], v[2:5], off
	s_cmp_gt_i32 s0, -1
	s_cbranch_scc1 .LBB12_29
	s_branch .LBB12_51
.LBB12_28:
	s_mov_b32 s0, s6
	s_cmp_gt_i32 s0, -1
	s_cbranch_scc0 .LBB12_51
.LBB12_29:
	s_cmp_lt_u32 s0, 7
	s_cbranch_scc1 .LBB12_34
; %bb.30:
	s_mov_b32 s3, 0
	s_mov_b32 s1, s3
	s_lshl_b64 s[4:5], s[0:1], 2
	v_mov_b32_e32 v3, s5
	v_add_co_u32_e32 v2, vcc, s4, v0
	v_addc_co_u32_e32 v3, vcc, v1, v3, vcc
	global_load_dwordx4 v[4:7], v[2:3], off offset:-12
	global_load_dwordx4 v[12:15], v[2:3], off offset:-28
	s_cmp_le_i32 s6, s0
	s_waitcnt vmcnt(1)
	v_mul_f32_e32 v11, s16, v7
	v_mul_f32_e32 v10, s16, v6
	;; [unrolled: 1-line block ×4, first 2 shown]
	s_waitcnt vmcnt(0)
	v_mul_f32_e32 v7, s16, v15
	v_mul_f32_e32 v6, s16, v14
	;; [unrolled: 1-line block ×4, first 2 shown]
	s_cbranch_scc1 .LBB12_33
; %bb.31:
	s_mul_i32 s1, s17, 48
	s_lshl_b32 s2, s0, 2
	s_add_i32 s1, s1, s2
	s_addk_i32 s1, 0xffb4
	s_mov_b32 s2, s6
.LBB12_32:                              ; =>This Inner Loop Header: Depth=1
	s_lshl_b64 s[4:5], s[2:3], 2
	v_mov_b32_e32 v13, s5
	v_add_co_u32_e32 v12, vcc, s4, v0
	v_addc_co_u32_e32 v13, vcc, v1, v13, vcc
	global_load_dword v20, v[12:13], off
	v_mov_b32_e32 v18, s1
	ds_read2_b32 v[12:13], v18 offset0:6 offset1:7
	ds_read2_b32 v[14:15], v18 offset0:4 offset1:5
	ds_read2_b32 v[16:17], v18 offset0:2 offset1:3
	ds_read2_b32 v[18:19], v18 offset1:1
	s_add_i32 s2, s2, -1
	s_sub_i32 s1, s1, 48
	s_cmp_gt_i32 s2, s0
	s_waitcnt vmcnt(0) lgkmcnt(3)
	v_fma_f32 v11, -v20, v13, v11
	v_fma_f32 v10, -v20, v12, v10
	s_waitcnt lgkmcnt(2)
	v_fma_f32 v9, -v20, v15, v9
	v_fma_f32 v8, -v20, v14, v8
	s_waitcnt lgkmcnt(1)
	;; [unrolled: 3-line block ×3, first 2 shown]
	v_fma_f32 v5, -v20, v19, v5
	v_fma_f32 v4, -v20, v18, v4
	s_cbranch_scc1 .LBB12_32
.LBB12_33:
	s_add_i32 s2, s0, -1
	s_lshl_b32 s1, s2, 2
	s_mul_i32 s7, s0, 48
	s_add_i32 s3, s1, s7
	s_sub_i32 s10, s7, 48
	v_mov_b32_e32 v12, s3
	s_add_i32 s1, s1, s10
	s_add_i32 s4, s0, -3
	ds_read2_b32 v[12:13], v12 offset1:1
	v_mov_b32_e32 v14, s1
	s_lshl_b32 s1, s4, 2
	s_add_i32 s3, s1, s7
	v_mov_b32_e32 v15, s3
	s_add_i32 s3, s1, s10
	v_mov_b32_e32 v16, s3
	ds_read_b32 v18, v14
	ds_read2_b32 v[14:15], v15 offset1:1
	ds_read2_b32 v[16:17], v16 offset1:1
	s_waitcnt lgkmcnt(3)
	v_mul_f32_e32 v19, v11, v13
	s_mov_b32 s3, 0
	global_store_dword v[2:3], v19, off
	v_fma_f32 v2, -v19, v12, v10
	s_lshl_b64 s[8:9], s[2:3], 2
	s_waitcnt lgkmcnt(2)
	v_mul_f32_e32 v20, v2, v18
	v_mov_b32_e32 v3, s9
	v_add_co_u32_e32 v2, vcc, s8, v0
	s_add_i32 s11, s7, 0xffffffa0
	v_addc_co_u32_e32 v3, vcc, v1, v3, vcc
	s_add_i32 s5, s1, s11
	global_store_dword v[2:3], v20, off
	s_waitcnt lgkmcnt(1)
	v_fma_f32 v2, -v19, v15, v9
	v_mov_b32_e32 v9, s5
	s_add_i32 s2, s0, -2
	ds_read2_b32 v[9:10], v9 offset1:1
	s_lshl_b64 s[8:9], s[2:3], 2
	s_add_i32 s12, s7, 0xffffff70
	s_waitcnt lgkmcnt(1)
	v_fma_f32 v13, -v20, v17, v2
	v_add_co_u32_e32 v2, vcc, s8, v0
	s_add_i32 s1, s1, s12
	s_add_i32 s8, s0, -5
	v_mov_b32_e32 v11, s1
	s_lshl_b32 s1, s8, 2
	v_mov_b32_e32 v3, s9
	s_add_i32 s9, s1, s7
	v_addc_co_u32_e32 v3, vcc, v1, v3, vcc
	v_mov_b32_e32 v12, s9
	s_add_i32 s2, s1, s10
	s_waitcnt lgkmcnt(0)
	v_mul_f32_e32 v22, v13, v10
	v_mov_b32_e32 v15, s2
	ds_read_b32 v21, v11
	ds_read2_b32 v[11:12], v12 offset1:1
	ds_read2_b32 v[17:18], v15 offset1:1
	global_store_dword v[2:3], v22, off
	v_fma_f32 v2, -v19, v14, v8
	v_fma_f32 v2, -v20, v16, v2
	s_mov_b32 s5, s3
	v_fma_f32 v2, -v22, v9, v2
	s_lshl_b64 s[4:5], s[4:5], 2
	s_waitcnt lgkmcnt(2)
	v_mul_f32_e32 v16, v2, v21
	v_mov_b32_e32 v3, s5
	v_add_co_u32_e32 v2, vcc, s4, v0
	v_addc_co_u32_e32 v3, vcc, v1, v3, vcc
	global_store_dword v[2:3], v16, off
	s_waitcnt lgkmcnt(1)
	v_fma_f32 v2, -v19, v12, v7
	s_add_i32 s4, s1, s11
	s_add_i32 s13, s7, 0xffffff40
	s_waitcnt lgkmcnt(0)
	v_fma_f32 v14, -v20, v18, v2
	v_mov_b32_e32 v2, s4
	s_add_i32 s4, s1, s12
	s_add_i32 s1, s1, s13
	v_mov_b32_e32 v9, s1
	s_add_i32 s1, s9, 0xffffff10
	v_mov_b32_e32 v7, s4
	v_mov_b32_e32 v3, s1
	ds_read_b32 v15, v3
	ds_read2_b32 v[2:3], v2 offset1:1
	ds_read2_b32 v[7:8], v7 offset1:1
	;; [unrolled: 1-line block ×3, first 2 shown]
	s_add_i32 s2, s0, -4
	s_lshl_b64 s[4:5], s[2:3], 2
	s_waitcnt lgkmcnt(2)
	v_fma_f32 v3, -v22, v3, v14
	s_waitcnt lgkmcnt(1)
	v_fma_f32 v3, -v16, v8, v3
	s_waitcnt lgkmcnt(0)
	v_mul_f32_e32 v18, v3, v10
	v_fma_f32 v3, -v19, v11, v6
	v_fma_f32 v3, -v20, v17, v3
	;; [unrolled: 1-line block ×3, first 2 shown]
	v_mov_b32_e32 v13, s5
	v_add_co_u32_e32 v12, vcc, s4, v0
	v_fma_f32 v2, -v16, v7, v2
	s_mov_b32 s9, s3
	v_addc_co_u32_e32 v13, vcc, v1, v13, vcc
	v_fma_f32 v2, -v18, v9, v2
	s_lshl_b64 s[4:5], s[8:9], 2
	v_mul_f32_e32 v17, v2, v15
	v_add_co_u32_e32 v2, vcc, s4, v0
	s_add_i32 s4, s0, -7
	s_lshl_b32 s1, s4, 2
	s_add_i32 s2, s1, s10
	v_mov_b32_e32 v3, s5
	v_mov_b32_e32 v6, s2
	s_add_i32 s2, s1, s11
	v_addc_co_u32_e32 v3, vcc, v1, v3, vcc
	s_add_i32 s5, s1, s7
	v_mov_b32_e32 v8, s2
	s_add_i32 s2, s1, s12
	global_store_dword v[12:13], v18, off
	global_store_dword v[2:3], v17, off
	v_mov_b32_e32 v2, s5
	v_mov_b32_e32 v10, s2
	ds_read2_b32 v[2:3], v2 offset1:1
	ds_read2_b32 v[6:7], v6 offset1:1
	;; [unrolled: 1-line block ×4, first 2 shown]
	s_add_i32 s1, s1, s13
	s_waitcnt lgkmcnt(3)
	v_fma_f32 v3, -v19, v3, v5
	v_mov_b32_e32 v5, s1
	s_sub_i32 s7, s1, 48
	s_addk_i32 s1, 0xffa0
	s_waitcnt lgkmcnt(2)
	v_fma_f32 v3, -v20, v7, v3
	v_mov_b32_e32 v14, s1
	s_add_i32 s1, s5, 0xfffffeb0
	s_waitcnt lgkmcnt(1)
	v_fma_f32 v7, -v22, v9, v3
	v_mov_b32_e32 v9, s7
	v_mov_b32_e32 v15, s1
	v_fma_f32 v19, -v19, v2, v4
	ds_read2_b32 v[4:5], v5 offset1:1
	ds_read2_b32 v[12:13], v9 offset1:1
	ds_read_b32 v9, v15
	ds_read2_b32 v[14:15], v14 offset1:1
	s_add_i32 s2, s0, -6
	s_waitcnt lgkmcnt(4)
	v_fma_f32 v7, -v16, v11, v7
	s_lshl_b64 s[8:9], s[2:3], 2
	s_waitcnt lgkmcnt(3)
	v_fma_f32 v5, -v18, v5, v7
	v_mov_b32_e32 v3, s9
	v_add_co_u32_e32 v2, vcc, s8, v0
	s_waitcnt lgkmcnt(2)
	v_fma_f32 v5, -v17, v13, v5
	v_addc_co_u32_e32 v3, vcc, v1, v3, vcc
	v_fma_f32 v6, -v20, v6, v19
	s_waitcnt lgkmcnt(0)
	v_mul_f32_e32 v5, v5, v15
	global_store_dword v[2:3], v5, off
	v_fma_f32 v2, -v22, v8, v6
	v_fma_f32 v2, -v16, v10, v2
	;; [unrolled: 1-line block ×4, first 2 shown]
	s_mov_b32 s5, s3
	v_fma_f32 v2, -v5, v14, v2
	s_lshl_b64 s[2:3], s[4:5], 2
	v_mul_f32_e32 v4, v2, v9
	v_mov_b32_e32 v3, s3
	v_add_co_u32_e32 v2, vcc, s2, v0
	v_addc_co_u32_e32 v3, vcc, v1, v3, vcc
	s_add_i32 s0, s0, -8
	global_store_dword v[2:3], v4, off
.LBB12_34:
	s_cmp_lt_i32 s0, 0
	s_cbranch_scc1 .LBB12_51
; %bb.35:
	s_and_b32 s1, s0, 3
	s_cmp_eq_u32 s1, 3
	s_mul_i32 s1, s17, 48
	s_mov_b32 s2, s0
	s_cbranch_scc1 .LBB12_40
; %bb.36:
	s_add_i32 s2, s0, 1
	s_and_b32 s7, s2, 3
	s_lshl_b32 s2, s0, 2
	s_add_i32 s2, s1, s2
	s_sub_i32 s8, s2, 48
	s_mov_b32 s5, 0
	s_mov_b32 s2, s0
	s_mov_b32 s9, 0
	s_branch .LBB12_38
.LBB12_37:                              ;   in Loop: Header=BB12_38 Depth=1
	s_mul_i32 s3, s2, 52
	v_mov_b32_e32 v5, s3
	ds_read_b32 v5, v5
	s_add_i32 s2, s2, -1
	s_add_i32 s9, s9, 1
	s_add_i32 s8, s8, -4
	s_cmp_lg_u32 s9, s7
	s_waitcnt lgkmcnt(0)
	v_mul_f32_e32 v4, v4, v5
	global_store_dword v[2:3], v4, off
	s_cbranch_scc0 .LBB12_40
.LBB12_38:                              ; =>This Loop Header: Depth=1
                                        ;     Child Loop BB12_39 Depth 2
	s_mov_b32 s3, s5
	s_lshl_b64 s[10:11], s[2:3], 2
	v_mov_b32_e32 v3, s11
	v_add_co_u32_e32 v2, vcc, s10, v0
	v_addc_co_u32_e32 v3, vcc, v1, v3, vcc
	global_load_dword v4, v[2:3], off
	s_mov_b32 s3, s8
	s_cmp_le_i32 s6, s2
	s_mov_b32 s4, s6
	s_waitcnt vmcnt(0)
	v_mul_f32_e32 v4, s16, v4
	s_cbranch_scc1 .LBB12_37
.LBB12_39:                              ;   Parent Loop BB12_38 Depth=1
                                        ; =>  This Inner Loop Header: Depth=2
	s_lshl_b64 s[10:11], s[4:5], 2
	v_mov_b32_e32 v6, s11
	v_add_co_u32_e32 v5, vcc, s10, v0
	v_addc_co_u32_e32 v6, vcc, v1, v6, vcc
	global_load_dword v5, v[5:6], off
	v_mov_b32_e32 v6, s3
	ds_read_b32 v6, v6
	s_add_i32 s4, s4, -1
	s_sub_i32 s3, s3, 48
	s_cmp_gt_i32 s4, s2
	s_waitcnt vmcnt(0) lgkmcnt(0)
	v_fma_f32 v4, -v5, v6, v4
	s_cbranch_scc1 .LBB12_39
	s_branch .LBB12_37
.LBB12_40:
	s_cmp_lt_u32 s0, 3
	s_cbranch_scc1 .LBB12_51
; %bb.41:
	s_lshl_b32 s0, s2, 2
	s_add_i32 s1, s1, s0
	s_sub_i32 s7, s1, 48
	s_sub_i32 s8, s1, 52
	;; [unrolled: 1-line block ×4, first 2 shown]
	s_mov_b32 s1, 0
	s_branch .LBB12_43
.LBB12_42:                              ;   in Loop: Header=BB12_43 Depth=1
	s_sub_i32 s0, s3, 52
	v_mov_b32_e32 v5, s0
	ds_read_b32 v5, v5
	s_add_i32 s0, s2, -4
	s_add_i32 s7, s7, -16
	;; [unrolled: 1-line block ×5, first 2 shown]
	s_waitcnt lgkmcnt(0)
	v_mul_f32_e32 v4, v4, v5
	s_cmp_lt_i32 s2, 4
	s_mov_b32 s2, s0
	global_store_dword v[2:3], v4, off
	s_cbranch_scc1 .LBB12_51
.LBB12_43:                              ; =>This Loop Header: Depth=1
                                        ;     Child Loop BB12_44 Depth 2
                                        ;     Child Loop BB12_46 Depth 2
	;; [unrolled: 1-line block ×4, first 2 shown]
	s_mov_b32 s3, s1
	s_lshl_b64 s[4:5], s[2:3], 2
	v_mov_b32_e32 v2, s5
	v_add_co_u32_e32 v4, vcc, s4, v0
	v_addc_co_u32_e32 v5, vcc, v1, v2, vcc
	global_load_dword v2, v[4:5], off
	s_mov_b32 s3, s7
	s_cmp_le_i32 s6, s2
	s_mov_b32 s0, s6
	s_waitcnt vmcnt(0)
	v_mul_f32_e32 v6, s16, v2
	s_cbranch_scc1 .LBB12_45
.LBB12_44:                              ;   Parent Loop BB12_43 Depth=1
                                        ; =>  This Inner Loop Header: Depth=2
	s_lshl_b64 s[4:5], s[0:1], 2
	v_mov_b32_e32 v3, s5
	v_add_co_u32_e32 v2, vcc, s4, v0
	v_addc_co_u32_e32 v3, vcc, v1, v3, vcc
	global_load_dword v2, v[2:3], off
	v_mov_b32_e32 v3, s3
	ds_read_b32 v3, v3
	s_add_i32 s0, s0, -1
	s_sub_i32 s3, s3, 48
	s_cmp_gt_i32 s0, s2
	s_waitcnt vmcnt(0) lgkmcnt(0)
	v_fma_f32 v6, -v2, v3, v6
	s_cbranch_scc1 .LBB12_44
.LBB12_45:                              ;   in Loop: Header=BB12_43 Depth=1
	s_add_i32 s0, s2, -1
	s_lshl_b64 s[4:5], s[0:1], 2
	v_mov_b32_e32 v3, s5
	v_add_co_u32_e32 v2, vcc, s4, v0
	v_addc_co_u32_e32 v3, vcc, v1, v3, vcc
	global_load_dword v7, v[2:3], off
	s_mul_i32 s3, s2, 52
	v_mov_b32_e32 v8, s3
	ds_read_b32 v8, v8
	s_mov_b32 s4, s8
	s_cmp_le_i32 s17, s2
	s_mov_b32 s0, s17
	s_waitcnt lgkmcnt(0)
	v_mul_f32_e32 v6, v6, v8
	global_store_dword v[4:5], v6, off
	s_waitcnt vmcnt(1)
	v_mul_f32_e32 v6, s16, v7
	s_cbranch_scc1 .LBB12_47
.LBB12_46:                              ;   Parent Loop BB12_43 Depth=1
                                        ; =>  This Inner Loop Header: Depth=2
	s_add_i32 s0, s0, -1
	s_lshl_b64 s[12:13], s[0:1], 2
	v_mov_b32_e32 v5, s13
	v_add_co_u32_e32 v4, vcc, s12, v0
	v_addc_co_u32_e32 v5, vcc, v1, v5, vcc
	global_load_dword v4, v[4:5], off
	v_mov_b32_e32 v5, s4
	ds_read_b32 v5, v5
	s_sub_i32 s4, s4, 48
	s_cmp_gt_i32 s0, s2
	s_waitcnt vmcnt(0) lgkmcnt(0)
	v_fma_f32 v6, -v4, v5, v6
	s_cbranch_scc1 .LBB12_46
.LBB12_47:                              ;   in Loop: Header=BB12_43 Depth=1
	s_add_i32 s4, s2, -2
	s_mov_b32 s5, s1
	s_lshl_b64 s[12:13], s[4:5], 2
	v_mov_b32_e32 v5, s13
	v_add_co_u32_e32 v4, vcc, s12, v0
	v_addc_co_u32_e32 v5, vcc, v1, v5, vcc
	global_load_dword v7, v[4:5], off
	s_sub_i32 s3, s3, 52
	v_mov_b32_e32 v8, s3
	ds_read_b32 v8, v8
	s_mov_b32 s5, s9
	s_cmp_le_i32 s6, s4
	s_mov_b32 s0, s6
	s_waitcnt lgkmcnt(0)
	v_mul_f32_e32 v6, v6, v8
	global_store_dword v[2:3], v6, off
	s_waitcnt vmcnt(1)
	v_mul_f32_e32 v6, s16, v7
	s_cbranch_scc1 .LBB12_49
.LBB12_48:                              ;   Parent Loop BB12_43 Depth=1
                                        ; =>  This Inner Loop Header: Depth=2
	s_lshl_b64 s[12:13], s[0:1], 2
	v_mov_b32_e32 v3, s13
	v_add_co_u32_e32 v2, vcc, s12, v0
	v_addc_co_u32_e32 v3, vcc, v1, v3, vcc
	global_load_dword v2, v[2:3], off
	v_mov_b32_e32 v3, s5
	ds_read_b32 v3, v3
	s_add_i32 s0, s0, -1
	s_sub_i32 s5, s5, 48
	s_cmp_gt_i32 s0, s4
	s_waitcnt vmcnt(0) lgkmcnt(0)
	v_fma_f32 v6, -v2, v3, v6
	s_cbranch_scc1 .LBB12_48
.LBB12_49:                              ;   in Loop: Header=BB12_43 Depth=1
	s_add_i32 s4, s2, -3
	s_mov_b32 s5, s1
	s_lshl_b64 s[12:13], s[4:5], 2
	v_mov_b32_e32 v3, s13
	v_add_co_u32_e32 v2, vcc, s12, v0
	v_addc_co_u32_e32 v3, vcc, v1, v3, vcc
	global_load_dword v7, v[2:3], off
	s_sub_i32 s3, s3, 52
	v_mov_b32_e32 v8, s3
	ds_read_b32 v8, v8
	s_mov_b32 s5, s10
	s_cmp_le_i32 s6, s4
	s_mov_b32 s0, s6
	s_waitcnt lgkmcnt(0)
	v_mul_f32_e32 v6, v6, v8
	global_store_dword v[4:5], v6, off
	s_waitcnt vmcnt(1)
	v_mul_f32_e32 v4, s16, v7
	s_cbranch_scc1 .LBB12_42
.LBB12_50:                              ;   Parent Loop BB12_43 Depth=1
                                        ; =>  This Inner Loop Header: Depth=2
	s_lshl_b64 s[12:13], s[0:1], 2
	v_mov_b32_e32 v6, s13
	v_add_co_u32_e32 v5, vcc, s12, v0
	v_addc_co_u32_e32 v6, vcc, v1, v6, vcc
	global_load_dword v5, v[5:6], off
	v_mov_b32_e32 v6, s5
	ds_read_b32 v6, v6
	s_add_i32 s0, s0, -1
	s_sub_i32 s5, s5, 48
	s_cmp_gt_i32 s0, s4
	s_waitcnt vmcnt(0) lgkmcnt(0)
	v_fma_f32 v4, -v5, v6, v4
	s_cbranch_scc1 .LBB12_50
	s_branch .LBB12_42
.LBB12_51:
	s_endpgm
	.section	.rodata,"a",@progbits
	.p2align	6, 0x0
	.amdhsa_kernel _ZL30rocblas_trsm_small_left_deviceILi12ELi12ELb0EffPKfPfEv13rocblas_fill_18rocblas_operation_17rocblas_diagonal_iiT3_T4_lilT5_lili
		.amdhsa_group_segment_fixed_size 576
		.amdhsa_private_segment_fixed_size 0
		.amdhsa_kernarg_size 352
		.amdhsa_user_sgpr_count 6
		.amdhsa_user_sgpr_private_segment_buffer 1
		.amdhsa_user_sgpr_dispatch_ptr 0
		.amdhsa_user_sgpr_queue_ptr 0
		.amdhsa_user_sgpr_kernarg_segment_ptr 1
		.amdhsa_user_sgpr_dispatch_id 0
		.amdhsa_user_sgpr_flat_scratch_init 0
		.amdhsa_user_sgpr_private_segment_size 0
		.amdhsa_uses_dynamic_stack 0
		.amdhsa_system_sgpr_private_segment_wavefront_offset 0
		.amdhsa_system_sgpr_workgroup_id_x 1
		.amdhsa_system_sgpr_workgroup_id_y 0
		.amdhsa_system_sgpr_workgroup_id_z 1
		.amdhsa_system_sgpr_workgroup_info 0
		.amdhsa_system_vgpr_workitem_id 0
		.amdhsa_next_free_vgpr 29
		.amdhsa_next_free_sgpr 24
		.amdhsa_reserve_vcc 1
		.amdhsa_reserve_flat_scratch 0
		.amdhsa_float_round_mode_32 0
		.amdhsa_float_round_mode_16_64 0
		.amdhsa_float_denorm_mode_32 3
		.amdhsa_float_denorm_mode_16_64 3
		.amdhsa_dx10_clamp 1
		.amdhsa_ieee_mode 1
		.amdhsa_fp16_overflow 0
		.amdhsa_exception_fp_ieee_invalid_op 0
		.amdhsa_exception_fp_denorm_src 0
		.amdhsa_exception_fp_ieee_div_zero 0
		.amdhsa_exception_fp_ieee_overflow 0
		.amdhsa_exception_fp_ieee_underflow 0
		.amdhsa_exception_fp_ieee_inexact 0
		.amdhsa_exception_int_div_zero 0
	.end_amdhsa_kernel
	.section	.text._ZL30rocblas_trsm_small_left_deviceILi12ELi12ELb0EffPKfPfEv13rocblas_fill_18rocblas_operation_17rocblas_diagonal_iiT3_T4_lilT5_lili,"axG",@progbits,_ZL30rocblas_trsm_small_left_deviceILi12ELi12ELb0EffPKfPfEv13rocblas_fill_18rocblas_operation_17rocblas_diagonal_iiT3_T4_lilT5_lili,comdat
.Lfunc_end12:
	.size	_ZL30rocblas_trsm_small_left_deviceILi12ELi12ELb0EffPKfPfEv13rocblas_fill_18rocblas_operation_17rocblas_diagonal_iiT3_T4_lilT5_lili, .Lfunc_end12-_ZL30rocblas_trsm_small_left_deviceILi12ELi12ELb0EffPKfPfEv13rocblas_fill_18rocblas_operation_17rocblas_diagonal_iiT3_T4_lilT5_lili
                                        ; -- End function
	.set _ZL30rocblas_trsm_small_left_deviceILi12ELi12ELb0EffPKfPfEv13rocblas_fill_18rocblas_operation_17rocblas_diagonal_iiT3_T4_lilT5_lili.num_vgpr, 29
	.set _ZL30rocblas_trsm_small_left_deviceILi12ELi12ELb0EffPKfPfEv13rocblas_fill_18rocblas_operation_17rocblas_diagonal_iiT3_T4_lilT5_lili.num_agpr, 0
	.set _ZL30rocblas_trsm_small_left_deviceILi12ELi12ELb0EffPKfPfEv13rocblas_fill_18rocblas_operation_17rocblas_diagonal_iiT3_T4_lilT5_lili.numbered_sgpr, 24
	.set _ZL30rocblas_trsm_small_left_deviceILi12ELi12ELb0EffPKfPfEv13rocblas_fill_18rocblas_operation_17rocblas_diagonal_iiT3_T4_lilT5_lili.num_named_barrier, 0
	.set _ZL30rocblas_trsm_small_left_deviceILi12ELi12ELb0EffPKfPfEv13rocblas_fill_18rocblas_operation_17rocblas_diagonal_iiT3_T4_lilT5_lili.private_seg_size, 0
	.set _ZL30rocblas_trsm_small_left_deviceILi12ELi12ELb0EffPKfPfEv13rocblas_fill_18rocblas_operation_17rocblas_diagonal_iiT3_T4_lilT5_lili.uses_vcc, 1
	.set _ZL30rocblas_trsm_small_left_deviceILi12ELi12ELb0EffPKfPfEv13rocblas_fill_18rocblas_operation_17rocblas_diagonal_iiT3_T4_lilT5_lili.uses_flat_scratch, 0
	.set _ZL30rocblas_trsm_small_left_deviceILi12ELi12ELb0EffPKfPfEv13rocblas_fill_18rocblas_operation_17rocblas_diagonal_iiT3_T4_lilT5_lili.has_dyn_sized_stack, 0
	.set _ZL30rocblas_trsm_small_left_deviceILi12ELi12ELb0EffPKfPfEv13rocblas_fill_18rocblas_operation_17rocblas_diagonal_iiT3_T4_lilT5_lili.has_recursion, 0
	.set _ZL30rocblas_trsm_small_left_deviceILi12ELi12ELb0EffPKfPfEv13rocblas_fill_18rocblas_operation_17rocblas_diagonal_iiT3_T4_lilT5_lili.has_indirect_call, 0
	.section	.AMDGPU.csdata,"",@progbits
; Kernel info:
; codeLenInByte = 5764
; TotalNumSgprs: 28
; NumVgprs: 29
; ScratchSize: 0
; MemoryBound: 0
; FloatMode: 240
; IeeeMode: 1
; LDSByteSize: 576 bytes/workgroup (compile time only)
; SGPRBlocks: 3
; VGPRBlocks: 7
; NumSGPRsForWavesPerEU: 28
; NumVGPRsForWavesPerEU: 29
; Occupancy: 8
; WaveLimiterHint : 0
; COMPUTE_PGM_RSRC2:SCRATCH_EN: 0
; COMPUTE_PGM_RSRC2:USER_SGPR: 6
; COMPUTE_PGM_RSRC2:TRAP_HANDLER: 0
; COMPUTE_PGM_RSRC2:TGID_X_EN: 1
; COMPUTE_PGM_RSRC2:TGID_Y_EN: 0
; COMPUTE_PGM_RSRC2:TGID_Z_EN: 1
; COMPUTE_PGM_RSRC2:TIDIG_COMP_CNT: 0
	.section	.text._ZL38rocblas_trsm_small_left_device_sharedBILi12ELi12ELb1EffPKfPfEv13rocblas_fill_18rocblas_operation_17rocblas_diagonal_iiT3_T4_lilT5_lili,"axG",@progbits,_ZL38rocblas_trsm_small_left_device_sharedBILi12ELi12ELb1EffPKfPfEv13rocblas_fill_18rocblas_operation_17rocblas_diagonal_iiT3_T4_lilT5_lili,comdat
	.globl	_ZL38rocblas_trsm_small_left_device_sharedBILi12ELi12ELb1EffPKfPfEv13rocblas_fill_18rocblas_operation_17rocblas_diagonal_iiT3_T4_lilT5_lili ; -- Begin function _ZL38rocblas_trsm_small_left_device_sharedBILi12ELi12ELb1EffPKfPfEv13rocblas_fill_18rocblas_operation_17rocblas_diagonal_iiT3_T4_lilT5_lili
	.p2align	8
	.type	_ZL38rocblas_trsm_small_left_device_sharedBILi12ELi12ELb1EffPKfPfEv13rocblas_fill_18rocblas_operation_17rocblas_diagonal_iiT3_T4_lilT5_lili,@function
_ZL38rocblas_trsm_small_left_device_sharedBILi12ELi12ELb1EffPKfPfEv13rocblas_fill_18rocblas_operation_17rocblas_diagonal_iiT3_T4_lilT5_lili: ; @_ZL38rocblas_trsm_small_left_device_sharedBILi12ELi12ELb1EffPKfPfEv13rocblas_fill_18rocblas_operation_17rocblas_diagonal_iiT3_T4_lilT5_lili
; %bb.0:
	s_load_dwordx4 s[8:11], s[4:5], 0x4
	s_load_dword s17, s[4:5], 0x14
	s_load_dwordx4 s[0:3], s[4:5], 0x30
	s_load_dwordx2 s[12:13], s[4:5], 0x40
	s_waitcnt lgkmcnt(0)
	s_min_i32 s16, s10, 12
	v_cmp_gt_i32_e32 vcc, s16, v0
	s_and_saveexec_b64 s[14:15], vcc
	s_cbranch_execz .LBB13_6
; %bb.1:
	s_load_dword s18, s[4:5], 0x28
	s_load_dwordx4 s[20:23], s[4:5], 0x18
	s_mul_i32 s1, s1, s7
	s_mul_hi_u32 s19, s0, s7
	s_add_i32 s1, s19, s1
	s_mul_i32 s0, s0, s7
	s_waitcnt lgkmcnt(0)
	s_ashr_i32 s19, s18, 31
	s_lshl_b64 s[0:1], s[0:1], 2
	s_add_u32 s20, s20, s0
	s_addc_u32 s21, s21, s1
	s_lshl_b64 s[0:1], s[22:23], 2
	s_add_u32 s0, s20, s0
	s_addc_u32 s1, s21, s1
	v_lshlrev_b32_e32 v3, 2, v0
	v_mov_b32_e32 v2, s1
	v_add_co_u32_e32 v1, vcc, s0, v3
	s_lshl_b64 s[0:1], s[18:19], 2
	v_addc_co_u32_e32 v2, vcc, 0, v2, vcc
	v_mov_b32_e32 v4, s1
	v_mov_b32_e32 v5, v3
	s_mov_b32 s1, s16
.LBB13_2:                               ; =>This Inner Loop Header: Depth=1
	global_load_dword v6, v[1:2], off
	v_add_co_u32_e32 v1, vcc, s0, v1
	s_add_i32 s1, s1, -1
	v_addc_co_u32_e32 v2, vcc, v2, v4, vcc
	s_cmp_eq_u32 s1, 0
	s_waitcnt vmcnt(0)
	ds_write_b32 v5, v6
	v_add_u32_e32 v5, 48, v5
	s_cbranch_scc0 .LBB13_2
; %bb.3:
	v_mul_u32_u24_e32 v1, 48, v0
	s_cmpk_lg_i32 s9, 0x84
	v_mov_b32_e32 v2, 1.0
	v_add_u32_e32 v1, v3, v1
	s_cbranch_scc0 .LBB13_5
; %bb.4:
	ds_read_b32 v2, v1
	s_waitcnt lgkmcnt(0)
	v_div_scale_f32 v3, s[0:1], v2, v2, 1.0
	v_div_scale_f32 v4, vcc, 1.0, v2, 1.0
	v_rcp_f32_e32 v5, v3
	v_fma_f32 v6, -v3, v5, 1.0
	v_fmac_f32_e32 v5, v6, v5
	v_mul_f32_e32 v6, v4, v5
	v_fma_f32 v7, -v3, v6, v4
	v_fmac_f32_e32 v6, v7, v5
	v_fma_f32 v3, -v3, v6, v4
	v_div_fmas_f32 v3, v3, v5, v6
	v_div_fixup_f32 v2, v3, v2, 1.0
.LBB13_5:
	ds_write_b32 v1, v2
.LBB13_6:
	s_or_b64 exec, exec, s[14:15]
	s_load_dword s0, s[4:5], 0x60
	s_load_dwordx2 s[14:15], s[4:5], 0x50
	s_load_dword s9, s[4:5], 0x48
	s_waitcnt lgkmcnt(0)
	s_mul_i32 s1, s15, s7
	s_mul_hi_u32 s5, s14, s7
	s_mul_i32 s4, s14, s7
	s_add_i32 s5, s5, s1
	s_lshl_b64 s[4:5], s[4:5], 2
	s_add_u32 s1, s2, s4
	s_addc_u32 s4, s3, s5
	s_lshl_b64 s[2:3], s[12:13], 2
	s_add_u32 s2, s1, s2
	s_mul_i32 s1, s6, -12
	s_addc_u32 s3, s4, s3
	s_add_i32 s0, s0, -1
	s_add_i32 s1, s11, s1
	s_cmp_ge_u32 s6, s0
	s_mul_i32 s6, s6, 12
	s_cselect_b32 s4, s1, 12
	s_mul_hi_i32 s1, s9, s6
	s_mul_i32 s0, s9, s6
	s_lshl_b64 s[0:1], s[0:1], 2
	s_add_u32 s6, s2, s0
	s_addc_u32 s7, s3, s1
	s_cmp_gt_i32 s10, 0
	v_cmp_gt_i32_e64 s[0:1], s4, v0
	s_cselect_b64 s[2:3], -1, 0
	s_and_b64 s[12:13], s[0:1], s[2:3]
	s_and_saveexec_b64 s[4:5], s[12:13]
	s_cbranch_execz .LBB13_9
; %bb.7:
	v_mad_i64_i32 v[1:2], s[12:13], s9, v0, 0
	v_mov_b32_e32 v3, s7
	s_mov_b32 s11, s16
	v_lshlrev_b64 v[1:2], 2, v[1:2]
	v_add_co_u32_e32 v1, vcc, s6, v1
	v_addc_co_u32_e32 v2, vcc, v3, v2, vcc
	v_mov_b32_e32 v3, 0x240
	v_lshl_or_b32 v3, v0, 2, v3
.LBB13_8:                               ; =>This Inner Loop Header: Depth=1
	global_load_dword v4, v[1:2], off
	s_add_i32 s11, s11, -1
	v_add_co_u32_e32 v1, vcc, 4, v1
	v_addc_co_u32_e32 v2, vcc, 0, v2, vcc
	s_cmp_lg_u32 s11, 0
	s_waitcnt vmcnt(0)
	v_mul_f32_e32 v4, s17, v4
	ds_write_b32 v3, v4
	v_add_u32_e32 v3, 48, v3
	s_cbranch_scc1 .LBB13_8
.LBB13_9:
	s_or_b64 exec, exec, s[4:5]
	v_mov_b32_e32 v1, 0x240
	s_cmpk_eq_i32 s8, 0x6f
	v_lshl_or_b32 v9, v0, 2, v1
	s_mov_b64 s[4:5], -1
	s_waitcnt lgkmcnt(0)
	; wave barrier
	s_cbranch_scc1 .LBB13_32
; %bb.10:
	s_add_i32 s4, s16, -1
	s_cmp_gt_i32 s10, 11
	s_mov_b32 s5, -1
	s_cbranch_scc0 .LBB13_12
; %bb.11:
	ds_read2_b32 v[1:2], v9 offset0:120 offset1:132
	v_mov_b32_e32 v18, 0
	ds_read_b32 v3, v18 offset:572
	ds_read_b64 v[5:6], v18 offset:520
	ds_read2_b32 v[7:8], v9 offset0:96 offset1:108
	ds_read2_b32 v[10:11], v9 offset0:72 offset1:84
	;; [unrolled: 1-line block ×5, first 2 shown]
	s_waitcnt lgkmcnt(6)
	v_mul_f32_e32 v19, v2, v3
	s_waitcnt lgkmcnt(5)
	v_fma_f32 v6, -v19, v6, v1
	ds_read_b128 v[1:4], v18 offset:416
	v_mul_f32_e32 v20, v6, v5
	s_waitcnt lgkmcnt(2)
	v_fma_f32 v5, -v19, v15, v8
	s_waitcnt lgkmcnt(1)
	v_fma_f32 v5, -v20, v17, v5
	v_mul_f32_e32 v16, v5, v16
	s_waitcnt lgkmcnt(0)
	v_fma_f32 v4, -v19, v4, v7
	v_fma_f32 v5, -v20, v3, v4
	ds_read2_b32 v[3:4], v18 offset0:93 offset1:94
	v_fma_f32 v2, -v16, v2, v5
	ds_read2_b32 v[5:6], v18 offset0:91 offset1:92
	v_mul_f32_e32 v17, v2, v1
	v_fma_f32 v1, -v19, v14, v11
	ds_read_b64 v[7:8], v18 offset:328
	s_waitcnt lgkmcnt(2)
	v_fma_f32 v1, -v20, v4, v1
	v_fma_f32 v11, -v16, v3, v1
	ds_read2_b64 v[1:4], v18 offset0:39 offset1:40
	s_waitcnt lgkmcnt(2)
	v_fma_f32 v6, -v17, v6, v11
	v_mul_f32_e32 v21, v6, v5
	s_waitcnt lgkmcnt(1)
	v_fma_f32 v5, -v19, v8, v10
	v_fma_f32 v5, -v20, v7, v5
	s_waitcnt lgkmcnt(0)
	v_fma_f32 v4, -v16, v4, v5
	v_fma_f32 v5, -v17, v3, v4
	ds_read2_b32 v[10:11], v18 offset0:47 offset1:71
	ds_read2_b32 v[3:4], v18 offset0:69 offset1:70
	v_fma_f32 v2, -v21, v2, v5
	v_mul_f32_e32 v22, v2, v1
	ds_read2_b32 v[1:2], v18 offset0:67 offset1:68
	s_waitcnt lgkmcnt(2)
	v_fma_f32 v5, -v19, v11, v13
	s_waitcnt lgkmcnt(1)
	v_fma_f32 v4, -v20, v4, v5
	v_fma_f32 v3, -v16, v3, v4
	ds_read2_b32 v[13:14], v18 offset0:65 offset1:66
	s_waitcnt lgkmcnt(1)
	v_fma_f32 v2, -v17, v2, v3
	v_fma_f32 v11, -v21, v1, v2
	ds_read_b128 v[1:4], v18 offset:224
	ds_read_b128 v[5:8], v18 offset:208
	s_waitcnt lgkmcnt(2)
	v_fma_f32 v11, -v22, v14, v11
	v_mul_f32_e32 v23, v11, v13
	s_waitcnt lgkmcnt(1)
	v_fma_f32 v4, -v19, v4, v12
	v_fma_f32 v3, -v20, v3, v4
	;; [unrolled: 1-line block ×4, first 2 shown]
	s_waitcnt lgkmcnt(0)
	v_fma_f32 v1, -v21, v8, v1
	ds_read2_b32 v[13:14], v9 offset0:24 offset1:36
	ds_read2_b32 v[11:12], v9 offset1:12
	ds_write2_b32 v9, v20, v19 offset0:120 offset1:132
	ds_write2_b32 v9, v17, v16 offset0:96 offset1:108
	;; [unrolled: 1-line block ×3, first 2 shown]
	v_fma_f32 v1, -v22, v7, v1
	v_fma_f32 v3, -v23, v6, v1
	ds_read2_b32 v[1:2], v18 offset0:45 offset1:46
	ds_read2_b32 v[7:8], v18 offset0:39 offset1:40
	v_mul_f32_e32 v24, v3, v5
	ds_read2_b32 v[3:4], v18 offset0:43 offset1:44
	s_waitcnt lgkmcnt(7)
	v_fma_f32 v5, -v19, v10, v14
	s_waitcnt lgkmcnt(2)
	v_fma_f32 v2, -v20, v2, v5
	ds_read2_b32 v[5:6], v18 offset0:41 offset1:42
	v_fma_f32 v1, -v16, v1, v2
	s_waitcnt lgkmcnt(1)
	v_fma_f32 v1, -v17, v4, v1
	v_fma_f32 v1, -v21, v3, v1
	ds_read_b64 v[14:15], v18 offset:136
	s_waitcnt lgkmcnt(1)
	v_fma_f32 v1, -v22, v6, v1
	v_fma_f32 v5, -v23, v5, v1
	ds_read2_b64 v[1:4], v18 offset0:15 offset1:16
	v_fma_f32 v5, -v24, v8, v5
	v_mul_f32_e32 v25, v5, v7
	s_waitcnt lgkmcnt(1)
	v_fma_f32 v5, -v19, v15, v13
	v_fma_f32 v5, -v20, v14, v5
	s_waitcnt lgkmcnt(0)
	v_fma_f32 v8, -v16, v4, v5
	ds_read2_b64 v[4:7], v18 offset0:13 offset1:14
	v_fma_f32 v3, -v17, v3, v8
	v_fma_f32 v2, -v21, v2, v3
	;; [unrolled: 1-line block ×3, first 2 shown]
	ds_read_b32 v8, v18 offset:92
	s_waitcnt lgkmcnt(1)
	v_fma_f32 v1, -v23, v7, v1
	v_fma_f32 v3, -v24, v6, v1
	ds_read2_b32 v[1:2], v18 offset0:21 offset1:22
	v_fma_f32 v3, -v25, v5, v3
	v_mul_f32_e32 v14, v3, v4
	ds_read2_b32 v[3:4], v18 offset0:19 offset1:20
	s_waitcnt lgkmcnt(2)
	v_fma_f32 v5, -v19, v8, v12
	s_waitcnt lgkmcnt(1)
	v_fma_f32 v2, -v20, v2, v5
	ds_read2_b32 v[5:6], v18 offset0:17 offset1:18
	ds_read2_b32 v[7:8], v18 offset0:15 offset1:16
	v_fma_f32 v1, -v16, v1, v2
	s_waitcnt lgkmcnt(2)
	v_fma_f32 v1, -v17, v4, v1
	v_fma_f32 v1, -v21, v3, v1
	s_waitcnt lgkmcnt(1)
	v_fma_f32 v1, -v22, v6, v1
	ds_read2_b32 v[12:13], v18 offset0:13 offset1:14
	v_fma_f32 v5, -v23, v5, v1
	ds_read_b128 v[1:4], v18 offset:32
	s_waitcnt lgkmcnt(2)
	v_fma_f32 v5, -v24, v8, v5
	v_fma_f32 v5, -v25, v7, v5
	ds_write2_b32 v9, v24, v23 offset0:48 offset1:60
	s_waitcnt lgkmcnt(2)
	v_fma_f32 v5, -v14, v13, v5
	v_mul_f32_e32 v8, v5, v12
	s_waitcnt lgkmcnt(1)
	v_fma_f32 v15, -v19, v4, v11
	ds_read_b128 v[4:7], v18
	ds_read_b128 v[10:13], v18 offset:16
	v_fma_f32 v3, -v20, v3, v15
	v_fma_f32 v2, -v16, v2, v3
	;; [unrolled: 1-line block ×3, first 2 shown]
	ds_write2_b32 v9, v14, v25 offset0:24 offset1:36
	s_waitcnt lgkmcnt(1)
	v_fma_f32 v1, -v21, v13, v1
	v_fma_f32 v1, -v22, v12, v1
	;; [unrolled: 1-line block ×7, first 2 shown]
	v_mul_f32_e32 v1, v1, v4
	ds_write2_b32 v9, v1, v8 offset1:12
	s_cmp_gt_i32 s5, -1
	s_cbranch_scc1 .LBB13_13
	s_branch .LBB13_31
.LBB13_12:
	s_mov_b32 s5, s4
	s_cmp_gt_i32 s5, -1
	s_cbranch_scc0 .LBB13_31
.LBB13_13:
	s_cmp_lt_u32 s5, 7
	s_cbranch_scc1 .LBB13_18
; %bb.14:
	s_mul_i32 s8, s5, 48
	v_add_u32_e32 v5, s8, v9
	v_subrev_u32_e32 v1, 48, v5
	v_add_u32_e32 v2, 0xffffffa0, v5
	v_add_u32_e32 v3, 0xffffff70, v5
	;; [unrolled: 1-line block ×6, first 2 shown]
	ds_read_b32 v10, v5
	ds_read_b32 v8, v1
	;; [unrolled: 1-line block ×8, first 2 shown]
	s_cmp_le_i32 s4, s5
	s_cbranch_scc1 .LBB13_17
; %bb.15:
	s_mul_i32 s11, s16, 48
	v_lshl_add_u32 v11, v0, 2, s11
	s_lshl_b32 s11, s16, 2
	s_add_i32 s11, s8, s11
	v_add_u32_e32 v11, 0x210, v11
	s_addk_i32 s11, 0xfeac
	s_mov_b32 s12, s4
.LBB13_16:                              ; =>This Inner Loop Header: Depth=1
	v_mov_b32_e32 v18, s11
	ds_read_b32 v20, v11
	ds_read2_b32 v[12:13], v18 offset0:72 offset1:84
	ds_read2_b32 v[14:15], v18 offset0:48 offset1:60
	;; [unrolled: 1-line block ×3, first 2 shown]
	ds_read2_b32 v[18:19], v18 offset1:12
	s_add_i32 s12, s12, -1
	s_add_i32 s11, s11, -4
	v_subrev_u32_e32 v11, 48, v11
	s_cmp_gt_i32 s12, s5
	s_waitcnt lgkmcnt(3)
	v_fma_f32 v10, -v20, v13, v10
	v_fma_f32 v8, -v20, v12, v8
	s_waitcnt lgkmcnt(2)
	v_fma_f32 v7, -v20, v15, v7
	v_fma_f32 v6, -v20, v14, v6
	;; [unrolled: 3-line block ×4, first 2 shown]
	s_cbranch_scc1 .LBB13_16
.LBB13_17:
	s_mul_i32 s11, s5, 52
	v_mov_b32_e32 v11, s11
	s_sub_i32 s8, s8, 48
	s_lshl_b32 s11, s5, 2
	s_add_i32 s11, s8, s11
	s_add_i32 s12, s11, -4
	ds_read_b32 v15, v11
	v_mov_b32_e32 v11, s12
	s_sub_i32 s12, s11, 48
	v_mov_b32_e32 v13, s12
	s_sub_i32 s12, s11, 56
	v_mov_b32_e32 v14, s12
	ds_read2_b32 v[11:12], v11 offset1:1
	ds_read_b32 v16, v13
	ds_read2_b32 v[13:14], v14 offset1:1
	s_waitcnt lgkmcnt(3)
	v_mul_f32_e32 v15, v10, v15
	ds_write_b32 v5, v15
	s_waitcnt lgkmcnt(3)
	v_fma_f32 v5, -v15, v12, v8
	v_mul_f32_e32 v17, v5, v11
	s_waitcnt lgkmcnt(2)
	v_fma_f32 v5, -v15, v16, v7
	v_add_u32_e32 v18, s8, v9
	s_waitcnt lgkmcnt(1)
	v_fma_f32 v5, -v17, v14, v5
	v_mul_f32_e32 v14, v5, v13
	v_subrev_u32_e32 v5, 48, v18
	s_add_i32 s8, s11, 0xffffff9c
	ds_write_b32 v5, v14
	v_mov_b32_e32 v5, s8
	s_add_i32 s8, s11, 0xffffff94
	ds_read2_b32 v[7:8], v5 offset1:1
	v_mov_b32_e32 v5, s8
	s_add_i32 s8, s11, 0xffffff70
	v_mov_b32_e32 v12, s8
	s_add_i32 s8, s11, 0xffffff68
	ds_write_b32 v18, v17
	v_mov_b32_e32 v13, s8
	ds_read2_b32 v[10:11], v5 offset1:1
	ds_read_b32 v5, v12
	ds_read2_b32 v[12:13], v13 offset1:1
	s_waitcnt lgkmcnt(4)
	v_fma_f32 v6, -v15, v8, v6
	v_fma_f32 v6, -v17, v7, v6
	s_waitcnt lgkmcnt(2)
	v_fma_f32 v6, -v14, v11, v6
	s_waitcnt lgkmcnt(1)
	;; [unrolled: 2-line block ×3, first 2 shown]
	v_fma_f32 v4, -v17, v13, v4
	s_add_i32 s8, s11, 0xffffff60
	v_mul_f32_e32 v16, v6, v10
	v_add_u32_e32 v6, 0xffffffa0, v18
	v_fma_f32 v8, -v14, v12, v4
	v_mov_b32_e32 v4, s8
	s_add_i32 s8, s11, 0xffffff3c
	ds_write_b32 v6, v16
	v_mov_b32_e32 v6, s8
	s_add_i32 s8, s11, 0xffffff34
	v_mov_b32_e32 v10, s8
	s_add_i32 s8, s11, 0xffffff2c
	v_mov_b32_e32 v12, s8
	ds_read2_b32 v[4:5], v4 offset1:1
	ds_read2_b32 v[6:7], v6 offset1:1
	;; [unrolled: 1-line block ×4, first 2 shown]
	s_add_i32 s8, s11, 0xffffff10
	s_add_i32 s5, s5, -8
	s_waitcnt lgkmcnt(2)
	v_fma_f32 v3, -v15, v7, v3
	v_fma_f32 v3, -v17, v6, v3
	;; [unrolled: 1-line block ×3, first 2 shown]
	s_waitcnt lgkmcnt(1)
	v_fma_f32 v3, -v14, v11, v3
	v_mul_f32_e32 v19, v5, v4
	v_fma_f32 v3, -v16, v10, v3
	s_waitcnt lgkmcnt(0)
	v_fma_f32 v3, -v19, v13, v3
	v_mul_f32_e32 v12, v3, v12
	v_add_u32_e32 v3, 0xffffff40, v18
	v_add_u32_e32 v4, 0xffffff70, v18
	ds_write_b32 v3, v12
	v_mov_b32_e32 v3, s8
	s_add_i32 s8, s11, 0xffffff08
	ds_write_b32 v4, v19
	v_mov_b32_e32 v4, s8
	ds_read_b32 v10, v3
	ds_read2_b32 v[3:4], v4 offset1:1
	s_add_i32 s8, s11, 0xffffff00
	v_mov_b32_e32 v5, s8
	s_add_i32 s8, s11, 0xfffffef8
	v_mov_b32_e32 v7, s8
	ds_read2_b32 v[5:6], v5 offset1:1
	ds_read2_b32 v[7:8], v7 offset1:1
	s_waitcnt lgkmcnt(3)
	v_fma_f32 v2, -v15, v10, v2
	s_waitcnt lgkmcnt(2)
	v_fma_f32 v2, -v17, v4, v2
	v_fma_f32 v2, -v14, v3, v2
	s_waitcnt lgkmcnt(1)
	v_fma_f32 v2, -v16, v6, v2
	;; [unrolled: 3-line block ×3, first 2 shown]
	v_mul_f32_e32 v8, v2, v7
	v_add_u32_e32 v2, 0xffffff10, v18
	s_add_i32 s8, s11, 0xfffffedc
	ds_write_b32 v2, v8
	v_mov_b32_e32 v2, s8
	ds_read2_b32 v[2:3], v2 offset1:1
	s_add_i32 s8, s11, 0xfffffed4
	v_mov_b32_e32 v4, s8
	s_add_i32 s8, s11, 0xfffffecc
	v_mov_b32_e32 v6, s8
	;; [unrolled: 2-line block ×3, first 2 shown]
	ds_read2_b32 v[4:5], v4 offset1:1
	ds_read2_b32 v[6:7], v6 offset1:1
	;; [unrolled: 1-line block ×3, first 2 shown]
	s_waitcnt lgkmcnt(3)
	v_fma_f32 v1, -v15, v3, v1
	v_fma_f32 v1, -v17, v2, v1
	s_waitcnt lgkmcnt(2)
	v_fma_f32 v1, -v14, v5, v1
	v_fma_f32 v1, -v16, v4, v1
	;; [unrolled: 3-line block ×3, first 2 shown]
	s_waitcnt lgkmcnt(0)
	v_fma_f32 v1, -v8, v11, v1
	v_mul_f32_e32 v1, v1, v10
	v_add_u32_e32 v2, 0xfffffee0, v18
	ds_write_b32 v2, v1
.LBB13_18:
	s_cmp_lt_i32 s5, 0
	s_cbranch_scc1 .LBB13_31
; %bb.19:
	s_bitcmp1_b32 s5, 0
	s_cselect_b64 s[12:13], -1, 0
	s_and_b64 vcc, exec, s[12:13]
	s_mov_b32 s8, s5
	s_cbranch_vccnz .LBB13_24
; %bb.20:
	s_mul_i32 s8, s5, 48
	v_add_u32_e32 v1, s8, v9
	ds_read_b32 v2, v1
	s_cmp_le_i32 s4, s5
	s_cbranch_scc1 .LBB13_23
; %bb.21:
	s_lshl_b32 s11, s16, 2
	s_add_i32 s8, s8, s11
	s_mul_i32 s11, s16, 48
	v_lshl_add_u32 v3, v0, 2, s11
	s_add_i32 s8, s8, -4
	v_add_u32_e32 v3, 0x210, v3
	s_mov_b32 s11, s4
.LBB13_22:                              ; =>This Inner Loop Header: Depth=1
	v_mov_b32_e32 v5, s8
	ds_read_b32 v4, v3
	ds_read_b32 v5, v5
	s_add_i32 s11, s11, -1
	s_add_i32 s8, s8, -4
	v_subrev_u32_e32 v3, 48, v3
	s_cmp_gt_i32 s11, s5
	s_waitcnt lgkmcnt(0)
	v_fma_f32 v2, -v4, v5, v2
	s_cbranch_scc1 .LBB13_22
.LBB13_23:
	s_mul_i32 s8, s5, 52
	v_mov_b32_e32 v3, s8
	ds_read_b32 v3, v3
	s_add_i32 s8, s5, -1
	s_waitcnt lgkmcnt(0)
	v_mul_f32_e32 v2, v2, v3
	ds_write_b32 v1, v2
.LBB13_24:
	s_cmp_eq_u32 s5, 0
	s_cbranch_scc1 .LBB13_31
; %bb.25:
	s_mul_i32 s5, s8, 48
	s_lshl_b32 s11, s16, 2
	s_mul_i32 s12, s16, 48
	s_add_i32 s11, s5, s11
	v_lshl_add_u32 v1, v0, 2, s12
	s_add_i32 s5, s11, -4
	v_add_u32_e32 v1, 0x210, v1
	s_sub_i32 s11, s11, 52
	s_branch .LBB13_27
.LBB13_26:                              ;   in Loop: Header=BB13_27 Depth=1
	s_sub_i32 s12, s12, 52
	v_mov_b32_e32 v3, s12
	ds_read_b32 v3, v3
	s_add_i32 s12, s8, -2
	s_addk_i32 s5, 0xffa0
	s_addk_i32 s11, 0xffa0
	s_cmp_lt_i32 s8, 2
	s_waitcnt lgkmcnt(0)
	v_mul_f32_e32 v3, v5, v3
	s_mov_b32 s8, s12
	ds_write_b32 v2, v3
	s_cbranch_scc1 .LBB13_31
.LBB13_27:                              ; =>This Loop Header: Depth=1
                                        ;     Child Loop BB13_28 Depth 2
                                        ;     Child Loop BB13_30 Depth 2
	s_mul_i32 s13, s8, 48
	v_add_u32_e32 v3, s13, v9
	ds_read_b32 v4, v3
	s_cmp_le_i32 s4, s8
	v_mov_b32_e32 v2, v1
	s_mov_b32 s12, s5
	s_mov_b32 s14, s4
	s_cbranch_scc1 .LBB13_29
.LBB13_28:                              ;   Parent Loop BB13_27 Depth=1
                                        ; =>  This Inner Loop Header: Depth=2
	v_mov_b32_e32 v6, s12
	ds_read_b32 v5, v2
	ds_read_b32 v6, v6
	s_add_i32 s14, s14, -1
	s_add_i32 s12, s12, -4
	v_subrev_u32_e32 v2, 48, v2
	s_cmp_gt_i32 s14, s8
	s_waitcnt lgkmcnt(0)
	v_fma_f32 v4, -v5, v6, v4
	s_cbranch_scc1 .LBB13_28
.LBB13_29:                              ;   in Loop: Header=BB13_27 Depth=1
	s_mul_i32 s12, s8, 52
	v_mov_b32_e32 v2, s12
	ds_read_b32 v6, v2
	s_sub_i32 s13, s13, 48
	v_add_u32_e32 v2, s13, v9
	ds_read_b32 v5, v2
	s_cmp_le_i32 s16, s8
	s_waitcnt lgkmcnt(1)
	v_mul_f32_e32 v4, v4, v6
	ds_write_b32 v3, v4
	v_mov_b32_e32 v3, v1
	s_mov_b32 s13, s11
	s_mov_b32 s14, s16
	s_cbranch_scc1 .LBB13_26
.LBB13_30:                              ;   Parent Loop BB13_27 Depth=1
                                        ; =>  This Inner Loop Header: Depth=2
	v_mov_b32_e32 v6, s13
	ds_read_b32 v4, v3
	ds_read_b32 v6, v6
	s_add_i32 s14, s14, -1
	s_add_i32 s13, s13, -4
	v_subrev_u32_e32 v3, 48, v3
	s_cmp_gt_i32 s14, s8
	s_waitcnt lgkmcnt(0)
	v_fma_f32 v5, -v4, v6, v5
	s_cbranch_scc1 .LBB13_30
	s_branch .LBB13_26
.LBB13_31:
	s_mov_b64 s[4:5], 0
.LBB13_32:
	s_and_b64 vcc, exec, s[4:5]
	s_cbranch_vccz .LBB13_46
; %bb.33:
	s_cmp_gt_i32 s10, 11
	s_cselect_b64 s[4:5], -1, 0
	s_and_b64 vcc, exec, s[4:5]
	s_cbranch_vccz .LBB13_35
; %bb.34:
	ds_read2_b32 v[5:6], v9 offset1:12
	v_mov_b32_e32 v12, 0
	ds_read_b128 v[1:4], v12
	ds_read2_b32 v[7:8], v9 offset0:24 offset1:36
	ds_read2_b32 v[10:11], v9 offset0:48 offset1:60
	s_mov_b32 s8, 12
	s_waitcnt lgkmcnt(2)
	v_mul_f32_e32 v13, v5, v1
	v_fma_f32 v14, -v13, v2, v6
	s_waitcnt lgkmcnt(1)
	v_fma_f32 v7, -v13, v3, v7
	v_fma_f32 v8, -v13, v4, v8
	ds_read_b128 v[1:4], v12 offset:16
	s_waitcnt lgkmcnt(0)
	v_fma_f32 v10, -v13, v1, v10
	v_fma_f32 v11, -v13, v2, v11
	ds_read2_b32 v[1:2], v9 offset0:72 offset1:84
	s_waitcnt lgkmcnt(0)
	v_fma_f32 v15, -v13, v3, v1
	v_fma_f32 v16, -v13, v4, v2
	ds_read2_b32 v[5:6], v9 offset0:96 offset1:108
	ds_read_b128 v[1:4], v12 offset:32
	s_waitcnt lgkmcnt(0)
	v_fma_f32 v17, -v13, v1, v5
	v_fma_f32 v18, -v13, v2, v6
	ds_read2_b32 v[1:2], v9 offset0:120 offset1:132
	s_waitcnt lgkmcnt(0)
	v_fma_f32 v19, -v13, v3, v1
	v_fma_f32 v20, -v13, v4, v2
	ds_read2_b32 v[1:2], v12 offset0:13 offset1:14
	s_waitcnt lgkmcnt(0)
	v_mul_f32_e32 v14, v14, v1
	v_fma_f32 v5, -v14, v2, v7
	ds_read2_b32 v[1:2], v12 offset0:15 offset1:16
	s_waitcnt lgkmcnt(0)
	v_fma_f32 v6, -v14, v1, v8
	v_fma_f32 v7, -v14, v2, v10
	ds_read2_b64 v[1:4], v12 offset0:13 offset1:14
	s_waitcnt lgkmcnt(0)
	v_mul_f32_e32 v21, v5, v1
	v_fma_f32 v5, -v21, v2, v6
	ds_read2_b32 v[1:2], v12 offset0:17 offset1:18
	v_fma_f32 v6, -v21, v3, v7
	s_waitcnt lgkmcnt(0)
	v_fma_f32 v1, -v14, v1, v11
	v_fma_f32 v1, -v21, v4, v1
	ds_read2_b32 v[3:4], v12 offset0:39 offset1:40
	s_waitcnt lgkmcnt(0)
	v_mul_f32_e32 v22, v5, v3
	v_fma_f32 v10, -v22, v4, v6
	ds_read2_b32 v[4:5], v12 offset0:41 offset1:42
	v_fma_f32 v6, -v14, v2, v15
	s_waitcnt lgkmcnt(0)
	v_fma_f32 v11, -v22, v4, v1
	ds_read2_b64 v[1:4], v12 offset0:15 offset1:16
	s_waitcnt lgkmcnt(0)
	v_fma_f32 v1, -v21, v1, v6
	v_fma_f32 v1, -v22, v5, v1
	ds_read_b128 v[5:8], v12 offset:208
	s_waitcnt lgkmcnt(0)
	v_mul_f32_e32 v15, v10, v5
	v_fma_f32 v23, -v15, v6, v11
	ds_read2_b32 v[5:6], v12 offset0:19 offset1:20
	ds_read2_b32 v[10:11], v12 offset0:21 offset1:22
	v_fma_f32 v7, -v15, v7, v1
	s_waitcnt lgkmcnt(1)
	v_fma_f32 v1, -v14, v5, v16
	v_fma_f32 v5, -v21, v2, v1
	ds_read2_b32 v[1:2], v12 offset0:43 offset1:44
	s_waitcnt lgkmcnt(0)
	v_fma_f32 v1, -v22, v1, v5
	v_fma_f32 v5, -v14, v6, v17
	;; [unrolled: 1-line block ×5, first 2 shown]
	ds_read2_b32 v[3:4], v12 offset0:65 offset1:66
	v_fma_f32 v6, -v22, v2, v5
	v_fma_f32 v1, -v15, v8, v1
	s_waitcnt lgkmcnt(0)
	v_mul_f32_e32 v16, v23, v3
	v_fma_f32 v17, -v16, v4, v7
	ds_read2_b32 v[4:5], v12 offset0:67 offset1:68
	s_waitcnt lgkmcnt(0)
	v_fma_f32 v18, -v16, v4, v1
	ds_read_b128 v[1:4], v12 offset:224
	s_waitcnt lgkmcnt(0)
	v_fma_f32 v1, -v15, v1, v6
	v_fma_f32 v1, -v16, v5, v1
	ds_read2_b64 v[5:8], v12 offset0:39 offset1:40
	s_waitcnt lgkmcnt(0)
	v_mul_f32_e32 v17, v17, v5
	v_fma_f32 v18, -v17, v6, v18
	ds_read2_b32 v[5:6], v12 offset0:45 offset1:46
	v_fma_f32 v23, -v17, v7, v1
	s_waitcnt lgkmcnt(0)
	v_fma_f32 v1, -v22, v5, v10
	v_fma_f32 v5, -v15, v2, v1
	ds_read2_b32 v[1:2], v12 offset0:69 offset1:70
	s_waitcnt lgkmcnt(0)
	v_fma_f32 v1, -v16, v1, v5
	v_fma_f32 v10, -v17, v8, v1
	ds_read_b64 v[7:8], v12 offset:136
	ds_read_b32 v5, v12 offset:92
	v_fma_f32 v1, -v14, v11, v19
	s_waitcnt lgkmcnt(1)
	v_fma_f32 v1, -v21, v7, v1
	s_waitcnt lgkmcnt(0)
	v_fma_f32 v5, -v14, v5, v20
	v_fma_f32 v1, -v22, v6, v1
	;; [unrolled: 1-line block ×3, first 2 shown]
	ds_read2_b32 v[5:6], v12 offset0:47 offset1:71
	v_fma_f32 v1, -v15, v3, v1
	v_fma_f32 v11, -v16, v2, v1
	ds_read2_b32 v[1:2], v12 offset0:93 offset1:94
	s_waitcnt lgkmcnt(1)
	v_fma_f32 v3, -v22, v5, v7
	v_fma_f32 v5, -v15, v4, v3
	ds_read2_b32 v[3:4], v12 offset0:91 offset1:92
	s_waitcnt lgkmcnt(0)
	v_mul_f32_e32 v7, v18, v3
	v_fma_f32 v8, -v7, v4, v23
	ds_read_b64 v[3:4], v12 offset:328
	v_fma_f32 v10, -v7, v1, v10
	s_waitcnt lgkmcnt(0)
	v_fma_f32 v1, -v17, v3, v11
	v_fma_f32 v11, -v7, v2, v1
	;; [unrolled: 1-line block ×4, first 2 shown]
	ds_read_b128 v[1:4], v12 offset:416
	s_waitcnt lgkmcnt(0)
	v_mul_f32_e32 v8, v8, v1
	v_fma_f32 v10, -v8, v2, v10
	ds_read2_b32 v[1:2], v12 offset0:95 offset1:119
	ds_write2_b32 v9, v13, v14 offset1:12
	ds_write2_b32 v9, v21, v22 offset0:24 offset1:36
	ds_write2_b32 v9, v15, v16 offset0:48 offset1:60
	v_fma_f32 v11, -v8, v3, v11
	ds_write2_b32 v9, v17, v7 offset0:72 offset1:84
	s_waitcnt lgkmcnt(4)
	v_fma_f32 v1, -v7, v1, v5
	v_fma_f32 v1, -v8, v4, v1
	ds_read2_b32 v[3:4], v12 offset0:117 offset1:118
	ds_read_b64 v[5:6], v12 offset:520
	ds_read_b32 v7, v12 offset:572
	s_waitcnt lgkmcnt(2)
	v_mul_f32_e32 v3, v10, v3
	v_fma_f32 v4, -v3, v4, v11
	s_waitcnt lgkmcnt(1)
	v_mul_f32_e32 v4, v4, v5
	v_fma_f32 v1, -v3, v2, v1
	v_fma_f32 v1, -v4, v6, v1
	s_waitcnt lgkmcnt(0)
	v_mul_f32_e32 v1, v1, v7
	ds_write2_b32 v9, v8, v3 offset0:96 offset1:108
	ds_write2_b32 v9, v4, v1 offset0:120 offset1:132
	s_cmp_lt_i32 s8, s16
	s_cbranch_scc1 .LBB13_36
	s_branch .LBB13_46
.LBB13_35:
	s_mov_b32 s8, 0
	s_cmp_lt_i32 s8, s16
	s_cbranch_scc0 .LBB13_46
.LBB13_36:
	s_add_i32 s10, s8, 7
	s_cmp_ge_u32 s10, s16
	s_cbranch_scc1 .LBB13_41
; %bb.37:
	s_mul_i32 s10, s8, 48
	v_add_u32_e32 v10, s10, v9
	ds_read2_b32 v[7:8], v10 offset1:12
	ds_read2_b32 v[5:6], v10 offset0:24 offset1:36
	ds_read2_b32 v[3:4], v10 offset0:48 offset1:60
	ds_read2_b32 v[1:2], v10 offset0:72 offset1:84
	s_andn2_b64 vcc, exec, s[4:5]
	s_lshl_b32 s4, s8, 2
	s_cbranch_vccnz .LBB13_40
; %bb.38:
	v_mov_b32_e32 v11, 0x240
	v_lshl_or_b32 v11, v0, 2, v11
	s_mov_b32 s5, s4
	s_mov_b32 s11, s8
.LBB13_39:                              ; =>This Inner Loop Header: Depth=1
	v_mov_b32_e32 v16, s5
	ds_read_b32 v20, v11
	ds_read_b128 v[12:15], v16
	ds_read_b128 v[16:19], v16 offset:16
	s_add_i32 s11, s11, -1
	s_add_i32 s5, s5, 48
	v_add_u32_e32 v11, 48, v11
	s_cmp_lg_u32 s11, 0
	s_waitcnt lgkmcnt(1)
	v_fma_f32 v7, -v20, v12, v7
	v_fma_f32 v8, -v20, v13, v8
	;; [unrolled: 1-line block ×4, first 2 shown]
	s_waitcnt lgkmcnt(0)
	v_fma_f32 v3, -v20, v16, v3
	v_fma_f32 v4, -v20, v17, v4
	;; [unrolled: 1-line block ×4, first 2 shown]
	s_cbranch_scc1 .LBB13_39
.LBB13_40:
	s_add_i32 s5, s4, s10
	v_mov_b32_e32 v19, s5
	ds_read_b128 v[11:14], v19
	ds_read_b128 v[15:18], v19 offset:16
	s_add_i32 s5, s10, 48
	s_add_i32 s11, s4, s5
	v_mov_b32_e32 v20, s11
	s_waitcnt lgkmcnt(1)
	v_mul_f32_e32 v11, v7, v11
	v_fma_f32 v13, -v11, v13, v5
	v_fma_f32 v14, -v11, v14, v6
	ds_read2_b32 v[5:6], v19 offset0:13 offset1:14
	v_fma_f32 v12, -v11, v12, v8
	s_waitcnt lgkmcnt(1)
	v_fma_f32 v15, -v11, v15, v3
	v_fma_f32 v16, -v11, v16, v4
	;; [unrolled: 1-line block ×4, first 2 shown]
	ds_read2_b64 v[1:4], v19 offset0:13 offset1:14
	ds_read2_b32 v[7:8], v20 offset0:3 offset1:4
	ds_read_b32 v21, v19 offset:364
	s_add_i32 s11, s10, 0x90
	s_waitcnt lgkmcnt(3)
	v_mul_f32_e32 v12, v12, v5
	s_add_i32 s12, s4, s11
	v_fma_f32 v5, -v12, v6, v13
	v_mov_b32_e32 v22, s12
	s_waitcnt lgkmcnt(2)
	v_mul_f32_e32 v13, v5, v1
	s_waitcnt lgkmcnt(1)
	v_fma_f32 v1, -v12, v7, v14
	ds_read_b32 v23, v22 offset:28
	ds_read_b32 v24, v20 offset:28
	ds_read2_b32 v[5:6], v20 offset0:5 offset1:6
	v_fma_f32 v14, -v13, v2, v1
	v_fma_f32 v1, -v12, v8, v15
	ds_read2_b32 v[7:8], v19 offset0:39 offset1:40
	v_fma_f32 v15, -v13, v3, v1
	s_waitcnt lgkmcnt(1)
	v_fma_f32 v1, -v12, v5, v16
	v_fma_f32 v5, -v13, v4, v1
	ds_write_b32 v10, v11
	ds_read_b128 v[1:4], v19 offset:208
	s_waitcnt lgkmcnt(2)
	v_mul_f32_e32 v10, v14, v7
	v_fma_f32 v11, -v10, v8, v15
	ds_read2_b32 v[7:8], v22 offset0:5 offset1:6
	s_add_i32 s12, s10, 0x60
	s_addk_i32 s10, 0xf0
	s_add_i32 s13, s4, s12
	s_add_i32 s4, s4, s10
	s_waitcnt lgkmcnt(0)
	v_fma_f32 v7, -v10, v7, v5
	v_fma_f32 v14, -v12, v6, v17
	v_mov_b32_e32 v5, s13
	v_mov_b32_e32 v6, s4
	ds_read_b32 v15, v6 offset:28
	ds_read_b64 v[5:6], v5 offset:24
	v_mul_f32_e32 v11, v11, v1
	s_add_i32 s8, s8, 8
	s_waitcnt lgkmcnt(0)
	v_fma_f32 v5, -v13, v5, v14
	v_fma_f32 v5, -v10, v8, v5
	v_fma_f32 v14, -v11, v2, v7
	ds_read2_b32 v[1:2], v19 offset0:65 offset1:66
	ds_read_b64 v[7:8], v19 offset:312
	v_fma_f32 v3, -v11, v3, v5
	v_add_u32_e32 v5, s10, v9
	s_waitcnt lgkmcnt(1)
	v_mul_f32_e32 v1, v14, v1
	v_fma_f32 v2, -v1, v2, v3
	v_add_u32_e32 v3, s5, v9
	ds_write_b32 v3, v12
	v_add_u32_e32 v3, s12, v9
	ds_write_b32 v3, v13
	v_add_u32_e32 v3, s11, v9
	ds_write2_b32 v3, v10, v11 offset1:12
	v_fma_f32 v3, -v12, v24, v18
	v_fma_f32 v3, -v13, v6, v3
	;; [unrolled: 1-line block ×3, first 2 shown]
	s_waitcnt lgkmcnt(3)
	v_mul_f32_e32 v2, v2, v7
	v_fma_f32 v3, -v11, v4, v3
	ds_write2_b32 v5, v1, v2 offset1:12
	v_fma_f32 v1, -v1, v15, v3
	v_fma_f32 v1, -v2, v8, v1
	v_mul_f32_e32 v1, v1, v21
	ds_write_b32 v5, v1 offset:96
.LBB13_41:
	s_cmp_ge_i32 s8, s16
	s_cbranch_scc1 .LBB13_46
; %bb.42:
	v_mov_b32_e32 v1, 0x240
	s_lshl_b32 s4, s8, 2
	v_lshl_or_b32 v1, v0, 2, v1
	s_branch .LBB13_44
.LBB13_43:                              ;   in Loop: Header=BB13_44 Depth=1
	s_lshl_b32 s10, s8, 2
	s_add_i32 s5, s10, s5
	v_mov_b32_e32 v4, s5
	ds_read_b32 v4, v4
	s_add_i32 s8, s8, 1
	s_add_i32 s4, s4, 4
	s_cmp_ge_i32 s8, s16
	s_waitcnt lgkmcnt(0)
	v_mul_f32_e32 v3, v3, v4
	ds_write_b32 v2, v3
	s_cbranch_scc1 .LBB13_46
.LBB13_44:                              ; =>This Loop Header: Depth=1
                                        ;     Child Loop BB13_45 Depth 2
	s_mul_i32 s5, s8, 48
	v_add_u32_e32 v2, s5, v9
	ds_read_b32 v3, v2
	s_cmp_eq_u32 s8, 0
	v_mov_b32_e32 v4, v1
	s_mov_b32 s10, s4
	s_mov_b32 s11, s8
	s_cbranch_scc1 .LBB13_43
.LBB13_45:                              ;   Parent Loop BB13_44 Depth=1
                                        ; =>  This Inner Loop Header: Depth=2
	v_mov_b32_e32 v6, s10
	ds_read_b32 v5, v4
	ds_read_b32 v6, v6
	s_add_i32 s11, s11, -1
	s_add_i32 s10, s10, 48
	v_add_u32_e32 v4, 48, v4
	s_cmp_lg_u32 s11, 0
	s_waitcnt lgkmcnt(0)
	v_fma_f32 v3, -v5, v6, v3
	s_cbranch_scc1 .LBB13_45
	s_branch .LBB13_43
.LBB13_46:
	s_waitcnt lgkmcnt(0)
	; wave barrier
	s_and_saveexec_b64 s[4:5], s[0:1]
	s_cbranch_execz .LBB13_50
; %bb.47:
	s_andn2_b64 vcc, exec, s[2:3]
	s_cbranch_vccnz .LBB13_50
; %bb.48:
	v_mad_i64_i32 v[1:2], s[0:1], s9, v0, 0
	v_mov_b32_e32 v3, s7
	v_lshlrev_b64 v[1:2], 2, v[1:2]
	v_add_co_u32_e32 v1, vcc, s6, v1
	v_addc_co_u32_e32 v2, vcc, v3, v2, vcc
	v_mov_b32_e32 v3, 0x240
	v_lshl_or_b32 v0, v0, 2, v3
.LBB13_49:                              ; =>This Inner Loop Header: Depth=1
	ds_read_b32 v3, v0
	s_add_i32 s16, s16, -1
	v_add_u32_e32 v0, 48, v0
	s_cmp_lg_u32 s16, 0
	s_waitcnt lgkmcnt(0)
	global_store_dword v[1:2], v3, off
	v_add_co_u32_e32 v1, vcc, 4, v1
	v_addc_co_u32_e32 v2, vcc, 0, v2, vcc
	s_cbranch_scc1 .LBB13_49
.LBB13_50:
	s_endpgm
	.section	.rodata,"a",@progbits
	.p2align	6, 0x0
	.amdhsa_kernel _ZL38rocblas_trsm_small_left_device_sharedBILi12ELi12ELb1EffPKfPfEv13rocblas_fill_18rocblas_operation_17rocblas_diagonal_iiT3_T4_lilT5_lili
		.amdhsa_group_segment_fixed_size 1152
		.amdhsa_private_segment_fixed_size 0
		.amdhsa_kernarg_size 352
		.amdhsa_user_sgpr_count 6
		.amdhsa_user_sgpr_private_segment_buffer 1
		.amdhsa_user_sgpr_dispatch_ptr 0
		.amdhsa_user_sgpr_queue_ptr 0
		.amdhsa_user_sgpr_kernarg_segment_ptr 1
		.amdhsa_user_sgpr_dispatch_id 0
		.amdhsa_user_sgpr_flat_scratch_init 0
		.amdhsa_user_sgpr_private_segment_size 0
		.amdhsa_uses_dynamic_stack 0
		.amdhsa_system_sgpr_private_segment_wavefront_offset 0
		.amdhsa_system_sgpr_workgroup_id_x 1
		.amdhsa_system_sgpr_workgroup_id_y 0
		.amdhsa_system_sgpr_workgroup_id_z 1
		.amdhsa_system_sgpr_workgroup_info 0
		.amdhsa_system_vgpr_workitem_id 0
		.amdhsa_next_free_vgpr 26
		.amdhsa_next_free_sgpr 24
		.amdhsa_reserve_vcc 1
		.amdhsa_reserve_flat_scratch 0
		.amdhsa_float_round_mode_32 0
		.amdhsa_float_round_mode_16_64 0
		.amdhsa_float_denorm_mode_32 3
		.amdhsa_float_denorm_mode_16_64 3
		.amdhsa_dx10_clamp 1
		.amdhsa_ieee_mode 1
		.amdhsa_fp16_overflow 0
		.amdhsa_exception_fp_ieee_invalid_op 0
		.amdhsa_exception_fp_denorm_src 0
		.amdhsa_exception_fp_ieee_div_zero 0
		.amdhsa_exception_fp_ieee_overflow 0
		.amdhsa_exception_fp_ieee_underflow 0
		.amdhsa_exception_fp_ieee_inexact 0
		.amdhsa_exception_int_div_zero 0
	.end_amdhsa_kernel
	.section	.text._ZL38rocblas_trsm_small_left_device_sharedBILi12ELi12ELb1EffPKfPfEv13rocblas_fill_18rocblas_operation_17rocblas_diagonal_iiT3_T4_lilT5_lili,"axG",@progbits,_ZL38rocblas_trsm_small_left_device_sharedBILi12ELi12ELb1EffPKfPfEv13rocblas_fill_18rocblas_operation_17rocblas_diagonal_iiT3_T4_lilT5_lili,comdat
.Lfunc_end13:
	.size	_ZL38rocblas_trsm_small_left_device_sharedBILi12ELi12ELb1EffPKfPfEv13rocblas_fill_18rocblas_operation_17rocblas_diagonal_iiT3_T4_lilT5_lili, .Lfunc_end13-_ZL38rocblas_trsm_small_left_device_sharedBILi12ELi12ELb1EffPKfPfEv13rocblas_fill_18rocblas_operation_17rocblas_diagonal_iiT3_T4_lilT5_lili
                                        ; -- End function
	.set _ZL38rocblas_trsm_small_left_device_sharedBILi12ELi12ELb1EffPKfPfEv13rocblas_fill_18rocblas_operation_17rocblas_diagonal_iiT3_T4_lilT5_lili.num_vgpr, 26
	.set _ZL38rocblas_trsm_small_left_device_sharedBILi12ELi12ELb1EffPKfPfEv13rocblas_fill_18rocblas_operation_17rocblas_diagonal_iiT3_T4_lilT5_lili.num_agpr, 0
	.set _ZL38rocblas_trsm_small_left_device_sharedBILi12ELi12ELb1EffPKfPfEv13rocblas_fill_18rocblas_operation_17rocblas_diagonal_iiT3_T4_lilT5_lili.numbered_sgpr, 24
	.set _ZL38rocblas_trsm_small_left_device_sharedBILi12ELi12ELb1EffPKfPfEv13rocblas_fill_18rocblas_operation_17rocblas_diagonal_iiT3_T4_lilT5_lili.num_named_barrier, 0
	.set _ZL38rocblas_trsm_small_left_device_sharedBILi12ELi12ELb1EffPKfPfEv13rocblas_fill_18rocblas_operation_17rocblas_diagonal_iiT3_T4_lilT5_lili.private_seg_size, 0
	.set _ZL38rocblas_trsm_small_left_device_sharedBILi12ELi12ELb1EffPKfPfEv13rocblas_fill_18rocblas_operation_17rocblas_diagonal_iiT3_T4_lilT5_lili.uses_vcc, 1
	.set _ZL38rocblas_trsm_small_left_device_sharedBILi12ELi12ELb1EffPKfPfEv13rocblas_fill_18rocblas_operation_17rocblas_diagonal_iiT3_T4_lilT5_lili.uses_flat_scratch, 0
	.set _ZL38rocblas_trsm_small_left_device_sharedBILi12ELi12ELb1EffPKfPfEv13rocblas_fill_18rocblas_operation_17rocblas_diagonal_iiT3_T4_lilT5_lili.has_dyn_sized_stack, 0
	.set _ZL38rocblas_trsm_small_left_device_sharedBILi12ELi12ELb1EffPKfPfEv13rocblas_fill_18rocblas_operation_17rocblas_diagonal_iiT3_T4_lilT5_lili.has_recursion, 0
	.set _ZL38rocblas_trsm_small_left_device_sharedBILi12ELi12ELb1EffPKfPfEv13rocblas_fill_18rocblas_operation_17rocblas_diagonal_iiT3_T4_lilT5_lili.has_indirect_call, 0
	.section	.AMDGPU.csdata,"",@progbits
; Kernel info:
; codeLenInByte = 5488
; TotalNumSgprs: 28
; NumVgprs: 26
; ScratchSize: 0
; MemoryBound: 0
; FloatMode: 240
; IeeeMode: 1
; LDSByteSize: 1152 bytes/workgroup (compile time only)
; SGPRBlocks: 3
; VGPRBlocks: 6
; NumSGPRsForWavesPerEU: 28
; NumVGPRsForWavesPerEU: 26
; Occupancy: 9
; WaveLimiterHint : 0
; COMPUTE_PGM_RSRC2:SCRATCH_EN: 0
; COMPUTE_PGM_RSRC2:USER_SGPR: 6
; COMPUTE_PGM_RSRC2:TRAP_HANDLER: 0
; COMPUTE_PGM_RSRC2:TGID_X_EN: 1
; COMPUTE_PGM_RSRC2:TGID_Y_EN: 0
; COMPUTE_PGM_RSRC2:TGID_Z_EN: 1
; COMPUTE_PGM_RSRC2:TIDIG_COMP_CNT: 0
	.section	.text._ZL30rocblas_trsm_small_left_deviceILi12ELi12ELb1EffPKfPfEv13rocblas_fill_18rocblas_operation_17rocblas_diagonal_iiT3_T4_lilT5_lili,"axG",@progbits,_ZL30rocblas_trsm_small_left_deviceILi12ELi12ELb1EffPKfPfEv13rocblas_fill_18rocblas_operation_17rocblas_diagonal_iiT3_T4_lilT5_lili,comdat
	.globl	_ZL30rocblas_trsm_small_left_deviceILi12ELi12ELb1EffPKfPfEv13rocblas_fill_18rocblas_operation_17rocblas_diagonal_iiT3_T4_lilT5_lili ; -- Begin function _ZL30rocblas_trsm_small_left_deviceILi12ELi12ELb1EffPKfPfEv13rocblas_fill_18rocblas_operation_17rocblas_diagonal_iiT3_T4_lilT5_lili
	.p2align	8
	.type	_ZL30rocblas_trsm_small_left_deviceILi12ELi12ELb1EffPKfPfEv13rocblas_fill_18rocblas_operation_17rocblas_diagonal_iiT3_T4_lilT5_lili,@function
_ZL30rocblas_trsm_small_left_deviceILi12ELi12ELb1EffPKfPfEv13rocblas_fill_18rocblas_operation_17rocblas_diagonal_iiT3_T4_lilT5_lili: ; @_ZL30rocblas_trsm_small_left_deviceILi12ELi12ELb1EffPKfPfEv13rocblas_fill_18rocblas_operation_17rocblas_diagonal_iiT3_T4_lilT5_lili
; %bb.0:
	s_load_dwordx4 s[0:3], s[4:5], 0x4
	s_load_dword s16, s[4:5], 0x14
	s_load_dwordx4 s[8:11], s[4:5], 0x30
	s_load_dwordx2 s[12:13], s[4:5], 0x40
	s_waitcnt lgkmcnt(0)
	s_min_i32 s17, s2, 12
	v_cmp_gt_i32_e32 vcc, s17, v0
	s_and_saveexec_b64 s[14:15], vcc
	s_cbranch_execz .LBB14_6
; %bb.1:
	s_load_dword s18, s[4:5], 0x28
	s_load_dwordx4 s[20:23], s[4:5], 0x18
	s_mul_i32 s9, s9, s7
	s_mul_hi_u32 s19, s8, s7
	s_add_i32 s9, s19, s9
	s_mul_i32 s8, s8, s7
	s_waitcnt lgkmcnt(0)
	s_ashr_i32 s19, s18, 31
	s_lshl_b64 s[8:9], s[8:9], 2
	s_add_u32 s20, s20, s8
	s_addc_u32 s21, s21, s9
	s_lshl_b64 s[8:9], s[22:23], 2
	s_add_u32 s8, s20, s8
	s_addc_u32 s9, s21, s9
	v_lshlrev_b32_e32 v3, 2, v0
	v_mov_b32_e32 v2, s9
	v_add_co_u32_e32 v1, vcc, s8, v3
	s_lshl_b64 s[8:9], s[18:19], 2
	v_addc_co_u32_e32 v2, vcc, 0, v2, vcc
	v_mov_b32_e32 v4, s9
	v_mov_b32_e32 v5, v3
	s_mov_b32 s9, s17
.LBB14_2:                               ; =>This Inner Loop Header: Depth=1
	global_load_dword v6, v[1:2], off
	v_add_co_u32_e32 v1, vcc, s8, v1
	s_add_i32 s9, s9, -1
	v_addc_co_u32_e32 v2, vcc, v2, v4, vcc
	s_cmp_eq_u32 s9, 0
	s_waitcnt vmcnt(0)
	ds_write_b32 v5, v6
	v_add_u32_e32 v5, 48, v5
	s_cbranch_scc0 .LBB14_2
; %bb.3:
	v_mul_u32_u24_e32 v1, 48, v0
	s_cmpk_lg_i32 s1, 0x84
	v_mov_b32_e32 v2, 1.0
	v_add_u32_e32 v1, v3, v1
	s_cbranch_scc0 .LBB14_5
; %bb.4:
	ds_read_b32 v2, v1
	s_waitcnt lgkmcnt(0)
	v_div_scale_f32 v3, s[8:9], v2, v2, 1.0
	v_div_scale_f32 v4, vcc, 1.0, v2, 1.0
	v_rcp_f32_e32 v5, v3
	v_fma_f32 v6, -v3, v5, 1.0
	v_fmac_f32_e32 v5, v6, v5
	v_mul_f32_e32 v6, v4, v5
	v_fma_f32 v7, -v3, v6, v4
	v_fmac_f32_e32 v6, v7, v5
	v_fma_f32 v3, -v3, v6, v4
	v_div_fmas_f32 v3, v3, v5, v6
	v_div_fixup_f32 v2, v3, v2, 1.0
.LBB14_5:
	ds_write_b32 v1, v2
.LBB14_6:
	s_or_b64 exec, exec, s[14:15]
	s_load_dword s1, s[4:5], 0x60
	s_mul_i32 s8, s6, -12
	s_add_i32 s3, s3, s8
	s_waitcnt lgkmcnt(0)
	; wave barrier
	s_add_i32 s1, s1, -1
	s_cmp_ge_u32 s6, s1
	s_cselect_b32 s1, s3, 12
	v_cmp_gt_i32_e32 vcc, s1, v0
	s_and_saveexec_b64 s[8:9], vcc
	s_cbranch_execz .LBB14_48
; %bb.7:
	s_load_dwordx2 s[8:9], s[4:5], 0x50
	s_load_dword s1, s[4:5], 0x48
	s_waitcnt lgkmcnt(0)
	s_mul_i32 s3, s9, s7
	s_mul_hi_u32 s5, s8, s7
	s_mul_i32 s4, s8, s7
	v_mad_u64_u32 v[0:1], s[6:7], s6, 12, v[0:1]
	s_add_i32 s5, s5, s3
	s_lshl_b64 s[4:5], s[4:5], 2
	s_add_u32 s3, s10, s4
	s_addc_u32 s6, s11, s5
	v_mad_i64_i32 v[0:1], s[4:5], s1, v0, 0
	s_lshl_b64 s[4:5], s[12:13], 2
	s_add_u32 s1, s3, s4
	v_lshlrev_b64 v[0:1], 2, v[0:1]
	s_addc_u32 s3, s6, s5
	v_mov_b32_e32 v2, s3
	v_add_co_u32_e32 v0, vcc, s1, v0
	v_addc_co_u32_e32 v1, vcc, v2, v1, vcc
	s_cmpk_eq_i32 s0, 0x6f
	s_mov_b64 s[0:1], -1
	s_cbranch_scc1 .LBB14_34
; %bb.8:
	s_add_i32 s3, s17, -1
	s_cmp_gt_i32 s2, 11
	s_mov_b32 s0, -1
	s_cbranch_scc0 .LBB14_10
; %bb.9:
	global_load_dwordx4 v[2:5], v[0:1], off offset:32
	global_load_dwordx4 v[6:9], v[0:1], off offset:16
	v_mov_b32_e32 v26, 0
	ds_read_b32 v14, v26 offset:572
	ds_read_b64 v[21:22], v26 offset:520
	ds_read2_b32 v[17:18], v26 offset0:95 offset1:119
	ds_read_b128 v[10:13], v26 offset:416
	ds_read_b64 v[23:24], v26 offset:328
	s_waitcnt vmcnt(1)
	v_mul_f32_e32 v5, s16, v5
	s_waitcnt lgkmcnt(4)
	v_mul_f32_e32 v5, v5, v14
	s_waitcnt lgkmcnt(2)
	v_mul_f32_e32 v15, v5, v18
	v_mul_f32_e32 v14, v5, v22
	s_waitcnt lgkmcnt(1)
	v_mul_f32_e32 v13, v5, v13
	v_fma_f32 v22, s16, v3, -v15
	s_waitcnt lgkmcnt(0)
	v_mul_f32_e32 v3, v5, v24
	ds_read2_b32 v[24:25], v26 offset0:47 offset1:71
	v_fma_f32 v4, s16, v4, -v14
	v_fma_f32 v27, s16, v2, -v13
	ds_read2_b64 v[13:16], v26 offset0:39 offset1:40
	v_mul_f32_e32 v2, v5, v17
	ds_read_b128 v[17:20], v26 offset:224
	s_waitcnt vmcnt(0)
	v_fma_f32 v28, s16, v9, -v2
	s_waitcnt lgkmcnt(2)
	v_mul_f32_e32 v2, v5, v25
	v_fma_f32 v25, s16, v7, -v2
	v_fma_f32 v29, s16, v8, -v3
	s_waitcnt lgkmcnt(0)
	v_mul_f32_e32 v2, v5, v20
	v_fma_f32 v20, s16, v6, -v2
	global_load_dwordx4 v[6:9], v[0:1], off
	ds_read2_b32 v[2:3], v26 offset0:117 offset1:118
	v_mul_f32_e32 v4, v4, v21
	s_waitcnt lgkmcnt(0)
	v_fma_f32 v3, -v4, v3, v22
	v_mul_f32_e32 v3, v3, v2
	v_fma_f32 v2, -v4, v12, v27
	v_fma_f32 v2, -v3, v11, v2
	v_mul_f32_e32 v2, v2, v10
	v_fma_f32 v10, -v4, v19, v20
	v_fma_f32 v10, -v3, v18, v10
	;; [unrolled: 1-line block ×3, first 2 shown]
	ds_read2_b32 v[10:11], v26 offset0:93 offset1:94
	ds_read2_b32 v[17:18], v26 offset0:91 offset1:92
	ds_read_b64 v[21:22], v26 offset:136
	v_fma_f32 v12, -v4, v23, v29
	ds_read2_b32 v[19:20], v26 offset0:69 offset1:70
	s_waitcnt lgkmcnt(3)
	v_fma_f32 v11, -v4, v11, v28
	v_fma_f32 v10, -v3, v10, v11
	;; [unrolled: 1-line block ×3, first 2 shown]
	s_waitcnt lgkmcnt(2)
	v_fma_f32 v10, -v2, v18, v10
	v_fma_f32 v12, -v2, v15, v11
	v_mul_f32_e32 v11, v10, v17
	v_fma_f32 v10, -v11, v14, v12
	v_mul_f32_e32 v10, v10, v13
	ds_read2_b64 v[12:15], v26 offset0:15 offset1:16
	s_waitcnt lgkmcnt(2)
	v_mul_f32_e32 v16, v5, v22
	s_waitcnt vmcnt(0)
	v_fma_f32 v8, s16, v8, -v16
	v_fma_f32 v22, -v4, v21, v8
	ds_read2_b32 v[16:17], v26 offset0:67 offset1:68
	s_waitcnt lgkmcnt(2)
	v_fma_f32 v8, -v4, v20, v25
	v_fma_f32 v23, -v3, v19, v8
	ds_read2_b32 v[18:19], v26 offset0:45 offset1:46
	ds_read2_b32 v[20:21], v26 offset0:43 offset1:44
	v_mul_f32_e32 v8, v5, v24
	v_fma_f32 v8, s16, v9, -v8
	s_waitcnt lgkmcnt(3)
	v_fma_f32 v15, -v3, v15, v22
	s_waitcnt lgkmcnt(1)
	v_fma_f32 v8, -v4, v19, v8
	v_fma_f32 v14, -v2, v14, v15
	;; [unrolled: 1-line block ×3, first 2 shown]
	ds_read2_b32 v[8:9], v26 offset0:65 offset1:66
	v_fma_f32 v13, -v11, v13, v14
	v_fma_f32 v22, -v10, v12, v13
	ds_read_b128 v[12:15], v26 offset:208
	v_fma_f32 v17, -v2, v17, v23
	v_fma_f32 v16, -v11, v16, v17
	s_waitcnt lgkmcnt(1)
	v_fma_f32 v9, -v10, v9, v16
	v_mul_f32_e32 v9, v9, v8
	s_waitcnt lgkmcnt(0)
	v_fma_f32 v8, -v11, v15, v27
	ds_read2_b32 v[16:17], v26 offset0:41 offset1:42
	ds_read2_b32 v[18:19], v26 offset0:39 offset1:40
	v_fma_f32 v8, -v10, v14, v8
	v_fma_f32 v8, -v9, v13, v8
	v_mul_f32_e32 v8, v8, v12
	ds_read2_b64 v[12:15], v26 offset0:13 offset1:14
	ds_read_b32 v23, v26 offset:92
	v_fma_f32 v21, -v2, v21, v24
	v_fma_f32 v20, -v11, v20, v21
	s_waitcnt lgkmcnt(3)
	v_fma_f32 v17, -v10, v17, v20
	v_fma_f32 v16, -v9, v16, v17
	s_waitcnt lgkmcnt(1)
	v_fma_f32 v15, -v9, v15, v22
	v_fma_f32 v16, -v8, v19, v16
	;; [unrolled: 1-line block ×3, first 2 shown]
	v_mul_f32_e32 v14, v16, v18
	v_fma_f32 v13, -v14, v13, v15
	ds_read2_b32 v[15:16], v26 offset0:21 offset1:22
	ds_read2_b32 v[17:18], v26 offset0:19 offset1:20
	;; [unrolled: 1-line block ×3, first 2 shown]
	v_mul_f32_e32 v13, v13, v12
	s_waitcnt lgkmcnt(3)
	v_mul_f32_e32 v12, v5, v23
	v_fma_f32 v7, s16, v7, -v12
	s_waitcnt lgkmcnt(2)
	v_fma_f32 v7, -v4, v16, v7
	v_fma_f32 v7, -v3, v15, v7
	ds_read2_b32 v[21:22], v26 offset0:15 offset1:16
	s_waitcnt lgkmcnt(2)
	v_fma_f32 v7, -v2, v18, v7
	v_fma_f32 v7, -v11, v17, v7
	ds_read2_b32 v[23:24], v26 offset0:13 offset1:14
	ds_read_b128 v[15:18], v26 offset:32
	s_waitcnt lgkmcnt(3)
	v_fma_f32 v7, -v10, v20, v7
	v_fma_f32 v7, -v9, v19, v7
	s_waitcnt lgkmcnt(2)
	v_fma_f32 v7, -v8, v22, v7
	v_fma_f32 v7, -v14, v21, v7
	global_store_dwordx4 v[0:1], v[2:5], off offset:32
	s_waitcnt lgkmcnt(1)
	v_fma_f32 v7, -v13, v24, v7
	v_mul_f32_e32 v12, v7, v23
	s_waitcnt lgkmcnt(0)
	v_mul_f32_e32 v5, v5, v18
	ds_read_b128 v[18:21], v26
	ds_read_b128 v[22:25], v26 offset:16
	v_fma_f32 v5, s16, v6, -v5
	v_fma_f32 v4, -v4, v17, v5
	v_fma_f32 v3, -v3, v16, v4
	;; [unrolled: 1-line block ×3, first 2 shown]
	s_waitcnt lgkmcnt(0)
	v_fma_f32 v2, -v11, v25, v2
	v_fma_f32 v2, -v10, v24, v2
	;; [unrolled: 1-line block ×7, first 2 shown]
	global_store_dwordx4 v[0:1], v[8:11], off offset:16
	s_nop 0
	v_mul_f32_e32 v11, v2, v18
	global_store_dwordx4 v[0:1], v[11:14], off
	s_cmp_gt_i32 s0, -1
	s_cbranch_scc1 .LBB14_11
	s_branch .LBB14_33
.LBB14_10:
	s_mov_b32 s0, s3
	s_cmp_gt_i32 s0, -1
	s_cbranch_scc0 .LBB14_33
.LBB14_11:
	s_cmp_lt_u32 s0, 7
	s_cbranch_scc1 .LBB14_16
; %bb.12:
	s_mov_b32 s5, 0
	s_mov_b32 s1, s5
	s_lshl_b64 s[6:7], s[0:1], 2
	v_mov_b32_e32 v3, s7
	v_add_co_u32_e32 v2, vcc, s6, v0
	v_addc_co_u32_e32 v3, vcc, v1, v3, vcc
	global_load_dwordx4 v[4:7], v[2:3], off offset:-12
	global_load_dwordx4 v[12:15], v[2:3], off offset:-28
	s_cmp_le_i32 s3, s0
	s_waitcnt vmcnt(1)
	v_mul_f32_e32 v11, s16, v7
	v_mul_f32_e32 v10, s16, v6
	v_mul_f32_e32 v9, s16, v5
	v_mul_f32_e32 v8, s16, v4
	s_waitcnt vmcnt(0)
	v_mul_f32_e32 v7, s16, v15
	v_mul_f32_e32 v6, s16, v14
	;; [unrolled: 1-line block ×4, first 2 shown]
	s_cbranch_scc1 .LBB14_15
; %bb.13:
	s_mul_i32 s1, s0, 48
	s_lshl_b32 s4, s17, 2
	s_add_i32 s1, s1, s4
	s_addk_i32 s1, 0xfeac
	s_mov_b32 s4, s3
.LBB14_14:                              ; =>This Inner Loop Header: Depth=1
	s_lshl_b64 s[6:7], s[4:5], 2
	v_mov_b32_e32 v13, s7
	v_add_co_u32_e32 v12, vcc, s6, v0
	v_addc_co_u32_e32 v13, vcc, v1, v13, vcc
	global_load_dword v20, v[12:13], off
	v_mov_b32_e32 v18, s1
	ds_read2_b32 v[12:13], v18 offset0:72 offset1:84
	ds_read2_b32 v[14:15], v18 offset0:48 offset1:60
	;; [unrolled: 1-line block ×3, first 2 shown]
	ds_read2_b32 v[18:19], v18 offset1:12
	s_add_i32 s4, s4, -1
	s_add_i32 s1, s1, -4
	s_cmp_gt_i32 s4, s0
	s_waitcnt vmcnt(0) lgkmcnt(3)
	v_fma_f32 v11, -v20, v13, v11
	v_fma_f32 v10, -v20, v12, v10
	s_waitcnt lgkmcnt(2)
	v_fma_f32 v9, -v20, v15, v9
	v_fma_f32 v8, -v20, v14, v8
	s_waitcnt lgkmcnt(1)
	;; [unrolled: 3-line block ×3, first 2 shown]
	v_fma_f32 v5, -v20, v19, v5
	v_fma_f32 v4, -v20, v18, v4
	s_cbranch_scc1 .LBB14_14
.LBB14_15:
	s_mul_i32 s1, s0, 52
	s_add_i32 s4, s0, -1
	v_mov_b32_e32 v12, s1
	s_mul_i32 s1, s4, 48
	s_lshl_b32 s5, s4, 2
	s_add_i32 s5, s1, s5
	ds_read_b32 v16, v12
	v_mov_b32_e32 v12, s5
	s_mov_b32 s5, 0
	s_sub_i32 s8, s1, 48
	s_lshl_b32 s9, s0, 2
	s_lshl_b64 s[6:7], s[4:5], 2
	s_add_i32 s4, s0, -2
	s_add_i32 s10, s8, s9
	v_mov_b32_e32 v14, s10
	s_lshl_b32 s10, s4, 2
	s_add_i32 s8, s8, s10
	v_mov_b32_e32 v15, s8
	ds_read2_b32 v[12:13], v12 offset1:1
	ds_read_b32 v17, v14
	ds_read2_b32 v[14:15], v15 offset1:1
	s_waitcnt lgkmcnt(3)
	v_mul_f32_e32 v16, v11, v16
	global_store_dword v[2:3], v16, off
	s_waitcnt lgkmcnt(2)
	v_fma_f32 v2, -v16, v13, v10
	v_mul_f32_e32 v13, v2, v12
	v_mov_b32_e32 v3, s7
	v_add_co_u32_e32 v2, vcc, s6, v0
	v_addc_co_u32_e32 v3, vcc, v1, v3, vcc
	global_store_dword v[2:3], v13, off
	s_waitcnt lgkmcnt(1)
	v_fma_f32 v2, -v16, v17, v9
	s_waitcnt lgkmcnt(0)
	v_fma_f32 v2, -v13, v15, v2
	s_lshl_b64 s[6:7], s[4:5], 2
	v_mul_f32_e32 v14, v2, v14
	v_add_co_u32_e32 v2, vcc, s6, v0
	s_add_i32 s6, s1, 0xffffffa0
	v_mov_b32_e32 v3, s7
	s_add_i32 s7, s6, s9
	v_addc_co_u32_e32 v3, vcc, v1, v3, vcc
	s_add_i32 s4, s0, -3
	s_add_i32 s7, s7, -4
	global_store_dword v[2:3], v14, off
	v_mov_b32_e32 v2, s7
	s_lshl_b32 s7, s4, 2
	ds_read2_b32 v[2:3], v2 offset1:1
	s_add_i32 s6, s6, s7
	s_add_i32 s8, s1, 0xffffff70
	v_mov_b32_e32 v9, s6
	s_add_i32 s6, s8, s9
	v_mov_b32_e32 v11, s6
	s_add_i32 s6, s6, -8
	v_mov_b32_e32 v12, s6
	ds_read2_b32 v[9:10], v9 offset1:1
	ds_read_b32 v15, v11
	ds_read2_b32 v[11:12], v12 offset1:1
	s_waitcnt lgkmcnt(3)
	v_fma_f32 v3, -v16, v3, v8
	v_fma_f32 v2, -v13, v2, v3
	s_waitcnt lgkmcnt(2)
	v_fma_f32 v2, -v14, v10, v2
	s_lshl_b64 s[6:7], s[4:5], 2
	v_mul_f32_e32 v17, v2, v9
	v_mov_b32_e32 v3, s7
	v_add_co_u32_e32 v2, vcc, s6, v0
	v_addc_co_u32_e32 v3, vcc, v1, v3, vcc
	s_add_i32 s4, s0, -4
	global_store_dword v[2:3], v17, off
	s_waitcnt lgkmcnt(1)
	v_fma_f32 v2, -v16, v15, v7
	s_lshl_b32 s6, s4, 2
	s_waitcnt lgkmcnt(0)
	v_fma_f32 v2, -v13, v12, v2
	s_add_i32 s6, s8, s6
	v_fma_f32 v15, -v14, v11, v2
	v_mov_b32_e32 v2, s6
	s_add_i32 s8, s1, 0xffffff40
	ds_read2_b32 v[2:3], v2 offset1:1
	s_add_i32 s10, s8, s9
	s_lshl_b64 s[6:7], s[4:5], 2
	s_add_i32 s4, s0, -5
	s_add_i32 s11, s10, -4
	;; [unrolled: 1-line block ×3, first 2 shown]
	v_mov_b32_e32 v9, s10
	s_lshl_b32 s10, s4, 2
	s_add_i32 s8, s8, s10
	v_mov_b32_e32 v7, s11
	v_mov_b32_e32 v11, s8
	ds_read2_b32 v[7:8], v7 offset1:1
	ds_read2_b32 v[9:10], v9 offset1:1
	;; [unrolled: 1-line block ×3, first 2 shown]
	s_waitcnt lgkmcnt(3)
	v_fma_f32 v3, -v17, v3, v15
	v_mul_f32_e32 v15, v3, v2
	v_mov_b32_e32 v3, s7
	v_add_co_u32_e32 v2, vcc, s6, v0
	v_addc_co_u32_e32 v3, vcc, v1, v3, vcc
	global_store_dword v[2:3], v15, off
	s_waitcnt lgkmcnt(2)
	v_fma_f32 v2, -v16, v8, v6
	v_fma_f32 v2, -v13, v7, v2
	s_waitcnt lgkmcnt(1)
	v_fma_f32 v2, -v14, v10, v2
	v_fma_f32 v2, -v17, v9, v2
	s_waitcnt lgkmcnt(0)
	v_fma_f32 v2, -v15, v12, v2
	s_lshl_b64 s[6:7], s[4:5], 2
	v_mul_f32_e32 v11, v2, v11
	v_add_co_u32_e32 v2, vcc, s6, v0
	s_add_i32 s6, s1, 0xffffff10
	v_mov_b32_e32 v3, s7
	s_add_i32 s7, s6, s9
	v_addc_co_u32_e32 v3, vcc, v1, v3, vcc
	s_add_i32 s8, s7, -8
	global_store_dword v[2:3], v11, off
	s_add_i32 s4, s0, -6
	v_mov_b32_e32 v2, s7
	v_mov_b32_e32 v3, s8
	s_add_i32 s7, s7, -16
	ds_read_b32 v10, v2
	ds_read2_b32 v[2:3], v3 offset1:1
	v_mov_b32_e32 v6, s7
	s_lshl_b32 s7, s4, 2
	s_add_i32 s6, s6, s7
	v_mov_b32_e32 v8, s6
	ds_read2_b32 v[6:7], v6 offset1:1
	ds_read2_b32 v[8:9], v8 offset1:1
	s_waitcnt lgkmcnt(3)
	v_fma_f32 v5, -v16, v10, v5
	s_waitcnt lgkmcnt(2)
	v_fma_f32 v3, -v13, v3, v5
	v_fma_f32 v2, -v14, v2, v3
	s_waitcnt lgkmcnt(1)
	v_fma_f32 v2, -v17, v7, v2
	;; [unrolled: 3-line block ×3, first 2 shown]
	s_lshl_b64 s[6:7], s[4:5], 2
	s_addk_i32 s1, 0xfee0
	v_mul_f32_e32 v12, v2, v8
	v_mov_b32_e32 v3, s7
	v_add_co_u32_e32 v2, vcc, s6, v0
	s_add_i32 s6, s1, s9
	v_addc_co_u32_e32 v3, vcc, v1, v3, vcc
	s_add_i32 s7, s6, -4
	global_store_dword v[2:3], v12, off
	v_mov_b32_e32 v2, s7
	s_add_i32 s4, s0, -7
	ds_read2_b32 v[2:3], v2 offset1:1
	s_add_i32 s7, s6, -12
	s_sub_i32 s6, s6, 20
	v_mov_b32_e32 v7, s6
	s_lshl_b32 s6, s4, 2
	s_add_i32 s1, s1, s6
	v_mov_b32_e32 v5, s7
	v_mov_b32_e32 v9, s1
	ds_read2_b32 v[5:6], v5 offset1:1
	ds_read2_b32 v[7:8], v7 offset1:1
	;; [unrolled: 1-line block ×3, first 2 shown]
	s_waitcnt lgkmcnt(3)
	v_fma_f32 v3, -v16, v3, v4
	v_fma_f32 v2, -v13, v2, v3
	s_waitcnt lgkmcnt(2)
	v_fma_f32 v2, -v14, v6, v2
	v_fma_f32 v2, -v17, v5, v2
	;; [unrolled: 3-line block ×3, first 2 shown]
	s_waitcnt lgkmcnt(0)
	v_fma_f32 v2, -v12, v10, v2
	s_lshl_b64 s[4:5], s[4:5], 2
	v_mul_f32_e32 v4, v2, v9
	v_mov_b32_e32 v3, s5
	v_add_co_u32_e32 v2, vcc, s4, v0
	v_addc_co_u32_e32 v3, vcc, v1, v3, vcc
	s_add_i32 s0, s0, -8
	global_store_dword v[2:3], v4, off
.LBB14_16:
	s_cmp_lt_i32 s0, 0
	s_cbranch_scc1 .LBB14_33
; %bb.17:
	s_and_b32 s1, s0, 3
	s_cmp_eq_u32 s1, 3
	s_mov_b32 s4, s0
	s_cbranch_scc1 .LBB14_22
; %bb.18:
	s_mul_i32 s4, s0, 48
	s_lshl_b32 s5, s17, 2
	s_add_i32 s1, s0, 1
	s_add_i32 s4, s4, s5
	s_and_b32 s1, s1, 3
	s_add_i32 s8, s4, -4
	s_mov_b32 s7, 0
	s_mov_b32 s4, s0
	;; [unrolled: 1-line block ×3, first 2 shown]
	s_branch .LBB14_20
.LBB14_19:                              ;   in Loop: Header=BB14_20 Depth=1
	s_mul_i32 s5, s4, 52
	v_mov_b32_e32 v5, s5
	ds_read_b32 v5, v5
	s_add_i32 s4, s4, -1
	s_add_i32 s9, s9, 1
	s_sub_i32 s8, s8, 48
	s_cmp_lg_u32 s9, s1
	s_waitcnt lgkmcnt(0)
	v_mul_f32_e32 v4, v4, v5
	global_store_dword v[2:3], v4, off
	s_cbranch_scc0 .LBB14_22
.LBB14_20:                              ; =>This Loop Header: Depth=1
                                        ;     Child Loop BB14_21 Depth 2
	s_mov_b32 s5, s7
	s_lshl_b64 s[10:11], s[4:5], 2
	v_mov_b32_e32 v3, s11
	v_add_co_u32_e32 v2, vcc, s10, v0
	v_addc_co_u32_e32 v3, vcc, v1, v3, vcc
	global_load_dword v4, v[2:3], off
	s_mov_b32 s5, s8
	s_cmp_le_i32 s3, s4
	s_mov_b32 s6, s3
	s_waitcnt vmcnt(0)
	v_mul_f32_e32 v4, s16, v4
	s_cbranch_scc1 .LBB14_19
.LBB14_21:                              ;   Parent Loop BB14_20 Depth=1
                                        ; =>  This Inner Loop Header: Depth=2
	s_lshl_b64 s[10:11], s[6:7], 2
	v_mov_b32_e32 v6, s11
	v_add_co_u32_e32 v5, vcc, s10, v0
	v_addc_co_u32_e32 v6, vcc, v1, v6, vcc
	global_load_dword v5, v[5:6], off
	v_mov_b32_e32 v6, s5
	ds_read_b32 v6, v6
	s_add_i32 s6, s6, -1
	s_add_i32 s5, s5, -4
	s_cmp_gt_i32 s6, s4
	s_waitcnt vmcnt(0) lgkmcnt(0)
	v_fma_f32 v4, -v5, v6, v4
	s_cbranch_scc1 .LBB14_21
	s_branch .LBB14_19
.LBB14_22:
	s_cmp_lt_u32 s0, 3
	s_cbranch_scc1 .LBB14_33
; %bb.23:
	s_mul_i32 s0, s4, 48
	s_lshl_b32 s1, s17, 2
	s_add_i32 s0, s0, s1
	s_add_i32 s8, s0, -4
	s_sub_i32 s9, s0, 52
	s_add_i32 s10, s0, 0xffffff9c
	s_add_i32 s11, s0, 0xffffff6c
	s_mov_b32 s1, 0
	s_branch .LBB14_25
.LBB14_24:                              ;   in Loop: Header=BB14_25 Depth=1
	s_sub_i32 s0, s5, 52
	v_mov_b32_e32 v5, s0
	ds_read_b32 v5, v5
	s_add_i32 s0, s4, -4
	s_addk_i32 s8, 0xff40
	s_addk_i32 s9, 0xff40
	;; [unrolled: 1-line block ×4, first 2 shown]
	s_waitcnt lgkmcnt(0)
	v_mul_f32_e32 v4, v4, v5
	s_cmp_lt_i32 s4, 4
	s_mov_b32 s4, s0
	global_store_dword v[2:3], v4, off
	s_cbranch_scc1 .LBB14_33
.LBB14_25:                              ; =>This Loop Header: Depth=1
                                        ;     Child Loop BB14_26 Depth 2
                                        ;     Child Loop BB14_28 Depth 2
	;; [unrolled: 1-line block ×4, first 2 shown]
	s_mov_b32 s5, s1
	s_lshl_b64 s[6:7], s[4:5], 2
	v_mov_b32_e32 v2, s7
	v_add_co_u32_e32 v4, vcc, s6, v0
	v_addc_co_u32_e32 v5, vcc, v1, v2, vcc
	global_load_dword v2, v[4:5], off
	s_mov_b32 s5, s8
	s_cmp_le_i32 s3, s4
	s_mov_b32 s0, s3
	s_waitcnt vmcnt(0)
	v_mul_f32_e32 v6, s16, v2
	s_cbranch_scc1 .LBB14_27
.LBB14_26:                              ;   Parent Loop BB14_25 Depth=1
                                        ; =>  This Inner Loop Header: Depth=2
	s_lshl_b64 s[6:7], s[0:1], 2
	v_mov_b32_e32 v3, s7
	v_add_co_u32_e32 v2, vcc, s6, v0
	v_addc_co_u32_e32 v3, vcc, v1, v3, vcc
	global_load_dword v2, v[2:3], off
	v_mov_b32_e32 v3, s5
	ds_read_b32 v3, v3
	s_add_i32 s0, s0, -1
	s_add_i32 s5, s5, -4
	s_cmp_gt_i32 s0, s4
	s_waitcnt vmcnt(0) lgkmcnt(0)
	v_fma_f32 v6, -v2, v3, v6
	s_cbranch_scc1 .LBB14_26
.LBB14_27:                              ;   in Loop: Header=BB14_25 Depth=1
	s_add_i32 s0, s4, -1
	s_lshl_b64 s[6:7], s[0:1], 2
	v_mov_b32_e32 v3, s7
	v_add_co_u32_e32 v2, vcc, s6, v0
	v_addc_co_u32_e32 v3, vcc, v1, v3, vcc
	global_load_dword v7, v[2:3], off
	s_mul_i32 s5, s4, 52
	v_mov_b32_e32 v8, s5
	ds_read_b32 v8, v8
	s_mov_b32 s6, s9
	s_cmp_le_i32 s17, s4
	s_mov_b32 s0, s17
	s_waitcnt lgkmcnt(0)
	v_mul_f32_e32 v6, v6, v8
	global_store_dword v[4:5], v6, off
	s_waitcnt vmcnt(1)
	v_mul_f32_e32 v6, s16, v7
	s_cbranch_scc1 .LBB14_29
.LBB14_28:                              ;   Parent Loop BB14_25 Depth=1
                                        ; =>  This Inner Loop Header: Depth=2
	s_add_i32 s0, s0, -1
	s_lshl_b64 s[12:13], s[0:1], 2
	v_mov_b32_e32 v5, s13
	v_add_co_u32_e32 v4, vcc, s12, v0
	v_addc_co_u32_e32 v5, vcc, v1, v5, vcc
	global_load_dword v4, v[4:5], off
	v_mov_b32_e32 v5, s6
	ds_read_b32 v5, v5
	s_add_i32 s6, s6, -4
	s_cmp_gt_i32 s0, s4
	s_waitcnt vmcnt(0) lgkmcnt(0)
	v_fma_f32 v6, -v4, v5, v6
	s_cbranch_scc1 .LBB14_28
.LBB14_29:                              ;   in Loop: Header=BB14_25 Depth=1
	s_add_i32 s6, s4, -2
	s_mov_b32 s7, s1
	s_lshl_b64 s[12:13], s[6:7], 2
	v_mov_b32_e32 v5, s13
	v_add_co_u32_e32 v4, vcc, s12, v0
	v_addc_co_u32_e32 v5, vcc, v1, v5, vcc
	global_load_dword v7, v[4:5], off
	s_sub_i32 s5, s5, 52
	v_mov_b32_e32 v8, s5
	ds_read_b32 v8, v8
	s_mov_b32 s7, s10
	s_cmp_le_i32 s3, s6
	s_mov_b32 s0, s3
	s_waitcnt lgkmcnt(0)
	v_mul_f32_e32 v6, v6, v8
	global_store_dword v[2:3], v6, off
	s_waitcnt vmcnt(1)
	v_mul_f32_e32 v6, s16, v7
	s_cbranch_scc1 .LBB14_31
.LBB14_30:                              ;   Parent Loop BB14_25 Depth=1
                                        ; =>  This Inner Loop Header: Depth=2
	s_lshl_b64 s[12:13], s[0:1], 2
	v_mov_b32_e32 v3, s13
	v_add_co_u32_e32 v2, vcc, s12, v0
	v_addc_co_u32_e32 v3, vcc, v1, v3, vcc
	global_load_dword v2, v[2:3], off
	v_mov_b32_e32 v3, s7
	ds_read_b32 v3, v3
	s_add_i32 s0, s0, -1
	s_add_i32 s7, s7, -4
	s_cmp_gt_i32 s0, s6
	s_waitcnt vmcnt(0) lgkmcnt(0)
	v_fma_f32 v6, -v2, v3, v6
	s_cbranch_scc1 .LBB14_30
.LBB14_31:                              ;   in Loop: Header=BB14_25 Depth=1
	s_add_i32 s6, s4, -3
	s_mov_b32 s7, s1
	s_lshl_b64 s[12:13], s[6:7], 2
	v_mov_b32_e32 v3, s13
	v_add_co_u32_e32 v2, vcc, s12, v0
	v_addc_co_u32_e32 v3, vcc, v1, v3, vcc
	global_load_dword v7, v[2:3], off
	s_sub_i32 s5, s5, 52
	v_mov_b32_e32 v8, s5
	ds_read_b32 v8, v8
	s_mov_b32 s7, s11
	s_cmp_le_i32 s3, s6
	s_mov_b32 s0, s3
	s_waitcnt lgkmcnt(0)
	v_mul_f32_e32 v6, v6, v8
	global_store_dword v[4:5], v6, off
	s_waitcnt vmcnt(1)
	v_mul_f32_e32 v4, s16, v7
	s_cbranch_scc1 .LBB14_24
.LBB14_32:                              ;   Parent Loop BB14_25 Depth=1
                                        ; =>  This Inner Loop Header: Depth=2
	s_lshl_b64 s[12:13], s[0:1], 2
	v_mov_b32_e32 v6, s13
	v_add_co_u32_e32 v5, vcc, s12, v0
	v_addc_co_u32_e32 v6, vcc, v1, v6, vcc
	global_load_dword v5, v[5:6], off
	v_mov_b32_e32 v6, s7
	ds_read_b32 v6, v6
	s_add_i32 s0, s0, -1
	s_add_i32 s7, s7, -4
	s_cmp_gt_i32 s0, s6
	s_waitcnt vmcnt(0) lgkmcnt(0)
	v_fma_f32 v4, -v5, v6, v4
	s_cbranch_scc1 .LBB14_32
	s_branch .LBB14_24
.LBB14_33:
	s_mov_b64 s[0:1], 0
.LBB14_34:
	s_and_b64 vcc, exec, s[0:1]
	s_cbranch_vccz .LBB14_48
; %bb.35:
	s_cmp_gt_i32 s2, 11
	s_cselect_b64 s[0:1], -1, 0
	s_and_b64 vcc, exec, s[0:1]
	s_cbranch_vccz .LBB14_37
; %bb.36:
	global_load_dwordx4 v[3:6], v[0:1], off
	v_mov_b32_e32 v2, 0
	ds_read_b128 v[7:10], v2
	s_mov_b32 s2, 12
	s_waitcnt vmcnt(0)
	v_mul_f32_e32 v3, s16, v3
	s_waitcnt lgkmcnt(0)
	v_mul_f32_e32 v3, v3, v7
	v_mul_f32_e32 v7, v3, v8
	;; [unrolled: 1-line block ×4, first 2 shown]
	v_fma_f32 v10, s16, v4, -v7
	v_fma_f32 v8, s16, v5, -v8
	;; [unrolled: 1-line block ×3, first 2 shown]
	ds_read_b128 v[4:7], v2 offset:16
	s_waitcnt lgkmcnt(0)
	v_mul_f32_e32 v11, v3, v4
	v_mul_f32_e32 v12, v3, v5
	;; [unrolled: 1-line block ×4, first 2 shown]
	global_load_dwordx4 v[4:7], v[0:1], off offset:16
	s_waitcnt vmcnt(0)
	v_fma_f32 v11, s16, v4, -v11
	v_fma_f32 v12, s16, v5, -v12
	;; [unrolled: 1-line block ×4, first 2 shown]
	ds_read_b128 v[4:7], v2 offset:32
	s_waitcnt lgkmcnt(0)
	v_mul_f32_e32 v15, v3, v4
	v_mul_f32_e32 v16, v3, v5
	v_mul_f32_e32 v17, v3, v6
	v_mul_f32_e32 v18, v3, v7
	global_load_dwordx4 v[4:7], v[0:1], off offset:32
	s_waitcnt vmcnt(0)
	v_fma_f32 v15, s16, v4, -v15
	v_fma_f32 v19, s16, v5, -v16
	ds_read2_b32 v[4:5], v2 offset0:13 offset1:14
	v_fma_f32 v22, s16, v6, -v17
	v_fma_f32 v23, s16, v7, -v18
	s_waitcnt lgkmcnt(0)
	v_mul_f32_e32 v4, v10, v4
	v_fma_f32 v10, -v4, v5, v8
	ds_read2_b32 v[5:6], v2 offset0:15 offset1:16
	s_waitcnt lgkmcnt(0)
	v_fma_f32 v16, -v4, v5, v9
	v_fma_f32 v11, -v4, v6, v11
	ds_read2_b64 v[5:8], v2 offset0:13 offset1:14
	s_waitcnt lgkmcnt(0)
	v_mul_f32_e32 v5, v10, v5
	ds_read2_b32 v[9:10], v2 offset0:17 offset1:18
	v_fma_f32 v11, -v5, v7, v11
	s_waitcnt lgkmcnt(0)
	v_fma_f32 v9, -v4, v9, v12
	v_fma_f32 v12, -v5, v6, v16
	ds_read2_b32 v[6:7], v2 offset0:19 offset1:20
	ds_read2_b32 v[16:17], v2 offset0:21 offset1:22
	v_fma_f32 v18, -v5, v8, v9
	v_fma_f32 v10, -v4, v10, v13
	s_waitcnt lgkmcnt(1)
	v_fma_f32 v13, -v4, v6, v14
	v_fma_f32 v14, -v4, v7, v15
	ds_read2_b64 v[6:9], v2 offset0:15 offset1:16
	s_waitcnt lgkmcnt(1)
	v_fma_f32 v15, -v4, v16, v19
	s_waitcnt lgkmcnt(0)
	v_fma_f32 v10, -v5, v6, v10
	v_fma_f32 v13, -v5, v7, v13
	ds_read2_b32 v[6:7], v2 offset0:39 offset1:40
	v_fma_f32 v14, -v5, v8, v14
	v_fma_f32 v20, -v5, v9, v15
	s_waitcnt lgkmcnt(0)
	v_mul_f32_e32 v6, v12, v6
	v_fma_f32 v12, -v6, v7, v11
	ds_read2_b32 v[7:8], v2 offset0:41 offset1:42
	global_store_dwordx4 v[0:1], v[3:6], off
	s_waitcnt lgkmcnt(0)
	v_fma_f32 v16, -v6, v8, v10
	ds_read2_b32 v[10:11], v2 offset0:43 offset1:44
	v_fma_f32 v15, -v6, v7, v18
	s_waitcnt lgkmcnt(0)
	v_fma_f32 v13, -v6, v10, v13
	ds_read_b128 v[7:10], v2 offset:208
	s_waitcnt lgkmcnt(0)
	v_mul_f32_e32 v7, v12, v7
	v_fma_f32 v12, -v7, v8, v15
	v_fma_f32 v15, -v7, v9, v16
	ds_read2_b32 v[8:9], v2 offset0:65 offset1:66
	v_fma_f32 v16, -v7, v10, v13
	v_fma_f32 v13, -v6, v11, v14
	s_waitcnt lgkmcnt(0)
	v_mul_f32_e32 v8, v12, v8
	v_fma_f32 v18, -v8, v9, v15
	ds_read_b128 v[9:12], v2 offset:224
	s_waitcnt lgkmcnt(0)
	v_fma_f32 v9, -v7, v9, v13
	ds_read2_b32 v[13:14], v2 offset0:67 offset1:68
	s_waitcnt lgkmcnt(0)
	v_fma_f32 v24, -v8, v13, v16
	v_fma_f32 v25, -v8, v14, v9
	ds_read2_b64 v[13:16], v2 offset0:39 offset1:40
	s_waitcnt lgkmcnt(0)
	v_mul_f32_e32 v9, v18, v13
	ds_read2_b32 v[18:19], v2 offset0:45 offset1:46
	v_fma_f32 v15, -v9, v15, v25
	s_waitcnt lgkmcnt(0)
	v_fma_f32 v13, -v6, v18, v20
	ds_read2_b32 v[20:21], v2 offset0:69 offset1:70
	v_fma_f32 v10, -v7, v10, v13
	ds_read_b32 v13, v2 offset:92
	v_fma_f32 v18, -v9, v14, v24
	s_waitcnt lgkmcnt(1)
	v_fma_f32 v10, -v8, v20, v10
	v_fma_f32 v16, -v9, v16, v10
	;; [unrolled: 1-line block ×3, first 2 shown]
	s_waitcnt lgkmcnt(0)
	v_fma_f32 v17, -v4, v13, v23
	ds_read_b64 v[13:14], v2 offset:136
	ds_read2_b32 v[3:4], v2 offset0:47 offset1:71
	s_waitcnt lgkmcnt(1)
	v_fma_f32 v10, -v5, v13, v10
	v_fma_f32 v13, -v5, v14, v17
	;; [unrolled: 1-line block ×3, first 2 shown]
	s_waitcnt lgkmcnt(0)
	v_fma_f32 v3, -v6, v3, v13
	ds_read2_b32 v[5:6], v2 offset0:91 offset1:92
	v_fma_f32 v11, -v7, v11, v10
	v_fma_f32 v3, -v7, v12, v3
	v_fma_f32 v14, -v8, v21, v11
	ds_read_b64 v[11:12], v2 offset:328
	s_waitcnt lgkmcnt(1)
	v_mul_f32_e32 v10, v18, v5
	v_fma_f32 v13, -v10, v6, v15
	ds_read2_b32 v[5:6], v2 offset0:93 offset1:94
	v_fma_f32 v3, -v8, v4, v3
	s_waitcnt lgkmcnt(0)
	v_fma_f32 v15, -v10, v5, v16
	v_fma_f32 v5, -v9, v11, v14
	;; [unrolled: 1-line block ×4, first 2 shown]
	ds_read2_b32 v[11:12], v2 offset0:95 offset1:119
	ds_read_b128 v[3:6], v2 offset:416
	global_store_dwordx4 v[0:1], v[7:10], off offset:16
	ds_read2_b32 v[7:8], v2 offset0:117 offset1:118
	s_waitcnt lgkmcnt(2)
	v_fma_f32 v9, -v10, v11, v16
	s_waitcnt lgkmcnt(1)
	v_mul_f32_e32 v3, v13, v3
	v_fma_f32 v4, -v3, v4, v15
	s_waitcnt lgkmcnt(0)
	v_mul_f32_e32 v4, v4, v7
	v_fma_f32 v5, -v3, v5, v14
	v_fma_f32 v5, -v4, v8, v5
	ds_read_b64 v[7:8], v2 offset:520
	ds_read_b32 v2, v2 offset:572
	v_fma_f32 v6, -v3, v6, v9
	v_fma_f32 v6, -v4, v12, v6
	s_waitcnt lgkmcnt(1)
	v_mul_f32_e32 v5, v5, v7
	v_fma_f32 v6, -v5, v8, v6
	s_waitcnt lgkmcnt(0)
	v_mul_f32_e32 v6, v6, v2
	global_store_dwordx4 v[0:1], v[3:6], off offset:32
	s_cmp_lt_i32 s2, s17
	s_cbranch_scc1 .LBB14_38
	s_branch .LBB14_48
.LBB14_37:
	s_mov_b32 s2, 0
	s_cmp_lt_i32 s2, s17
	s_cbranch_scc0 .LBB14_48
.LBB14_38:
	s_add_i32 s3, s2, 7
	s_cmp_ge_u32 s3, s17
	s_cbranch_scc1 .LBB14_43
; %bb.39:
	s_lshl_b32 s3, s2, 2
	v_add_co_u32_e32 v2, vcc, s3, v0
	v_addc_co_u32_e32 v3, vcc, 0, v1, vcc
	global_load_dwordx4 v[4:7], v[2:3], off
	global_load_dwordx4 v[14:17], v[2:3], off offset:16
	s_andn2_b64 vcc, exec, s[0:1]
	s_waitcnt vmcnt(1)
	v_mul_f32_e32 v13, s16, v4
	v_mul_f32_e32 v12, s16, v5
	;; [unrolled: 1-line block ×4, first 2 shown]
	s_waitcnt vmcnt(0)
	v_mul_f32_e32 v9, s16, v14
	v_mul_f32_e32 v8, s16, v15
	;; [unrolled: 1-line block ×4, first 2 shown]
	s_cbranch_vccnz .LBB14_42
; %bb.40:
	v_mov_b32_e32 v5, v1
	v_mov_b32_e32 v4, v0
	s_mov_b32 s0, s2
.LBB14_41:                              ; =>This Inner Loop Header: Depth=1
	global_load_dword v22, v[4:5], off
	v_mov_b32_e32 v18, s3
	ds_read_b128 v[14:17], v18
	ds_read_b128 v[18:21], v18 offset:16
	s_add_i32 s0, s0, -1
	s_add_i32 s3, s3, 48
	v_add_co_u32_e32 v4, vcc, 4, v4
	v_addc_co_u32_e32 v5, vcc, 0, v5, vcc
	s_cmp_lg_u32 s0, 0
	s_waitcnt vmcnt(0) lgkmcnt(1)
	v_fma_f32 v13, -v22, v14, v13
	v_fma_f32 v12, -v22, v15, v12
	;; [unrolled: 1-line block ×4, first 2 shown]
	s_waitcnt lgkmcnt(0)
	v_fma_f32 v9, -v22, v18, v9
	v_fma_f32 v8, -v22, v19, v8
	;; [unrolled: 1-line block ×4, first 2 shown]
	s_cbranch_scc1 .LBB14_41
.LBB14_42:
	s_lshl_b32 s0, s2, 2
	s_mul_i32 s1, s2, 48
	s_add_i32 s0, s0, s1
	v_mov_b32_e32 v24, s0
	ds_read_b128 v[14:17], v24
	ds_read_b128 v[18:21], v24 offset:16
	ds_read2_b32 v[4:5], v24 offset0:13 offset1:14
	s_add_i32 s2, s2, 8
	s_waitcnt lgkmcnt(2)
	v_mul_f32_e32 v13, v13, v14
	v_fma_f32 v12, -v13, v15, v12
	v_fma_f32 v15, -v13, v16, v11
	;; [unrolled: 1-line block ×3, first 2 shown]
	ds_read2_b32 v[10:11], v24 offset0:15 offset1:16
	ds_read2_b32 v[16:17], v24 offset0:17 offset1:18
	ds_read_b32 v25, v24 offset:76
	s_waitcnt lgkmcnt(3)
	v_mul_f32_e32 v14, v12, v4
	v_fma_f32 v9, -v13, v18, v9
	v_fma_f32 v4, -v14, v5, v15
	s_waitcnt lgkmcnt(2)
	v_fma_f32 v5, -v14, v10, v22
	v_fma_f32 v18, -v14, v11, v9
	ds_read2_b64 v[9:12], v24 offset0:13 offset1:14
	ds_read_b64 v[22:23], v24 offset:120
	s_waitcnt lgkmcnt(1)
	v_mul_f32_e32 v15, v4, v9
	v_fma_f32 v4, -v15, v10, v5
	v_fma_f32 v18, -v15, v11, v18
	;; [unrolled: 1-line block ×3, first 2 shown]
	ds_read2_b32 v[8:9], v24 offset0:39 offset1:40
	ds_read2_b32 v[10:11], v24 offset0:41 offset1:42
	v_fma_f32 v5, -v14, v16, v5
	v_fma_f32 v12, -v15, v12, v5
	;; [unrolled: 1-line block ×3, first 2 shown]
	s_waitcnt lgkmcnt(1)
	v_mul_f32_e32 v16, v4, v8
	v_fma_f32 v20, -v13, v21, v6
	ds_read_b128 v[4:7], v24 offset:208
	v_fma_f32 v18, -v16, v9, v18
	ds_read2_b32 v[8:9], v24 offset0:65 offset1:66
	s_waitcnt lgkmcnt(2)
	v_fma_f32 v10, -v16, v10, v12
	v_fma_f32 v12, -v14, v17, v19
	s_waitcnt lgkmcnt(1)
	v_mul_f32_e32 v4, v18, v4
	v_fma_f32 v5, -v4, v5, v10
	s_waitcnt lgkmcnt(0)
	v_mul_f32_e32 v5, v5, v8
	v_fma_f32 v8, -v15, v22, v12
	v_fma_f32 v8, -v16, v11, v8
	ds_read_b64 v[10:11], v24 offset:312
	global_store_dwordx4 v[2:3], v[13:16], off
	v_fma_f32 v6, -v4, v6, v8
	v_fma_f32 v6, -v5, v9, v6
	ds_read2_b32 v[8:9], v24 offset0:43 offset1:67
	ds_read_b32 v12, v24 offset:364
	s_waitcnt lgkmcnt(2)
	v_mul_f32_e32 v6, v6, v10
	v_fma_f32 v10, -v14, v25, v20
	v_fma_f32 v10, -v15, v23, v10
	s_waitcnt lgkmcnt(1)
	v_fma_f32 v8, -v16, v8, v10
	v_fma_f32 v7, -v4, v7, v8
	v_fma_f32 v7, -v5, v9, v7
	v_fma_f32 v7, -v6, v11, v7
	s_waitcnt lgkmcnt(0)
	v_mul_f32_e32 v7, v7, v12
	global_store_dwordx4 v[2:3], v[4:7], off offset:16
.LBB14_43:
	s_cmp_ge_i32 s2, s17
	s_cbranch_scc1 .LBB14_48
; %bb.44:
	s_lshl_b32 s0, s2, 2
	s_mov_b32 s3, 0
	s_branch .LBB14_46
.LBB14_45:                              ;   in Loop: Header=BB14_46 Depth=1
	s_mul_i32 s1, s2, 52
	v_mov_b32_e32 v4, s1
	ds_read_b32 v4, v4
	s_add_i32 s2, s2, 1
	s_add_i32 s0, s0, 4
	s_cmp_ge_i32 s2, s17
	s_waitcnt lgkmcnt(0)
	v_mul_f32_e32 v4, v6, v4
	global_store_dword v[2:3], v4, off
	s_cbranch_scc1 .LBB14_48
.LBB14_46:                              ; =>This Loop Header: Depth=1
                                        ;     Child Loop BB14_47 Depth 2
	s_lshl_b64 s[4:5], s[2:3], 2
	v_mov_b32_e32 v3, s5
	v_add_co_u32_e32 v2, vcc, s4, v0
	v_addc_co_u32_e32 v3, vcc, v1, v3, vcc
	global_load_dword v6, v[2:3], off
	v_mov_b32_e32 v5, v1
	v_mov_b32_e32 v4, v0
	s_mov_b32 s1, s0
	s_cmp_eq_u32 s2, 0
	s_mov_b32 s4, s2
	s_waitcnt vmcnt(0)
	v_mul_f32_e32 v6, s16, v6
	s_cbranch_scc1 .LBB14_45
.LBB14_47:                              ;   Parent Loop BB14_46 Depth=1
                                        ; =>  This Inner Loop Header: Depth=2
	global_load_dword v7, v[4:5], off
	v_mov_b32_e32 v8, s1
	ds_read_b32 v8, v8
	s_add_i32 s4, s4, -1
	s_add_i32 s1, s1, 48
	v_add_co_u32_e32 v4, vcc, 4, v4
	v_addc_co_u32_e32 v5, vcc, 0, v5, vcc
	s_cmp_lg_u32 s4, 0
	s_waitcnt vmcnt(0) lgkmcnt(0)
	v_fma_f32 v6, -v7, v8, v6
	s_cbranch_scc1 .LBB14_47
	s_branch .LBB14_45
.LBB14_48:
	s_endpgm
	.section	.rodata,"a",@progbits
	.p2align	6, 0x0
	.amdhsa_kernel _ZL30rocblas_trsm_small_left_deviceILi12ELi12ELb1EffPKfPfEv13rocblas_fill_18rocblas_operation_17rocblas_diagonal_iiT3_T4_lilT5_lili
		.amdhsa_group_segment_fixed_size 576
		.amdhsa_private_segment_fixed_size 0
		.amdhsa_kernarg_size 352
		.amdhsa_user_sgpr_count 6
		.amdhsa_user_sgpr_private_segment_buffer 1
		.amdhsa_user_sgpr_dispatch_ptr 0
		.amdhsa_user_sgpr_queue_ptr 0
		.amdhsa_user_sgpr_kernarg_segment_ptr 1
		.amdhsa_user_sgpr_dispatch_id 0
		.amdhsa_user_sgpr_flat_scratch_init 0
		.amdhsa_user_sgpr_private_segment_size 0
		.amdhsa_uses_dynamic_stack 0
		.amdhsa_system_sgpr_private_segment_wavefront_offset 0
		.amdhsa_system_sgpr_workgroup_id_x 1
		.amdhsa_system_sgpr_workgroup_id_y 0
		.amdhsa_system_sgpr_workgroup_id_z 1
		.amdhsa_system_sgpr_workgroup_info 0
		.amdhsa_system_vgpr_workitem_id 0
		.amdhsa_next_free_vgpr 30
		.amdhsa_next_free_sgpr 24
		.amdhsa_reserve_vcc 1
		.amdhsa_reserve_flat_scratch 0
		.amdhsa_float_round_mode_32 0
		.amdhsa_float_round_mode_16_64 0
		.amdhsa_float_denorm_mode_32 3
		.amdhsa_float_denorm_mode_16_64 3
		.amdhsa_dx10_clamp 1
		.amdhsa_ieee_mode 1
		.amdhsa_fp16_overflow 0
		.amdhsa_exception_fp_ieee_invalid_op 0
		.amdhsa_exception_fp_denorm_src 0
		.amdhsa_exception_fp_ieee_div_zero 0
		.amdhsa_exception_fp_ieee_overflow 0
		.amdhsa_exception_fp_ieee_underflow 0
		.amdhsa_exception_fp_ieee_inexact 0
		.amdhsa_exception_int_div_zero 0
	.end_amdhsa_kernel
	.section	.text._ZL30rocblas_trsm_small_left_deviceILi12ELi12ELb1EffPKfPfEv13rocblas_fill_18rocblas_operation_17rocblas_diagonal_iiT3_T4_lilT5_lili,"axG",@progbits,_ZL30rocblas_trsm_small_left_deviceILi12ELi12ELb1EffPKfPfEv13rocblas_fill_18rocblas_operation_17rocblas_diagonal_iiT3_T4_lilT5_lili,comdat
.Lfunc_end14:
	.size	_ZL30rocblas_trsm_small_left_deviceILi12ELi12ELb1EffPKfPfEv13rocblas_fill_18rocblas_operation_17rocblas_diagonal_iiT3_T4_lilT5_lili, .Lfunc_end14-_ZL30rocblas_trsm_small_left_deviceILi12ELi12ELb1EffPKfPfEv13rocblas_fill_18rocblas_operation_17rocblas_diagonal_iiT3_T4_lilT5_lili
                                        ; -- End function
	.set _ZL30rocblas_trsm_small_left_deviceILi12ELi12ELb1EffPKfPfEv13rocblas_fill_18rocblas_operation_17rocblas_diagonal_iiT3_T4_lilT5_lili.num_vgpr, 30
	.set _ZL30rocblas_trsm_small_left_deviceILi12ELi12ELb1EffPKfPfEv13rocblas_fill_18rocblas_operation_17rocblas_diagonal_iiT3_T4_lilT5_lili.num_agpr, 0
	.set _ZL30rocblas_trsm_small_left_deviceILi12ELi12ELb1EffPKfPfEv13rocblas_fill_18rocblas_operation_17rocblas_diagonal_iiT3_T4_lilT5_lili.numbered_sgpr, 24
	.set _ZL30rocblas_trsm_small_left_deviceILi12ELi12ELb1EffPKfPfEv13rocblas_fill_18rocblas_operation_17rocblas_diagonal_iiT3_T4_lilT5_lili.num_named_barrier, 0
	.set _ZL30rocblas_trsm_small_left_deviceILi12ELi12ELb1EffPKfPfEv13rocblas_fill_18rocblas_operation_17rocblas_diagonal_iiT3_T4_lilT5_lili.private_seg_size, 0
	.set _ZL30rocblas_trsm_small_left_deviceILi12ELi12ELb1EffPKfPfEv13rocblas_fill_18rocblas_operation_17rocblas_diagonal_iiT3_T4_lilT5_lili.uses_vcc, 1
	.set _ZL30rocblas_trsm_small_left_deviceILi12ELi12ELb1EffPKfPfEv13rocblas_fill_18rocblas_operation_17rocblas_diagonal_iiT3_T4_lilT5_lili.uses_flat_scratch, 0
	.set _ZL30rocblas_trsm_small_left_deviceILi12ELi12ELb1EffPKfPfEv13rocblas_fill_18rocblas_operation_17rocblas_diagonal_iiT3_T4_lilT5_lili.has_dyn_sized_stack, 0
	.set _ZL30rocblas_trsm_small_left_deviceILi12ELi12ELb1EffPKfPfEv13rocblas_fill_18rocblas_operation_17rocblas_diagonal_iiT3_T4_lilT5_lili.has_recursion, 0
	.set _ZL30rocblas_trsm_small_left_deviceILi12ELi12ELb1EffPKfPfEv13rocblas_fill_18rocblas_operation_17rocblas_diagonal_iiT3_T4_lilT5_lili.has_indirect_call, 0
	.section	.AMDGPU.csdata,"",@progbits
; Kernel info:
; codeLenInByte = 5672
; TotalNumSgprs: 28
; NumVgprs: 30
; ScratchSize: 0
; MemoryBound: 0
; FloatMode: 240
; IeeeMode: 1
; LDSByteSize: 576 bytes/workgroup (compile time only)
; SGPRBlocks: 3
; VGPRBlocks: 7
; NumSGPRsForWavesPerEU: 28
; NumVGPRsForWavesPerEU: 30
; Occupancy: 8
; WaveLimiterHint : 0
; COMPUTE_PGM_RSRC2:SCRATCH_EN: 0
; COMPUTE_PGM_RSRC2:USER_SGPR: 6
; COMPUTE_PGM_RSRC2:TRAP_HANDLER: 0
; COMPUTE_PGM_RSRC2:TGID_X_EN: 1
; COMPUTE_PGM_RSRC2:TGID_Y_EN: 0
; COMPUTE_PGM_RSRC2:TGID_Z_EN: 1
; COMPUTE_PGM_RSRC2:TIDIG_COMP_CNT: 0
	.section	.text._ZL31rocblas_trsm_small_right_deviceIffPKfPfLi12EEv13rocblas_fill_18rocblas_operation_17rocblas_diagonal_iiT0_T1_lilT2_lili,"axG",@progbits,_ZL31rocblas_trsm_small_right_deviceIffPKfPfLi12EEv13rocblas_fill_18rocblas_operation_17rocblas_diagonal_iiT0_T1_lilT2_lili,comdat
	.globl	_ZL31rocblas_trsm_small_right_deviceIffPKfPfLi12EEv13rocblas_fill_18rocblas_operation_17rocblas_diagonal_iiT0_T1_lilT2_lili ; -- Begin function _ZL31rocblas_trsm_small_right_deviceIffPKfPfLi12EEv13rocblas_fill_18rocblas_operation_17rocblas_diagonal_iiT0_T1_lilT2_lili
	.p2align	8
	.type	_ZL31rocblas_trsm_small_right_deviceIffPKfPfLi12EEv13rocblas_fill_18rocblas_operation_17rocblas_diagonal_iiT0_T1_lilT2_lili,@function
_ZL31rocblas_trsm_small_right_deviceIffPKfPfLi12EEv13rocblas_fill_18rocblas_operation_17rocblas_diagonal_iiT0_T1_lilT2_lili: ; @_ZL31rocblas_trsm_small_right_deviceIffPKfPfLi12EEv13rocblas_fill_18rocblas_operation_17rocblas_diagonal_iiT0_T1_lilT2_lili
; %bb.0:
	s_load_dwordx4 s[8:11], s[4:5], 0x0
	s_load_dwordx2 s[12:13], s[4:5], 0x10
	s_load_dwordx4 s[0:3], s[4:5], 0x30
	s_load_dwordx2 s[14:15], s[4:5], 0x40
	s_waitcnt lgkmcnt(0)
	s_min_i32 s18, s12, 12
	v_cmp_gt_i32_e32 vcc, s18, v0
	s_and_saveexec_b64 s[16:17], vcc
	s_cbranch_execz .LBB15_5
; %bb.1:
	s_load_dword s24, s[4:5], 0x28
	s_load_dwordx4 s[20:23], s[4:5], 0x18
	s_mul_i32 s1, s1, s7
	s_mul_hi_u32 s19, s0, s7
	s_add_i32 s1, s19, s1
	s_mul_i32 s0, s0, s7
	s_waitcnt lgkmcnt(0)
	s_ashr_i32 s25, s24, 31
	s_lshl_b64 s[0:1], s[0:1], 2
	s_add_u32 s19, s20, s0
	s_addc_u32 s20, s21, s1
	s_lshl_b64 s[0:1], s[22:23], 2
	s_add_u32 s0, s19, s0
	s_addc_u32 s1, s20, s1
	v_lshlrev_b32_e32 v3, 2, v0
	v_mov_b32_e32 v2, s1
	v_add_co_u32_e32 v1, vcc, s0, v3
	s_lshl_b64 s[0:1], s[24:25], 2
	v_addc_co_u32_e32 v2, vcc, 0, v2, vcc
	v_mov_b32_e32 v4, s1
	v_mov_b32_e32 v5, v3
	s_mov_b32 s1, s18
.LBB15_2:                               ; =>This Inner Loop Header: Depth=1
	global_load_dword v6, v[1:2], off
	v_add_co_u32_e32 v1, vcc, s0, v1
	s_add_i32 s1, s1, -1
	v_addc_co_u32_e32 v2, vcc, v2, v4, vcc
	s_cmp_eq_u32 s1, 0
	s_waitcnt vmcnt(0)
	ds_write_b32 v5, v6
	v_add_u32_e32 v5, 48, v5
	s_cbranch_scc0 .LBB15_2
; %bb.3:
	s_cmpk_eq_i32 s10, 0x84
	s_cbranch_scc0 .LBB15_5
; %bb.4:
	v_mad_u32_u24 v1, v0, 48, v3
	v_mov_b32_e32 v2, 1.0
	ds_write_b32 v1, v2
.LBB15_5:
	s_or_b64 exec, exec, s[16:17]
	s_load_dword s0, s[4:5], 0x60
	s_load_dwordx2 s[16:17], s[4:5], 0x50
	s_load_dword s10, s[4:5], 0x48
	s_waitcnt lgkmcnt(0)
	s_mul_i32 s1, s17, s7
	s_mul_hi_u32 s5, s16, s7
	s_mul_i32 s4, s16, s7
	s_add_i32 s5, s5, s1
	s_lshl_b64 s[4:5], s[4:5], 2
	s_add_u32 s1, s2, s4
	s_addc_u32 s4, s3, s5
	s_lshl_b64 s[2:3], s[14:15], 2
	s_add_u32 s1, s1, s2
	s_addc_u32 s2, s4, s3
	s_mul_i32 s3, s6, -12
	s_add_i32 s0, s0, -1
	s_add_i32 s3, s11, s3
	s_cmp_ge_u32 s6, s0
	s_cselect_b32 s0, s3, 12
	s_mul_hi_i32 s3, s6, 48
	s_mul_i32 s6, s6, 48
	s_add_u32 s14, s1, s6
	s_addc_u32 s15, s2, s3
	v_cmp_gt_i32_e64 s[0:1], s0, v0
	s_and_saveexec_b64 s[2:3], s[0:1]
	s_cbranch_execz .LBB15_9
; %bb.6:
	s_cmp_lt_i32 s12, 1
	s_cbranch_scc1 .LBB15_9
; %bb.7:
	s_ashr_i32 s11, s10, 31
	v_lshlrev_b32_e32 v3, 2, v0
	v_mov_b32_e32 v2, s15
	v_add_co_u32_e32 v1, vcc, s14, v3
	s_lshl_b64 s[4:5], s[10:11], 2
	v_addc_co_u32_e32 v2, vcc, 0, v2, vcc
	v_or_b32_e32 v3, 0x240, v3
	v_mov_b32_e32 v4, s5
	s_mov_b32 s5, s12
.LBB15_8:                               ; =>This Inner Loop Header: Depth=1
	global_load_dword v5, v[1:2], off
	s_add_i32 s5, s5, -1
	v_add_co_u32_e32 v1, vcc, s4, v1
	v_addc_co_u32_e32 v2, vcc, v2, v4, vcc
	s_cmp_lg_u32 s5, 0
	s_waitcnt vmcnt(0)
	v_mul_f32_e32 v5, s13, v5
	ds_write_b32 v3, v5
	v_add_u32_e32 v3, 48, v3
	s_cbranch_scc1 .LBB15_8
.LBB15_9:
	s_or_b64 exec, exec, s[2:3]
	s_cmpk_eq_i32 s9, 0x6f
	s_cselect_b64 s[2:3], -1, 0
	s_cmpk_lg_i32 s8, 0x79
	s_cselect_b64 s[4:5], -1, 0
	s_cmpk_eq_i32 s8, 0x79
	s_cselect_b64 s[6:7], -1, 0
	s_and_b64 s[6:7], s[6:7], s[2:3]
	s_andn2_b64 vcc, exec, s[6:7]
	s_mov_b64 s[6:7], -1
	s_waitcnt lgkmcnt(0)
	; wave barrier
	s_cbranch_vccz .LBB15_66
; %bb.10:
	s_cmpk_lg_i32 s8, 0x7a
	s_cselect_b64 s[16:17], -1, 0
	s_xor_b64 s[2:3], s[2:3], -1
	s_add_i32 s8, s18, -1
	s_or_b64 s[16:17], s[16:17], s[2:3]
	v_mov_b32_e32 v1, 0x240
	s_cmp_gt_i32 s12, 3
	v_lshl_or_b32 v1, v0, 2, v1
	s_cselect_b64 s[2:3], -1, 0
	s_and_b64 vcc, exec, s[16:17]
	s_cbranch_vccz .LBB15_45
; %bb.11:
	s_andn2_b64 vcc, exec, s[4:5]
	s_mov_b64 s[4:5], -1
	s_cbranch_vccnz .LBB15_24
; %bb.12:
	s_andn2_b64 vcc, exec, s[2:3]
	s_mov_b32 s6, 0
	s_cbranch_vccnz .LBB15_18
; %bb.13:
	v_mov_b32_e32 v2, 0x240
	v_lshl_or_b32 v5, v0, 2, v2
	s_mov_b32 s4, 0
	s_mov_b32 s5, 0
.LBB15_14:                              ; =>This Loop Header: Depth=1
                                        ;     Child Loop BB15_15 Depth 2
	v_mad_u64_u32 v[2:3], s[6:7], s5, 48, v[1:2]
	s_or_b32 s6, s5, 3
	s_mul_i32 s6, s6, 48
	ds_read2_b32 v[3:4], v2 offset1:12
	v_add_u32_e32 v6, s6, v1
	ds_read_b32 v8, v2 offset:96
	ds_read_b32 v7, v6
	s_cmp_eq_u32 s5, 0
	v_mov_b32_e32 v9, v5
	s_mov_b32 s6, s4
	s_mov_b32 s7, s5
	s_cbranch_scc1 .LBB15_16
.LBB15_15:                              ;   Parent Loop BB15_14 Depth=1
                                        ; =>  This Inner Loop Header: Depth=2
	v_mov_b32_e32 v10, s6
	ds_read_b32 v14, v9
	ds_read_b128 v[10:13], v10
	s_add_i32 s7, s7, -1
	s_add_i32 s6, s6, 48
	v_add_u32_e32 v9, 48, v9
	s_cmp_eq_u32 s7, 0
	s_waitcnt lgkmcnt(0)
	v_fma_f32 v3, -v14, v10, v3
	v_fma_f32 v4, -v14, v11, v4
	;; [unrolled: 1-line block ×4, first 2 shown]
	s_cbranch_scc0 .LBB15_15
.LBB15_16:                              ;   in Loop: Header=BB15_14 Depth=1
	s_lshl_b32 s9, s5, 2
	s_mul_i32 s6, s5, 48
	s_add_i32 s11, s9, s6
	v_mov_b32_e32 v15, s11
	ds_read_b128 v[9:12], v15
	ds_read2_b32 v[13:14], v15 offset0:13 offset1:14
	s_add_i32 s11, s11, 52
	s_add_i32 s4, s4, 16
	s_waitcnt lgkmcnt(1)
	v_div_scale_f32 v16, s[6:7], v9, v9, v3
	v_div_scale_f32 v17, vcc, v3, v9, v3
	v_rcp_f32_e32 v18, v16
	v_fma_f32 v19, -v16, v18, 1.0
	v_fmac_f32_e32 v18, v19, v18
	v_mul_f32_e32 v19, v17, v18
	v_fma_f32 v20, -v16, v19, v17
	v_fmac_f32_e32 v19, v20, v18
	v_fma_f32 v16, -v16, v19, v17
	v_div_fmas_f32 v16, v16, v18, v19
	v_div_fixup_f32 v9, v16, v9, v3
	v_fma_f32 v10, -v9, v10, v4
	s_waitcnt lgkmcnt(0)
	v_div_scale_f32 v3, s[6:7], v13, v13, v10
	v_div_scale_f32 v4, vcc, v10, v13, v10
	v_fma_f32 v8, -v9, v11, v8
	v_fma_f32 v7, -v9, v12, v7
	v_rcp_f32_e32 v16, v3
	v_fma_f32 v17, -v3, v16, 1.0
	v_fmac_f32_e32 v16, v17, v16
	v_mul_f32_e32 v17, v4, v16
	v_fma_f32 v18, -v3, v17, v4
	v_fmac_f32_e32 v17, v18, v16
	v_fma_f32 v3, -v3, v17, v4
	v_div_fmas_f32 v16, v3, v16, v17
	ds_read_b64 v[3:4], v15 offset:104
	ds_read_b32 v15, v15 offset:156
	v_div_fixup_f32 v10, v16, v13, v10
	v_fma_f32 v8, -v10, v14, v8
	s_waitcnt lgkmcnt(1)
	v_div_scale_f32 v11, s[6:7], v3, v3, v8
	v_div_scale_f32 v13, vcc, v8, v3, v8
	s_or_b32 s6, s9, 4
	s_sub_i32 s6, s11, s6
	s_add_i32 s6, s6, s9
	v_rcp_f32_e32 v14, v11
	v_fma_f32 v16, -v11, v14, 1.0
	v_fmac_f32_e32 v14, v16, v14
	v_mul_f32_e32 v16, v13, v14
	v_fma_f32 v17, -v11, v16, v13
	v_fmac_f32_e32 v16, v17, v14
	v_fma_f32 v11, -v11, v16, v13
	v_div_fmas_f32 v11, v11, v14, v16
	v_mov_b32_e32 v13, s6
	ds_read_b32 v13, v13 offset:12
	s_waitcnt lgkmcnt(0)
	v_fma_f32 v7, -v10, v13, v7
	v_div_fixup_f32 v3, v11, v3, v8
	v_fma_f32 v4, -v3, v4, v7
	v_div_scale_f32 v7, s[6:7], v15, v15, v4
	v_div_scale_f32 v8, vcc, v4, v15, v4
	s_add_i32 s6, s5, 4
	s_add_i32 s5, s5, 7
	ds_write2_b32 v2, v9, v10 offset1:12
	ds_write_b32 v2, v3 offset:96
	s_cmp_ge_i32 s5, s18
	v_rcp_f32_e32 v11, v7
	v_fma_f32 v12, -v7, v11, 1.0
	v_fmac_f32_e32 v11, v12, v11
	v_mul_f32_e32 v12, v8, v11
	v_fma_f32 v13, -v7, v12, v8
	v_fmac_f32_e32 v12, v13, v11
	v_fma_f32 v7, -v7, v12, v8
	v_div_fmas_f32 v7, v7, v11, v12
	v_div_fixup_f32 v2, v7, v15, v4
	ds_write_b32 v6, v2
	s_cbranch_scc1 .LBB15_18
; %bb.17:                               ;   in Loop: Header=BB15_14 Depth=1
	s_mov_b32 s5, s6
	s_branch .LBB15_14
.LBB15_18:
	s_cmp_ge_i32 s6, s18
	s_cbranch_scc1 .LBB15_23
; %bb.19:
	v_mov_b32_e32 v2, 0x240
	s_lshl_b32 s4, s6, 2
	v_lshl_or_b32 v2, v0, 2, v2
	s_branch .LBB15_21
.LBB15_20:                              ;   in Loop: Header=BB15_21 Depth=1
	s_lshl_b32 s7, s6, 2
	s_add_i32 s5, s7, s5
	v_mov_b32_e32 v5, s5
	ds_read_b32 v5, v5
	s_add_i32 s6, s6, 1
	s_add_i32 s4, s4, 4
	s_cmp_ge_i32 s6, s18
	s_waitcnt lgkmcnt(0)
	v_div_scale_f32 v6, s[16:17], v5, v5, v4
	v_div_scale_f32 v7, vcc, v4, v5, v4
	v_rcp_f32_e32 v8, v6
	v_fma_f32 v9, -v6, v8, 1.0
	v_fmac_f32_e32 v8, v9, v8
	v_mul_f32_e32 v9, v7, v8
	v_fma_f32 v10, -v6, v9, v7
	v_fmac_f32_e32 v9, v10, v8
	v_fma_f32 v6, -v6, v9, v7
	v_div_fmas_f32 v6, v6, v8, v9
	v_div_fixup_f32 v4, v6, v5, v4
	ds_write_b32 v3, v4
	s_cbranch_scc1 .LBB15_23
.LBB15_21:                              ; =>This Loop Header: Depth=1
                                        ;     Child Loop BB15_22 Depth 2
	s_mul_i32 s5, s6, 48
	v_add_u32_e32 v3, s5, v1
	ds_read_b32 v4, v3
	s_cmp_eq_u32 s6, 0
	v_mov_b32_e32 v5, v2
	s_mov_b32 s7, s4
	s_mov_b32 s9, s6
	s_cbranch_scc1 .LBB15_20
.LBB15_22:                              ;   Parent Loop BB15_21 Depth=1
                                        ; =>  This Inner Loop Header: Depth=2
	v_mov_b32_e32 v7, s7
	ds_read_b32 v6, v5
	ds_read_b32 v7, v7
	s_add_i32 s9, s9, -1
	s_add_i32 s7, s7, 48
	v_add_u32_e32 v5, 48, v5
	s_cmp_eq_u32 s9, 0
	s_waitcnt lgkmcnt(0)
	v_fma_f32 v4, -v6, v7, v4
	s_cbranch_scc0 .LBB15_22
	s_branch .LBB15_20
.LBB15_23:
	s_mov_b64 s[4:5], 0
.LBB15_24:
	s_and_b64 vcc, exec, s[4:5]
	s_cbranch_vccz .LBB15_44
; %bb.25:
	s_andn2_b64 vcc, exec, s[2:3]
	s_mov_b32 s6, s8
	s_cbranch_vccnz .LBB15_31
; %bb.26:
	s_mul_i32 s5, s18, 48
	s_mul_i32 s4, s18, 52
	v_lshl_add_u32 v2, v0, 2, s5
	s_sub_i32 s4, s4, 64
	v_add_u32_e32 v2, 0x210, v2
	s_mov_b32 s5, s8
.LBB15_27:                              ; =>This Loop Header: Depth=1
                                        ;     Child Loop BB15_28 Depth 2
	s_mul_i32 s7, s5, 48
	v_add_u32_e32 v3, s7, v1
	s_add_i32 s6, s7, 0xffffff70
	v_subrev_u32_e32 v4, 48, v3
	v_add_u32_e32 v5, 0xffffffa0, v3
	v_add_u32_e32 v6, s6, v1
	ds_read_b32 v10, v3
	ds_read_b32 v9, v4
	ds_read_b32 v8, v5
	ds_read_b32 v7, v6
	s_cmp_le_i32 s8, s5
	v_mov_b32_e32 v11, v2
	s_mov_b32 s9, s4
	s_mov_b32 s11, s8
	s_cbranch_scc1 .LBB15_29
.LBB15_28:                              ;   Parent Loop BB15_27 Depth=1
                                        ; =>  This Inner Loop Header: Depth=2
	v_mov_b32_e32 v14, s9
	ds_read_b32 v16, v11
	ds_read2_b32 v[12:13], v14 offset0:2 offset1:3
	ds_read2_b32 v[14:15], v14 offset1:1
	s_add_i32 s11, s11, -1
	s_sub_i32 s9, s9, 48
	v_subrev_u32_e32 v11, 48, v11
	s_cmp_le_i32 s11, s5
	s_waitcnt lgkmcnt(1)
	v_fma_f32 v10, -v16, v13, v10
	v_fma_f32 v9, -v16, v12, v9
	s_waitcnt lgkmcnt(0)
	v_fma_f32 v8, -v16, v15, v8
	v_fma_f32 v7, -v16, v14, v7
	s_cbranch_scc0 .LBB15_28
.LBB15_29:                              ;   in Loop: Header=BB15_27 Depth=1
	s_add_i32 s9, s5, -3
	s_lshl_b32 s11, s5, 2
	s_add_i32 s13, s11, s7
	s_lshl_b32 s9, s9, 2
	s_add_i32 s16, s13, -4
	s_add_i32 s7, s7, s9
	v_mov_b32_e32 v11, s16
	s_sub_i32 s16, s13, 52
	s_add_i32 s13, s13, -12
	s_sub_i32 s9, s7, 48
	v_mov_b32_e32 v13, s16
	v_mov_b32_e32 v14, s13
	;; [unrolled: 1-line block ×3, first 2 shown]
	ds_read2_b32 v[11:12], v11 offset1:1
	ds_read_b32 v17, v13
	ds_read2_b32 v[13:14], v14 offset1:1
	ds_read2_b32 v[15:16], v15 offset1:1
	s_add_i32 s6, s11, s6
	s_waitcnt lgkmcnt(3)
	v_div_scale_f32 v18, s[16:17], v12, v12, v10
	v_div_scale_f32 v19, vcc, v10, v12, v10
	s_addk_i32 s7, 0xffa0
	s_add_i32 s6, s6, -12
	s_add_i32 s4, s4, -16
	v_rcp_f32_e32 v20, v18
	v_fma_f32 v21, -v18, v20, 1.0
	v_fmac_f32_e32 v20, v21, v20
	v_mul_f32_e32 v21, v19, v20
	v_fma_f32 v22, -v18, v21, v19
	v_fmac_f32_e32 v21, v22, v20
	v_fma_f32 v18, -v18, v21, v19
	v_div_fmas_f32 v18, v18, v20, v21
	v_div_fixup_f32 v12, v18, v12, v10
	v_fma_f32 v11, -v12, v11, v9
	s_waitcnt lgkmcnt(2)
	v_div_scale_f32 v9, s[16:17], v17, v17, v11
	v_div_scale_f32 v10, vcc, v11, v17, v11
	s_waitcnt lgkmcnt(1)
	v_fma_f32 v8, -v12, v14, v8
	v_fma_f32 v7, -v12, v13, v7
	v_rcp_f32_e32 v18, v9
	v_fma_f32 v19, -v9, v18, 1.0
	v_fmac_f32_e32 v18, v19, v18
	v_mul_f32_e32 v19, v10, v18
	v_fma_f32 v20, -v9, v19, v10
	v_fmac_f32_e32 v19, v20, v18
	v_fma_f32 v9, -v9, v19, v10
	v_div_fmas_f32 v18, v9, v18, v19
	v_mov_b32_e32 v9, s7
	v_mov_b32_e32 v19, s6
	ds_read2_b32 v[9:10], v9 offset1:1
	ds_read_b32 v19, v19
	v_div_fixup_f32 v11, v18, v17, v11
	s_waitcnt lgkmcnt(2)
	v_fma_f32 v8, -v11, v16, v8
	s_waitcnt lgkmcnt(1)
	v_div_scale_f32 v14, s[6:7], v10, v10, v8
	v_div_scale_f32 v16, vcc, v8, v10, v8
	v_fma_f32 v7, -v11, v15, v7
	v_rcp_f32_e32 v17, v14
	v_fma_f32 v18, -v14, v17, 1.0
	v_fmac_f32_e32 v17, v18, v17
	v_mul_f32_e32 v18, v16, v17
	v_fma_f32 v20, -v14, v18, v16
	v_fmac_f32_e32 v18, v20, v17
	v_fma_f32 v14, -v14, v18, v16
	v_div_fmas_f32 v14, v14, v17, v18
	v_div_fixup_f32 v8, v14, v10, v8
	v_fma_f32 v7, -v8, v9, v7
	s_waitcnt lgkmcnt(0)
	v_div_scale_f32 v9, s[6:7], v19, v19, v7
	v_div_scale_f32 v10, vcc, v7, v19, v7
	s_add_i32 s6, s5, -4
	ds_write_b32 v3, v12
	ds_write_b32 v4, v11
	;; [unrolled: 1-line block ×3, first 2 shown]
	s_cmp_lt_i32 s5, 7
	v_rcp_f32_e32 v13, v9
	v_fma_f32 v14, -v9, v13, 1.0
	v_fmac_f32_e32 v13, v14, v13
	v_mul_f32_e32 v14, v10, v13
	v_fma_f32 v15, -v9, v14, v10
	v_fmac_f32_e32 v14, v15, v13
	v_fma_f32 v9, -v9, v14, v10
	v_div_fmas_f32 v9, v9, v13, v14
	v_div_fixup_f32 v3, v9, v19, v7
	ds_write_b32 v6, v3
	s_cbranch_scc1 .LBB15_31
; %bb.30:                               ;   in Loop: Header=BB15_27 Depth=1
	s_mov_b32 s5, s6
	s_branch .LBB15_27
.LBB15_31:
	s_cmp_lt_i32 s6, 0
	s_cbranch_scc1 .LBB15_44
; %bb.32:
	s_bitcmp1_b32 s6, 0
	s_cselect_b64 s[4:5], -1, 0
	s_and_b64 vcc, exec, s[4:5]
	s_mov_b32 s4, s6
	s_cbranch_vccnz .LBB15_37
; %bb.33:
	s_mul_i32 s4, s6, 48
	v_add_u32_e32 v2, s4, v1
	ds_read_b32 v3, v2
	s_cmp_le_i32 s8, s6
	s_cbranch_scc1 .LBB15_36
; %bb.34:
	s_mul_i32 s7, s18, 48
	s_lshl_b32 s5, s6, 2
	s_add_i32 s5, s7, s5
	v_lshl_add_u32 v4, v0, 2, s7
	s_sub_i32 s5, s5, 48
	v_add_u32_e32 v4, 0x210, v4
	s_mov_b32 s7, s8
.LBB15_35:                              ; =>This Inner Loop Header: Depth=1
	v_mov_b32_e32 v6, s5
	ds_read_b32 v5, v4
	ds_read_b32 v6, v6
	s_add_i32 s7, s7, -1
	s_sub_i32 s5, s5, 48
	v_subrev_u32_e32 v4, 48, v4
	s_cmp_gt_u32 s7, s6
	s_waitcnt lgkmcnt(0)
	v_fma_f32 v3, -v5, v6, v3
	s_cbranch_scc1 .LBB15_35
.LBB15_36:
	s_lshl_b32 s5, s6, 2
	s_add_i32 s4, s5, s4
	v_mov_b32_e32 v4, s4
	ds_read_b32 v4, v4
	s_waitcnt lgkmcnt(0)
	v_div_scale_f32 v5, s[4:5], v4, v4, v3
	v_div_scale_f32 v6, vcc, v3, v4, v3
	s_add_i32 s4, s6, -1
	v_rcp_f32_e32 v7, v5
	v_fma_f32 v8, -v5, v7, 1.0
	v_fmac_f32_e32 v7, v8, v7
	v_mul_f32_e32 v8, v6, v7
	v_fma_f32 v9, -v5, v8, v6
	v_fmac_f32_e32 v8, v9, v7
	v_fma_f32 v5, -v5, v8, v6
	v_div_fmas_f32 v5, v5, v7, v8
	v_div_fixup_f32 v3, v5, v4, v3
	ds_write_b32 v2, v3
.LBB15_37:
	s_cmp_eq_u32 s6, 0
	s_cbranch_scc1 .LBB15_44
; %bb.38:
	s_mul_i32 s6, s18, 48
	s_lshl_b32 s5, s4, 2
	s_add_i32 s7, s6, s5
	v_lshl_add_u32 v2, v0, 2, s6
	s_sub_i32 s5, s7, 48
	v_add_u32_e32 v2, 0x210, v2
	s_sub_i32 s6, s7, 52
	s_branch .LBB15_40
.LBB15_39:                              ;   in Loop: Header=BB15_40 Depth=1
	s_mul_i32 s11, s9, 48
	s_add_i32 s7, s7, s11
	s_add_i32 s7, s7, -4
	v_mov_b32_e32 v4, s7
	ds_read_b32 v4, v4
	s_add_i32 s4, s4, -2
	s_add_i32 s5, s5, -8
	;; [unrolled: 1-line block ×3, first 2 shown]
	s_cmp_eq_u32 s9, 0
	s_waitcnt lgkmcnt(0)
	v_div_scale_f32 v6, s[16:17], v4, v4, v5
	v_div_scale_f32 v7, vcc, v5, v4, v5
	v_rcp_f32_e32 v8, v6
	v_fma_f32 v9, -v6, v8, 1.0
	v_fmac_f32_e32 v8, v9, v8
	v_mul_f32_e32 v9, v7, v8
	v_fma_f32 v10, -v6, v9, v7
	v_fmac_f32_e32 v9, v10, v8
	v_fma_f32 v6, -v6, v9, v7
	v_div_fmas_f32 v6, v6, v8, v9
	v_div_fixup_f32 v4, v6, v4, v5
	ds_write_b32 v3, v4
	s_cbranch_scc1 .LBB15_44
.LBB15_40:                              ; =>This Loop Header: Depth=1
                                        ;     Child Loop BB15_41 Depth 2
                                        ;     Child Loop BB15_43 Depth 2
	s_mul_i32 s9, s4, 48
	v_add_u32_e32 v4, s9, v1
	ds_read_b32 v6, v4
	s_cmp_le_i32 s8, s4
	v_mov_b32_e32 v3, v2
	s_mov_b32 s7, s5
	s_mov_b32 s11, s8
	s_cbranch_scc1 .LBB15_42
.LBB15_41:                              ;   Parent Loop BB15_40 Depth=1
                                        ; =>  This Inner Loop Header: Depth=2
	v_mov_b32_e32 v7, s7
	ds_read_b32 v5, v3
	ds_read_b32 v7, v7
	s_add_i32 s11, s11, -1
	s_sub_i32 s7, s7, 48
	v_subrev_u32_e32 v3, 48, v3
	s_cmp_le_u32 s11, s4
	s_waitcnt lgkmcnt(0)
	v_fma_f32 v6, -v5, v7, v6
	s_cbranch_scc0 .LBB15_41
.LBB15_42:                              ;   in Loop: Header=BB15_40 Depth=1
	s_lshl_b32 s7, s4, 2
	s_add_i32 s11, s7, s9
	v_mov_b32_e32 v3, s11
	ds_read_b32 v8, v3
	s_sub_i32 s9, s9, 48
	v_add_u32_e32 v3, s9, v1
	ds_read_b32 v5, v3
	s_add_i32 s9, s4, -1
	s_waitcnt lgkmcnt(1)
	v_div_scale_f32 v7, s[16:17], v8, v8, v6
	v_div_scale_f32 v9, vcc, v6, v8, v6
	s_mov_b32 s11, s6
	s_cmp_le_i32 s18, s4
	s_mov_b32 s13, s8
	v_rcp_f32_e32 v10, v7
	v_fma_f32 v11, -v7, v10, 1.0
	v_fmac_f32_e32 v10, v11, v10
	v_mul_f32_e32 v11, v9, v10
	v_fma_f32 v12, -v7, v11, v9
	v_fmac_f32_e32 v11, v12, v10
	v_fma_f32 v7, -v7, v11, v9
	v_div_fmas_f32 v9, v7, v10, v11
	v_mov_b32_e32 v7, v2
	v_div_fixup_f32 v6, v9, v8, v6
	ds_write_b32 v4, v6
	s_cbranch_scc1 .LBB15_39
.LBB15_43:                              ;   Parent Loop BB15_40 Depth=1
                                        ; =>  This Inner Loop Header: Depth=2
	v_mov_b32_e32 v6, s11
	ds_read_b32 v4, v7
	ds_read_b32 v6, v6
	s_add_i32 s13, s13, -1
	s_sub_i32 s11, s11, 48
	v_subrev_u32_e32 v7, 48, v7
	s_cmp_gt_u32 s13, s9
	s_waitcnt lgkmcnt(0)
	v_fma_f32 v5, -v4, v6, v5
	s_cbranch_scc1 .LBB15_43
	s_branch .LBB15_39
.LBB15_44:
	s_mov_b64 s[6:7], 0
.LBB15_45:
	s_andn2_b64 vcc, exec, s[6:7]
	s_cbranch_vccnz .LBB15_65
; %bb.46:
	s_andn2_b64 vcc, exec, s[2:3]
	s_mov_b32 s4, s8
	s_cbranch_vccnz .LBB15_52
; %bb.47:
	s_mul_i32 s2, s18, 48
	v_lshl_add_u32 v2, v0, 2, s2
	s_mul_i32 s2, s18, 52
	v_add_u32_e32 v2, 0x210, v2
	s_addk_i32 s2, 0xff3c
	s_mov_b32 s3, s8
.LBB15_48:                              ; =>This Loop Header: Depth=1
                                        ;     Child Loop BB15_49 Depth 2
	s_mul_i32 s4, s3, 12
	v_lshl_add_u32 v3, s4, 2, v1
	v_subrev_u32_e32 v4, 48, v3
	v_add_u32_e32 v6, 0xffffffa0, v3
	v_add_u32_e32 v5, 0xffffff70, v3
	ds_read_b32 v10, v3
	ds_read_b32 v9, v4
	;; [unrolled: 1-line block ×4, first 2 shown]
	s_cmp_le_i32 s8, s3
	s_mov_b32 s5, s2
	v_mov_b32_e32 v11, v2
	s_mov_b32 s6, s8
	s_cbranch_scc1 .LBB15_50
.LBB15_49:                              ;   Parent Loop BB15_48 Depth=1
                                        ; =>  This Inner Loop Header: Depth=2
	v_mov_b32_e32 v14, s5
	ds_read_b32 v16, v11
	ds_read2_b32 v[12:13], v14 offset0:24 offset1:36
	ds_read2_b32 v[14:15], v14 offset1:12
	s_add_i32 s6, s6, -1
	s_add_i32 s5, s5, -4
	v_subrev_u32_e32 v11, 48, v11
	s_cmp_le_i32 s6, s3
	s_waitcnt lgkmcnt(1)
	v_fma_f32 v10, -v16, v13, v10
	v_fma_f32 v9, -v16, v12, v9
	s_waitcnt lgkmcnt(0)
	v_fma_f32 v8, -v16, v15, v8
	v_fma_f32 v7, -v16, v14, v7
	s_cbranch_scc0 .LBB15_49
.LBB15_50:                              ;   in Loop: Header=BB15_48 Depth=1
	s_mul_i32 s5, s3, 52
	s_lshl_b32 s4, s4, 2
	v_mov_b32_e32 v11, s5
	s_lshl_b32 s5, s3, 2
	s_add_i32 s6, s4, s5
	s_sub_i32 s4, s6, 52
	v_mov_b32_e32 v12, s4
	s_add_i32 s4, s6, 0xffffffa0
	v_mov_b32_e32 v13, s4
	s_add_i32 s4, s6, 0xffffff98
	v_mov_b32_e32 v14, s4
	ds_read_b32 v15, v11
	ds_read2_b32 v[11:12], v12 offset1:1
	ds_read_b32 v16, v13
	ds_read2_b32 v[13:14], v14 offset1:1
	s_addk_i32 s2, 0xff40
	s_waitcnt lgkmcnt(3)
	v_div_scale_f32 v17, s[4:5], v15, v15, v10
	v_div_scale_f32 v18, vcc, v10, v15, v10
	v_rcp_f32_e32 v19, v17
	v_fma_f32 v20, -v17, v19, 1.0
	v_fmac_f32_e32 v19, v20, v19
	v_mul_f32_e32 v20, v18, v19
	v_fma_f32 v21, -v17, v20, v18
	v_fmac_f32_e32 v20, v21, v19
	v_fma_f32 v17, -v17, v20, v18
	v_div_fmas_f32 v17, v17, v19, v20
	v_div_fixup_f32 v15, v17, v15, v10
	s_waitcnt lgkmcnt(2)
	v_fma_f32 v9, -v15, v12, v9
	v_div_scale_f32 v10, s[4:5], v11, v11, v9
	v_div_scale_f32 v12, vcc, v9, v11, v9
	s_waitcnt lgkmcnt(1)
	v_fma_f32 v8, -v15, v16, v8
	v_rcp_f32_e32 v17, v10
	v_fma_f32 v18, -v10, v17, 1.0
	v_fmac_f32_e32 v17, v18, v17
	v_mul_f32_e32 v18, v12, v17
	v_fma_f32 v19, -v10, v18, v12
	v_fmac_f32_e32 v18, v19, v17
	v_fma_f32 v10, -v10, v18, v12
	v_div_fmas_f32 v10, v10, v17, v18
	v_div_fixup_f32 v12, v10, v11, v9
	s_waitcnt lgkmcnt(0)
	v_fma_f32 v14, -v12, v14, v8
	v_div_scale_f32 v8, s[4:5], v13, v13, v14
	v_div_scale_f32 v9, vcc, v14, v13, v14
	s_add_i32 s4, s6, 0xffffff6c
	v_rcp_f32_e32 v10, v8
	v_fma_f32 v11, -v8, v10, 1.0
	v_fmac_f32_e32 v10, v11, v10
	v_mul_f32_e32 v11, v9, v10
	v_fma_f32 v16, -v8, v11, v9
	v_fmac_f32_e32 v11, v16, v10
	v_fma_f32 v8, -v8, v11, v9
	v_div_fmas_f32 v16, v8, v10, v11
	v_mov_b32_e32 v8, s4
	ds_read2_b32 v[8:9], v8 offset1:1
	s_add_i32 s4, s6, 0xffffff64
	v_mov_b32_e32 v10, s4
	ds_read2_b32 v[10:11], v10 offset1:1
	s_waitcnt lgkmcnt(1)
	v_fma_f32 v7, -v15, v9, v7
	v_fma_f32 v7, -v12, v8, v7
	v_div_fixup_f32 v8, v16, v13, v14
	s_waitcnt lgkmcnt(0)
	v_fma_f32 v7, -v8, v11, v7
	v_div_scale_f32 v9, s[4:5], v10, v10, v7
	v_div_scale_f32 v11, vcc, v7, v10, v7
	s_add_i32 s4, s3, -4
	ds_write_b32 v3, v15
	ds_write_b32 v4, v12
	;; [unrolled: 1-line block ×3, first 2 shown]
	s_cmp_lt_i32 s3, 7
	v_rcp_f32_e32 v13, v9
	v_fma_f32 v14, -v9, v13, 1.0
	v_fmac_f32_e32 v13, v14, v13
	v_mul_f32_e32 v14, v11, v13
	v_fma_f32 v16, -v9, v14, v11
	v_fmac_f32_e32 v14, v16, v13
	v_fma_f32 v9, -v9, v14, v11
	v_div_fmas_f32 v9, v9, v13, v14
	v_div_fixup_f32 v3, v9, v10, v7
	ds_write_b32 v5, v3
	s_cbranch_scc1 .LBB15_52
; %bb.51:                               ;   in Loop: Header=BB15_48 Depth=1
	s_mov_b32 s3, s4
	s_branch .LBB15_48
.LBB15_52:
	s_cmp_lt_i32 s4, 0
	s_cbranch_scc1 .LBB15_65
; %bb.53:
	s_bitcmp1_b32 s4, 0
	s_cselect_b64 s[2:3], -1, 0
	s_and_b64 vcc, exec, s[2:3]
	s_mov_b32 s2, s4
	s_cbranch_vccnz .LBB15_58
; %bb.54:
	v_mad_u64_u32 v[2:3], s[2:3], s4, 48, v[1:2]
	s_cmp_le_i32 s8, s4
	ds_read_b32 v3, v2
	s_cbranch_scc1 .LBB15_57
; %bb.55:
	s_mul_i32 s2, s4, 48
	s_lshl_b32 s3, s18, 2
	s_add_i32 s2, s2, s3
	s_mul_i32 s3, s18, 48
	v_lshl_add_u32 v4, v0, 2, s3
	s_add_i32 s2, s2, -4
	v_add_u32_e32 v4, 0x210, v4
	s_mov_b32 s3, s8
.LBB15_56:                              ; =>This Inner Loop Header: Depth=1
	v_mov_b32_e32 v6, s2
	ds_read_b32 v5, v4
	ds_read_b32 v6, v6
	s_add_i32 s3, s3, -1
	s_add_i32 s2, s2, -4
	v_subrev_u32_e32 v4, 48, v4
	s_cmp_gt_u32 s3, s4
	s_waitcnt lgkmcnt(0)
	v_fma_f32 v3, -v5, v6, v3
	s_cbranch_scc1 .LBB15_56
.LBB15_57:
	s_mul_i32 s2, s4, 52
	v_mov_b32_e32 v4, s2
	ds_read_b32 v4, v4
	s_waitcnt lgkmcnt(0)
	v_div_scale_f32 v5, s[2:3], v4, v4, v3
	v_div_scale_f32 v6, vcc, v3, v4, v3
	s_add_i32 s2, s4, -1
	v_rcp_f32_e32 v7, v5
	v_fma_f32 v8, -v5, v7, 1.0
	v_fmac_f32_e32 v7, v8, v7
	v_mul_f32_e32 v8, v6, v7
	v_fma_f32 v9, -v5, v8, v6
	v_fmac_f32_e32 v8, v9, v7
	v_fma_f32 v5, -v5, v8, v6
	v_div_fmas_f32 v5, v5, v7, v8
	v_div_fixup_f32 v3, v5, v4, v3
	ds_write_b32 v2, v3
.LBB15_58:
	s_cmp_eq_u32 s4, 0
	s_cbranch_scc1 .LBB15_65
; %bb.59:
	s_mul_i32 s3, s18, 48
	v_lshl_add_u32 v2, v0, 2, s3
	s_mul_i32 s3, s2, 48
	s_lshl_b32 s4, s18, 2
	s_add_i32 s4, s3, s4
	v_add_u32_e32 v4, 0x210, v2
	s_add_i32 s3, s4, -4
	s_sub_i32 s4, s4, 52
	s_branch .LBB15_61
.LBB15_60:                              ;   in Loop: Header=BB15_61 Depth=1
	s_sub_i32 s5, s5, 52
	v_mov_b32_e32 v2, s5
	ds_read_b32 v2, v2
	s_add_i32 s2, s2, -2
	s_addk_i32 s3, 0xffa0
	s_addk_i32 s4, 0xffa0
	s_cmp_eq_u32 s6, 0
	s_waitcnt lgkmcnt(0)
	v_div_scale_f32 v6, s[16:17], v2, v2, v5
	v_div_scale_f32 v7, vcc, v5, v2, v5
	v_rcp_f32_e32 v8, v6
	v_fma_f32 v9, -v6, v8, 1.0
	v_fmac_f32_e32 v8, v9, v8
	v_mul_f32_e32 v9, v7, v8
	v_fma_f32 v10, -v6, v9, v7
	v_fmac_f32_e32 v9, v10, v8
	v_fma_f32 v6, -v6, v9, v7
	v_div_fmas_f32 v6, v6, v8, v9
	v_div_fixup_f32 v2, v6, v2, v5
	ds_write_b32 v3, v2
	s_cbranch_scc1 .LBB15_65
.LBB15_61:                              ; =>This Loop Header: Depth=1
                                        ;     Child Loop BB15_62 Depth 2
                                        ;     Child Loop BB15_64 Depth 2
	v_mad_u64_u32 v[2:3], s[6:7], s2, 48, v[1:2]
	s_cmp_le_i32 s8, s2
	s_mov_b32 s5, s3
	ds_read_b32 v6, v2
	v_mov_b32_e32 v3, v4
	s_mov_b32 s6, s8
	s_cbranch_scc1 .LBB15_63
.LBB15_62:                              ;   Parent Loop BB15_61 Depth=1
                                        ; =>  This Inner Loop Header: Depth=2
	v_mov_b32_e32 v7, s5
	ds_read_b32 v5, v3
	ds_read_b32 v7, v7
	s_add_i32 s6, s6, -1
	s_add_i32 s5, s5, -4
	v_subrev_u32_e32 v3, 48, v3
	s_cmp_le_u32 s6, s2
	s_waitcnt lgkmcnt(0)
	v_fma_f32 v6, -v5, v7, v6
	s_cbranch_scc0 .LBB15_62
.LBB15_63:                              ;   in Loop: Header=BB15_61 Depth=1
	s_mul_i32 s5, s2, 52
	v_mov_b32_e32 v3, s5
	ds_read_b32 v8, v3
	v_subrev_u32_e32 v3, 48, v2
	ds_read_b32 v5, v3
	s_mov_b32 s9, s8
	s_waitcnt lgkmcnt(1)
	v_div_scale_f32 v7, s[6:7], v8, v8, v6
	v_div_scale_f32 v9, vcc, v6, v8, v6
	s_add_i32 s6, s2, -1
	s_mov_b32 s7, s4
	s_cmp_le_i32 s18, s2
	v_rcp_f32_e32 v10, v7
	v_fma_f32 v11, -v7, v10, 1.0
	v_fmac_f32_e32 v10, v11, v10
	v_mul_f32_e32 v11, v9, v10
	v_fma_f32 v12, -v7, v11, v9
	v_fmac_f32_e32 v11, v12, v10
	v_fma_f32 v7, -v7, v11, v9
	v_div_fmas_f32 v9, v7, v10, v11
	v_mov_b32_e32 v7, v4
	v_div_fixup_f32 v6, v9, v8, v6
	ds_write_b32 v2, v6
	s_cbranch_scc1 .LBB15_60
.LBB15_64:                              ;   Parent Loop BB15_61 Depth=1
                                        ; =>  This Inner Loop Header: Depth=2
	v_mov_b32_e32 v6, s7
	ds_read_b32 v2, v7
	ds_read_b32 v6, v6
	s_add_i32 s9, s9, -1
	s_add_i32 s7, s7, -4
	v_subrev_u32_e32 v7, 48, v7
	s_cmp_gt_u32 s9, s6
	s_waitcnt lgkmcnt(0)
	v_fma_f32 v5, -v2, v6, v5
	s_cbranch_scc1 .LBB15_64
	s_branch .LBB15_60
.LBB15_65:
	s_mov_b64 s[6:7], 0
.LBB15_66:
	s_andn2_b64 vcc, exec, s[6:7]
	s_cbranch_vccnz .LBB15_78
; %bb.67:
	v_mov_b32_e32 v1, 0x240
	v_lshl_or_b32 v1, v0, 2, v1
	s_cmp_lt_i32 s12, 4
	s_mov_b32 s4, 0
	s_cbranch_scc1 .LBB15_73
; %bb.68:
	s_mov_b32 s2, 0
	s_mov_b32 s3, 0
.LBB15_69:                              ; =>This Loop Header: Depth=1
                                        ;     Child Loop BB15_70 Depth 2
	s_mul_i32 s4, s3, 12
	v_lshl_add_u32 v6, s4, 2, v1
	ds_read2_b32 v[4:5], v6 offset1:12
	ds_read2_b32 v[2:3], v6 offset0:24 offset1:36
	s_cmp_eq_u32 s3, 0
	s_mov_b32 s5, s2
	v_mov_b32_e32 v7, v1
	s_mov_b32 s6, s3
	s_cbranch_scc1 .LBB15_71
.LBB15_70:                              ;   Parent Loop BB15_69 Depth=1
                                        ; =>  This Inner Loop Header: Depth=2
	v_mov_b32_e32 v10, s5
	ds_read_b32 v12, v7
	ds_read2_b32 v[8:9], v10 offset1:12
	ds_read2_b32 v[10:11], v10 offset0:24 offset1:36
	s_add_i32 s6, s6, -1
	s_add_i32 s5, s5, 4
	v_add_u32_e32 v7, 48, v7
	s_cmp_eq_u32 s6, 0
	s_waitcnt lgkmcnt(1)
	v_fma_f32 v4, -v12, v8, v4
	v_fma_f32 v5, -v12, v9, v5
	s_waitcnt lgkmcnt(0)
	v_fma_f32 v2, -v12, v10, v2
	v_fma_f32 v3, -v12, v11, v3
	s_cbranch_scc0 .LBB15_70
.LBB15_71:                              ;   in Loop: Header=BB15_69 Depth=1
	s_mul_i32 s5, s3, 52
	v_mov_b32_e32 v7, s5
	ds_read_b32 v12, v7
	s_lshl_b32 s4, s4, 2
	s_lshl_b32 s5, s3, 2
	s_add_i32 s4, s4, s5
	v_mov_b32_e32 v13, s4
	s_waitcnt lgkmcnt(0)
	v_div_scale_f32 v14, s[4:5], v12, v12, v4
	v_div_scale_f32 v15, vcc, v4, v12, v4
	ds_read_b64 v[7:8], v13 offset:48
	ds_read_b96 v[9:11], v13 offset:96
	s_addk_i32 s2, 0xc0
	v_rcp_f32_e32 v16, v14
	v_fma_f32 v17, -v14, v16, 1.0
	v_fmac_f32_e32 v16, v17, v16
	v_mul_f32_e32 v17, v15, v16
	v_fma_f32 v18, -v14, v17, v15
	v_fmac_f32_e32 v17, v18, v16
	v_fma_f32 v14, -v14, v17, v15
	v_div_fmas_f32 v14, v14, v16, v17
	v_div_fixup_f32 v4, v14, v12, v4
	s_waitcnt lgkmcnt(1)
	v_fma_f32 v5, -v4, v7, v5
	v_div_scale_f32 v7, s[4:5], v8, v8, v5
	v_div_scale_f32 v12, vcc, v5, v8, v5
	s_waitcnt lgkmcnt(0)
	v_fma_f32 v2, -v4, v9, v2
	v_rcp_f32_e32 v14, v7
	v_fma_f32 v15, -v7, v14, 1.0
	v_fmac_f32_e32 v14, v15, v14
	v_mul_f32_e32 v15, v12, v14
	v_fma_f32 v16, -v7, v15, v12
	v_fmac_f32_e32 v15, v16, v14
	v_fma_f32 v7, -v7, v15, v12
	v_div_fmas_f32 v7, v7, v14, v15
	v_div_fixup_f32 v5, v7, v8, v5
	v_fma_f32 v2, -v5, v10, v2
	v_div_scale_f32 v7, s[4:5], v11, v11, v2
	v_div_scale_f32 v8, vcc, v2, v11, v2
	ds_write2_b32 v6, v4, v5 offset1:12
	v_rcp_f32_e32 v9, v7
	v_fma_f32 v10, -v7, v9, 1.0
	v_fmac_f32_e32 v9, v10, v9
	v_mul_f32_e32 v10, v8, v9
	v_fma_f32 v12, -v7, v10, v8
	v_fmac_f32_e32 v10, v12, v9
	v_fma_f32 v7, -v7, v10, v8
	v_div_fmas_f32 v12, v7, v9, v10
	ds_read_b128 v[7:10], v13 offset:144
	s_waitcnt lgkmcnt(0)
	v_fma_f32 v3, -v4, v7, v3
	v_fma_f32 v3, -v5, v8, v3
	v_div_fixup_f32 v2, v12, v11, v2
	v_fma_f32 v3, -v2, v9, v3
	v_div_scale_f32 v7, s[4:5], v10, v10, v3
	v_div_scale_f32 v8, vcc, v3, v10, v3
	s_add_i32 s4, s3, 4
	s_add_i32 s3, s3, 7
	s_cmp_ge_i32 s3, s18
	v_rcp_f32_e32 v9, v7
	v_fma_f32 v11, -v7, v9, 1.0
	v_fmac_f32_e32 v9, v11, v9
	v_mul_f32_e32 v11, v8, v9
	v_fma_f32 v12, -v7, v11, v8
	v_fmac_f32_e32 v11, v12, v9
	v_fma_f32 v7, -v7, v11, v8
	v_div_fmas_f32 v7, v7, v9, v11
	v_div_fixup_f32 v3, v7, v10, v3
	ds_write2_b32 v6, v2, v3 offset0:24 offset1:36
	s_cbranch_scc1 .LBB15_73
; %bb.72:                               ;   in Loop: Header=BB15_69 Depth=1
	s_mov_b32 s3, s4
	s_branch .LBB15_69
.LBB15_73:
	s_cmp_ge_i32 s4, s18
	s_cbranch_scc1 .LBB15_78
; %bb.74:
	v_mov_b32_e32 v2, 0x240
	v_lshl_or_b32 v4, v0, 2, v2
	s_mul_i32 s2, s4, 48
	s_branch .LBB15_76
.LBB15_75:                              ;   in Loop: Header=BB15_76 Depth=1
	s_mul_i32 s3, s4, 52
	v_mov_b32_e32 v5, s3
	ds_read_b32 v5, v5
	s_add_i32 s4, s4, 1
	s_add_i32 s2, s2, 48
	s_cmp_ge_i32 s4, s18
	s_waitcnt lgkmcnt(0)
	v_div_scale_f32 v6, s[6:7], v5, v5, v3
	v_div_scale_f32 v7, vcc, v3, v5, v3
	v_rcp_f32_e32 v8, v6
	v_fma_f32 v9, -v6, v8, 1.0
	v_fmac_f32_e32 v8, v9, v8
	v_mul_f32_e32 v9, v7, v8
	v_fma_f32 v10, -v6, v9, v7
	v_fmac_f32_e32 v9, v10, v8
	v_fma_f32 v6, -v6, v9, v7
	v_div_fmas_f32 v6, v6, v8, v9
	v_div_fixup_f32 v3, v6, v5, v3
	ds_write_b32 v2, v3
	s_cbranch_scc1 .LBB15_78
.LBB15_76:                              ; =>This Loop Header: Depth=1
                                        ;     Child Loop BB15_77 Depth 2
	v_mad_u64_u32 v[2:3], s[6:7], s4, 48, v[1:2]
	s_cmp_eq_u32 s4, 0
	s_mov_b32 s3, s2
	ds_read_b32 v3, v2
	v_mov_b32_e32 v5, v4
	s_mov_b32 s5, s4
	s_cbranch_scc1 .LBB15_75
.LBB15_77:                              ;   Parent Loop BB15_76 Depth=1
                                        ; =>  This Inner Loop Header: Depth=2
	v_mov_b32_e32 v7, s3
	ds_read_b32 v6, v5
	ds_read_b32 v7, v7
	s_add_i32 s5, s5, -1
	s_add_i32 s3, s3, 4
	v_add_u32_e32 v5, 48, v5
	s_cmp_eq_u32 s5, 0
	s_waitcnt lgkmcnt(0)
	v_fma_f32 v3, -v6, v7, v3
	s_cbranch_scc0 .LBB15_77
	s_branch .LBB15_75
.LBB15_78:
	s_and_saveexec_b64 s[2:3], s[0:1]
	s_cbranch_execz .LBB15_82
; %bb.79:
	s_cmp_lt_i32 s12, 1
	s_cbranch_scc1 .LBB15_82
; %bb.80:
	s_ashr_i32 s11, s10, 31
	v_lshlrev_b32_e32 v2, 2, v0
	v_mov_b32_e32 v1, s15
	v_add_co_u32_e32 v0, vcc, s14, v2
	s_lshl_b64 s[0:1], s[10:11], 2
	v_addc_co_u32_e32 v1, vcc, 0, v1, vcc
	v_or_b32_e32 v2, 0x240, v2
	v_mov_b32_e32 v3, s1
.LBB15_81:                              ; =>This Inner Loop Header: Depth=1
	ds_read_b32 v4, v2
	s_add_i32 s12, s12, -1
	v_add_u32_e32 v2, 48, v2
	s_cmp_lg_u32 s12, 0
	s_waitcnt lgkmcnt(0)
	global_store_dword v[0:1], v4, off
	v_add_co_u32_e32 v0, vcc, s0, v0
	v_addc_co_u32_e32 v1, vcc, v1, v3, vcc
	s_cbranch_scc1 .LBB15_81
.LBB15_82:
	s_endpgm
	.section	.rodata,"a",@progbits
	.p2align	6, 0x0
	.amdhsa_kernel _ZL31rocblas_trsm_small_right_deviceIffPKfPfLi12EEv13rocblas_fill_18rocblas_operation_17rocblas_diagonal_iiT0_T1_lilT2_lili
		.amdhsa_group_segment_fixed_size 1152
		.amdhsa_private_segment_fixed_size 0
		.amdhsa_kernarg_size 352
		.amdhsa_user_sgpr_count 6
		.amdhsa_user_sgpr_private_segment_buffer 1
		.amdhsa_user_sgpr_dispatch_ptr 0
		.amdhsa_user_sgpr_queue_ptr 0
		.amdhsa_user_sgpr_kernarg_segment_ptr 1
		.amdhsa_user_sgpr_dispatch_id 0
		.amdhsa_user_sgpr_flat_scratch_init 0
		.amdhsa_user_sgpr_private_segment_size 0
		.amdhsa_uses_dynamic_stack 0
		.amdhsa_system_sgpr_private_segment_wavefront_offset 0
		.amdhsa_system_sgpr_workgroup_id_x 1
		.amdhsa_system_sgpr_workgroup_id_y 0
		.amdhsa_system_sgpr_workgroup_id_z 1
		.amdhsa_system_sgpr_workgroup_info 0
		.amdhsa_system_vgpr_workitem_id 0
		.amdhsa_next_free_vgpr 23
		.amdhsa_next_free_sgpr 26
		.amdhsa_reserve_vcc 1
		.amdhsa_reserve_flat_scratch 0
		.amdhsa_float_round_mode_32 0
		.amdhsa_float_round_mode_16_64 0
		.amdhsa_float_denorm_mode_32 3
		.amdhsa_float_denorm_mode_16_64 3
		.amdhsa_dx10_clamp 1
		.amdhsa_ieee_mode 1
		.amdhsa_fp16_overflow 0
		.amdhsa_exception_fp_ieee_invalid_op 0
		.amdhsa_exception_fp_denorm_src 0
		.amdhsa_exception_fp_ieee_div_zero 0
		.amdhsa_exception_fp_ieee_overflow 0
		.amdhsa_exception_fp_ieee_underflow 0
		.amdhsa_exception_fp_ieee_inexact 0
		.amdhsa_exception_int_div_zero 0
	.end_amdhsa_kernel
	.section	.text._ZL31rocblas_trsm_small_right_deviceIffPKfPfLi12EEv13rocblas_fill_18rocblas_operation_17rocblas_diagonal_iiT0_T1_lilT2_lili,"axG",@progbits,_ZL31rocblas_trsm_small_right_deviceIffPKfPfLi12EEv13rocblas_fill_18rocblas_operation_17rocblas_diagonal_iiT0_T1_lilT2_lili,comdat
.Lfunc_end15:
	.size	_ZL31rocblas_trsm_small_right_deviceIffPKfPfLi12EEv13rocblas_fill_18rocblas_operation_17rocblas_diagonal_iiT0_T1_lilT2_lili, .Lfunc_end15-_ZL31rocblas_trsm_small_right_deviceIffPKfPfLi12EEv13rocblas_fill_18rocblas_operation_17rocblas_diagonal_iiT0_T1_lilT2_lili
                                        ; -- End function
	.set _ZL31rocblas_trsm_small_right_deviceIffPKfPfLi12EEv13rocblas_fill_18rocblas_operation_17rocblas_diagonal_iiT0_T1_lilT2_lili.num_vgpr, 23
	.set _ZL31rocblas_trsm_small_right_deviceIffPKfPfLi12EEv13rocblas_fill_18rocblas_operation_17rocblas_diagonal_iiT0_T1_lilT2_lili.num_agpr, 0
	.set _ZL31rocblas_trsm_small_right_deviceIffPKfPfLi12EEv13rocblas_fill_18rocblas_operation_17rocblas_diagonal_iiT0_T1_lilT2_lili.numbered_sgpr, 26
	.set _ZL31rocblas_trsm_small_right_deviceIffPKfPfLi12EEv13rocblas_fill_18rocblas_operation_17rocblas_diagonal_iiT0_T1_lilT2_lili.num_named_barrier, 0
	.set _ZL31rocblas_trsm_small_right_deviceIffPKfPfLi12EEv13rocblas_fill_18rocblas_operation_17rocblas_diagonal_iiT0_T1_lilT2_lili.private_seg_size, 0
	.set _ZL31rocblas_trsm_small_right_deviceIffPKfPfLi12EEv13rocblas_fill_18rocblas_operation_17rocblas_diagonal_iiT0_T1_lilT2_lili.uses_vcc, 1
	.set _ZL31rocblas_trsm_small_right_deviceIffPKfPfLi12EEv13rocblas_fill_18rocblas_operation_17rocblas_diagonal_iiT0_T1_lilT2_lili.uses_flat_scratch, 0
	.set _ZL31rocblas_trsm_small_right_deviceIffPKfPfLi12EEv13rocblas_fill_18rocblas_operation_17rocblas_diagonal_iiT0_T1_lilT2_lili.has_dyn_sized_stack, 0
	.set _ZL31rocblas_trsm_small_right_deviceIffPKfPfLi12EEv13rocblas_fill_18rocblas_operation_17rocblas_diagonal_iiT0_T1_lilT2_lili.has_recursion, 0
	.set _ZL31rocblas_trsm_small_right_deviceIffPKfPfLi12EEv13rocblas_fill_18rocblas_operation_17rocblas_diagonal_iiT0_T1_lilT2_lili.has_indirect_call, 0
	.section	.AMDGPU.csdata,"",@progbits
; Kernel info:
; codeLenInByte = 5372
; TotalNumSgprs: 30
; NumVgprs: 23
; ScratchSize: 0
; MemoryBound: 0
; FloatMode: 240
; IeeeMode: 1
; LDSByteSize: 1152 bytes/workgroup (compile time only)
; SGPRBlocks: 3
; VGPRBlocks: 5
; NumSGPRsForWavesPerEU: 30
; NumVGPRsForWavesPerEU: 23
; Occupancy: 10
; WaveLimiterHint : 0
; COMPUTE_PGM_RSRC2:SCRATCH_EN: 0
; COMPUTE_PGM_RSRC2:USER_SGPR: 6
; COMPUTE_PGM_RSRC2:TRAP_HANDLER: 0
; COMPUTE_PGM_RSRC2:TGID_X_EN: 1
; COMPUTE_PGM_RSRC2:TGID_Y_EN: 0
; COMPUTE_PGM_RSRC2:TGID_Z_EN: 1
; COMPUTE_PGM_RSRC2:TIDIG_COMP_CNT: 0
	.section	.text._ZL38rocblas_trsm_small_left_device_sharedBILi16ELi16ELb0EffPKfPfEv13rocblas_fill_18rocblas_operation_17rocblas_diagonal_iiT3_T4_lilT5_lili,"axG",@progbits,_ZL38rocblas_trsm_small_left_device_sharedBILi16ELi16ELb0EffPKfPfEv13rocblas_fill_18rocblas_operation_17rocblas_diagonal_iiT3_T4_lilT5_lili,comdat
	.globl	_ZL38rocblas_trsm_small_left_device_sharedBILi16ELi16ELb0EffPKfPfEv13rocblas_fill_18rocblas_operation_17rocblas_diagonal_iiT3_T4_lilT5_lili ; -- Begin function _ZL38rocblas_trsm_small_left_device_sharedBILi16ELi16ELb0EffPKfPfEv13rocblas_fill_18rocblas_operation_17rocblas_diagonal_iiT3_T4_lilT5_lili
	.p2align	8
	.type	_ZL38rocblas_trsm_small_left_device_sharedBILi16ELi16ELb0EffPKfPfEv13rocblas_fill_18rocblas_operation_17rocblas_diagonal_iiT3_T4_lilT5_lili,@function
_ZL38rocblas_trsm_small_left_device_sharedBILi16ELi16ELb0EffPKfPfEv13rocblas_fill_18rocblas_operation_17rocblas_diagonal_iiT3_T4_lilT5_lili: ; @_ZL38rocblas_trsm_small_left_device_sharedBILi16ELi16ELb0EffPKfPfEv13rocblas_fill_18rocblas_operation_17rocblas_diagonal_iiT3_T4_lilT5_lili
; %bb.0:
	s_load_dwordx4 s[8:11], s[4:5], 0x4
	s_load_dword s17, s[4:5], 0x14
	s_load_dwordx4 s[0:3], s[4:5], 0x30
	s_load_dwordx2 s[12:13], s[4:5], 0x40
	s_waitcnt lgkmcnt(0)
	s_min_i32 s16, s10, 16
	v_cmp_gt_i32_e32 vcc, s16, v0
	s_and_saveexec_b64 s[14:15], vcc
	s_cbranch_execz .LBB16_6
; %bb.1:
	s_load_dword s18, s[4:5], 0x28
	s_load_dwordx4 s[20:23], s[4:5], 0x18
	s_mul_i32 s1, s1, s7
	s_mul_hi_u32 s19, s0, s7
	s_add_i32 s1, s19, s1
	s_mul_i32 s0, s0, s7
	s_waitcnt lgkmcnt(0)
	s_ashr_i32 s19, s18, 31
	s_lshl_b64 s[0:1], s[0:1], 2
	s_add_u32 s20, s20, s0
	s_addc_u32 s21, s21, s1
	s_lshl_b64 s[0:1], s[22:23], 2
	s_add_u32 s0, s20, s0
	s_addc_u32 s1, s21, s1
	v_lshlrev_b32_e32 v3, 2, v0
	v_mov_b32_e32 v2, s1
	v_add_co_u32_e32 v1, vcc, s0, v3
	s_lshl_b64 s[0:1], s[18:19], 2
	v_addc_co_u32_e32 v2, vcc, 0, v2, vcc
	v_mov_b32_e32 v4, s1
	v_mov_b32_e32 v5, v3
	s_mov_b32 s1, s16
.LBB16_2:                               ; =>This Inner Loop Header: Depth=1
	global_load_dword v6, v[1:2], off
	v_add_co_u32_e32 v1, vcc, s0, v1
	s_add_i32 s1, s1, -1
	v_addc_co_u32_e32 v2, vcc, v2, v4, vcc
	s_cmp_eq_u32 s1, 0
	s_waitcnt vmcnt(0)
	ds_write_b32 v5, v6
	v_add_u32_e32 v5, 64, v5
	s_cbranch_scc0 .LBB16_2
; %bb.3:
	v_lshlrev_b32_e32 v1, 6, v0
	s_cmpk_lg_i32 s9, 0x84
	v_mov_b32_e32 v2, 1.0
	v_add_u32_e32 v1, v3, v1
	s_cbranch_scc0 .LBB16_5
; %bb.4:
	ds_read_b32 v2, v1
	s_waitcnt lgkmcnt(0)
	v_div_scale_f32 v3, s[0:1], v2, v2, 1.0
	v_div_scale_f32 v4, vcc, 1.0, v2, 1.0
	v_rcp_f32_e32 v5, v3
	v_fma_f32 v6, -v3, v5, 1.0
	v_fmac_f32_e32 v5, v6, v5
	v_mul_f32_e32 v6, v4, v5
	v_fma_f32 v7, -v3, v6, v4
	v_fmac_f32_e32 v6, v7, v5
	v_fma_f32 v3, -v3, v6, v4
	v_div_fmas_f32 v3, v3, v5, v6
	v_div_fixup_f32 v2, v3, v2, 1.0
.LBB16_5:
	ds_write_b32 v1, v2
.LBB16_6:
	s_or_b64 exec, exec, s[14:15]
	s_load_dword s0, s[4:5], 0x60
	s_load_dwordx2 s[14:15], s[4:5], 0x50
	s_load_dword s9, s[4:5], 0x48
	s_waitcnt lgkmcnt(0)
	s_mul_i32 s1, s15, s7
	s_mul_hi_u32 s5, s14, s7
	s_mul_i32 s4, s14, s7
	s_add_i32 s5, s5, s1
	s_lshl_b64 s[4:5], s[4:5], 2
	s_add_u32 s1, s2, s4
	s_addc_u32 s4, s3, s5
	s_lshl_b64 s[2:3], s[12:13], 2
	s_add_u32 s2, s1, s2
	s_addc_u32 s3, s4, s3
	s_lshl_b32 s4, s6, 4
	s_add_i32 s0, s0, -1
	s_sub_i32 s1, s11, s4
	s_cmp_ge_u32 s6, s0
	s_cselect_b32 s5, s1, 16
	s_mul_hi_i32 s1, s9, s4
	s_mul_i32 s0, s9, s4
	s_lshl_b64 s[0:1], s[0:1], 2
	s_add_u32 s6, s2, s0
	s_addc_u32 s7, s3, s1
	s_cmp_gt_i32 s10, 0
	v_cmp_gt_i32_e64 s[0:1], s5, v0
	s_cselect_b64 s[2:3], -1, 0
	s_and_b64 s[12:13], s[0:1], s[2:3]
	s_and_saveexec_b64 s[4:5], s[12:13]
	s_cbranch_execz .LBB16_9
; %bb.7:
	v_mad_i64_i32 v[1:2], s[12:13], s9, v0, 0
	v_mov_b32_e32 v3, s7
	s_mov_b32 s11, s16
	v_lshlrev_b64 v[1:2], 2, v[1:2]
	v_add_co_u32_e32 v1, vcc, s6, v1
	v_addc_co_u32_e32 v2, vcc, v3, v2, vcc
	v_mov_b32_e32 v3, 0x400
	v_lshl_or_b32 v3, v0, 2, v3
.LBB16_8:                               ; =>This Inner Loop Header: Depth=1
	global_load_dword v4, v[1:2], off
	s_add_i32 s11, s11, -1
	v_add_co_u32_e32 v1, vcc, 4, v1
	v_addc_co_u32_e32 v2, vcc, 0, v2, vcc
	s_cmp_lg_u32 s11, 0
	s_waitcnt vmcnt(0)
	v_mul_f32_e32 v4, s17, v4
	ds_write_b32 v3, v4
	v_add_u32_e32 v3, 64, v3
	s_cbranch_scc1 .LBB16_8
.LBB16_9:
	s_or_b64 exec, exec, s[4:5]
	v_mov_b32_e32 v1, 0x400
	s_cmpk_eq_i32 s8, 0x6f
	v_lshl_or_b32 v11, v0, 2, v1
	s_mov_b64 s[4:5], -1
	s_waitcnt lgkmcnt(0)
	; wave barrier
	s_cbranch_scc1 .LBB16_24
; %bb.10:
	s_cmp_gt_i32 s10, 15
	s_cselect_b64 s[4:5], -1, 0
	s_and_b64 vcc, exec, s[4:5]
	s_cbranch_vccz .LBB16_12
; %bb.11:
	v_mov_b32_e32 v24, 0
	ds_read2_b32 v[1:2], v11 offset1:16
	ds_read2_b32 v[8:9], v11 offset0:32 offset1:48
	ds_read2_b32 v[12:13], v11 offset0:64 offset1:80
	;; [unrolled: 1-line block ×5, first 2 shown]
	ds_read_b32 v10, v24
	ds_read_b64 v[3:4], v24 offset:64
	ds_read2_b32 v[20:21], v11 offset0:192 offset1:208
	ds_read2_b32 v[22:23], v11 offset0:224 offset1:240
	ds_read_b96 v[5:7], v24 offset:128
	s_waitcnt lgkmcnt(4)
	v_mul_f32_e32 v25, v1, v10
	s_waitcnt lgkmcnt(3)
	v_fma_f32 v1, -v25, v3, v2
	v_mul_f32_e32 v26, v1, v4
	ds_read_b128 v[1:4], v24 offset:192
	s_waitcnt lgkmcnt(1)
	v_fma_f32 v5, -v25, v5, v8
	v_fma_f32 v5, -v26, v6, v5
	v_mul_f32_e32 v27, v5, v7
	ds_read_b128 v[5:8], v24 offset:256
	s_waitcnt lgkmcnt(1)
	v_fma_f32 v1, -v25, v1, v9
	v_fma_f32 v1, -v26, v2, v1
	;; [unrolled: 1-line block ×3, first 2 shown]
	v_mul_f32_e32 v28, v1, v4
	ds_write2_b32 v11, v25, v26 offset1:16
	ds_write2_b32 v11, v27, v28 offset0:32 offset1:48
	s_waitcnt lgkmcnt(2)
	v_fma_f32 v5, -v25, v5, v12
	ds_read_b32 v9, v24 offset:272
	ds_read_b128 v[1:4], v24 offset:320
	v_fma_f32 v5, -v26, v6, v5
	v_fma_f32 v5, -v27, v7, v5
	;; [unrolled: 1-line block ×3, first 2 shown]
	s_waitcnt lgkmcnt(1)
	v_mul_f32_e32 v29, v5, v9
	ds_read_b64 v[9:10], v24 offset:336
	ds_read_b128 v[5:8], v24 offset:384
	s_waitcnt lgkmcnt(2)
	v_fma_f32 v1, -v25, v1, v13
	v_fma_f32 v1, -v26, v2, v1
	;; [unrolled: 1-line block ×4, first 2 shown]
	s_waitcnt lgkmcnt(1)
	v_fma_f32 v1, -v29, v9, v1
	v_mul_f32_e32 v30, v1, v10
	s_waitcnt lgkmcnt(0)
	v_fma_f32 v1, -v25, v5, v14
	ds_read_b96 v[12:14], v24 offset:400
	v_fma_f32 v1, -v26, v6, v1
	v_fma_f32 v5, -v27, v7, v1
	ds_read_b128 v[1:4], v24 offset:448
	v_fma_f32 v5, -v28, v8, v5
	s_waitcnt lgkmcnt(1)
	v_fma_f32 v5, -v29, v12, v5
	v_fma_f32 v5, -v30, v13, v5
	v_mul_f32_e32 v31, v5, v14
	ds_read_b128 v[5:8], v24 offset:464
	s_waitcnt lgkmcnt(1)
	v_fma_f32 v1, -v25, v1, v15
	v_fma_f32 v1, -v26, v2, v1
	;; [unrolled: 1-line block ×4, first 2 shown]
	ds_read_b128 v[1:4], v24 offset:512
	s_waitcnt lgkmcnt(1)
	v_fma_f32 v5, -v29, v5, v9
	v_fma_f32 v5, -v30, v6, v5
	;; [unrolled: 1-line block ×3, first 2 shown]
	v_mul_f32_e32 v32, v5, v8
	ds_write2_b32 v11, v29, v30 offset0:64 offset1:80
	ds_write2_b32 v11, v31, v32 offset0:96 offset1:112
	ds_read_b128 v[5:8], v24 offset:528
	ds_read_b32 v9, v24 offset:544
	s_waitcnt lgkmcnt(4)
	v_fma_f32 v1, -v25, v1, v16
	v_fma_f32 v1, -v26, v2, v1
	;; [unrolled: 1-line block ×4, first 2 shown]
	s_waitcnt lgkmcnt(1)
	v_fma_f32 v1, -v29, v5, v1
	v_fma_f32 v5, -v30, v6, v1
	ds_read_b128 v[1:4], v24 offset:576
	v_fma_f32 v5, -v31, v7, v5
	v_fma_f32 v5, -v32, v8, v5
	s_waitcnt lgkmcnt(1)
	v_mul_f32_e32 v16, v5, v9
	ds_read_b128 v[5:8], v24 offset:592
	s_waitcnt lgkmcnt(1)
	v_fma_f32 v1, -v25, v1, v17
	v_fma_f32 v1, -v26, v2, v1
	;; [unrolled: 1-line block ×4, first 2 shown]
	s_waitcnt lgkmcnt(0)
	v_fma_f32 v1, -v29, v5, v1
	ds_read_b64 v[9:10], v24 offset:608
	v_fma_f32 v1, -v30, v6, v1
	v_fma_f32 v5, -v31, v7, v1
	ds_read_b128 v[1:4], v24 offset:640
	v_fma_f32 v5, -v32, v8, v5
	s_waitcnt lgkmcnt(1)
	v_fma_f32 v5, -v16, v9, v5
	v_mul_f32_e32 v17, v5, v10
	ds_read_b128 v[5:8], v24 offset:656
	ds_read_b96 v[12:14], v24 offset:672
	s_waitcnt lgkmcnt(2)
	v_fma_f32 v1, -v25, v1, v18
	v_fma_f32 v1, -v26, v2, v1
	;; [unrolled: 1-line block ×4, first 2 shown]
	s_waitcnt lgkmcnt(1)
	v_fma_f32 v1, -v29, v5, v1
	v_fma_f32 v1, -v30, v6, v1
	;; [unrolled: 1-line block ×4, first 2 shown]
	ds_read_b128 v[1:4], v24 offset:704
	s_waitcnt lgkmcnt(1)
	v_fma_f32 v5, -v16, v12, v5
	v_fma_f32 v5, -v17, v13, v5
	v_mul_f32_e32 v18, v5, v14
	ds_read_b128 v[5:8], v24 offset:720
	s_waitcnt lgkmcnt(1)
	v_fma_f32 v1, -v25, v1, v19
	v_fma_f32 v1, -v26, v2, v1
	v_fma_f32 v1, -v27, v3, v1
	v_fma_f32 v1, -v28, v4, v1
	s_waitcnt lgkmcnt(0)
	v_fma_f32 v5, -v29, v5, v1
	ds_read_b128 v[1:4], v24 offset:736
	v_fma_f32 v5, -v30, v6, v5
	v_fma_f32 v5, -v31, v7, v5
	;; [unrolled: 1-line block ×3, first 2 shown]
	ds_read_b128 v[5:8], v24 offset:768
	s_waitcnt lgkmcnt(1)
	v_fma_f32 v1, -v16, v1, v9
	v_fma_f32 v1, -v17, v2, v1
	;; [unrolled: 1-line block ×3, first 2 shown]
	v_mul_f32_e32 v19, v1, v4
	ds_write2_b32 v11, v16, v17 offset0:128 offset1:144
	ds_write2_b32 v11, v18, v19 offset0:160 offset1:176
	ds_read_b128 v[1:4], v24 offset:784
	ds_read_b128 v[12:15], v24 offset:800
	s_waitcnt lgkmcnt(4)
	v_fma_f32 v5, -v25, v5, v20
	v_fma_f32 v5, -v26, v6, v5
	;; [unrolled: 1-line block ×4, first 2 shown]
	s_waitcnt lgkmcnt(1)
	v_fma_f32 v1, -v29, v1, v5
	v_fma_f32 v1, -v30, v2, v1
	;; [unrolled: 1-line block ×4, first 2 shown]
	s_waitcnt lgkmcnt(0)
	v_fma_f32 v5, -v16, v12, v1
	ds_read_b32 v6, v24 offset:816
	ds_read_b128 v[1:4], v24 offset:832
	v_fma_f32 v5, -v17, v13, v5
	v_fma_f32 v5, -v18, v14, v5
	;; [unrolled: 1-line block ×3, first 2 shown]
	s_waitcnt lgkmcnt(1)
	v_mul_f32_e32 v15, v5, v6
	ds_read_b128 v[5:8], v24 offset:848
	s_waitcnt lgkmcnt(1)
	v_fma_f32 v1, -v25, v1, v21
	v_fma_f32 v1, -v26, v2, v1
	;; [unrolled: 1-line block ×4, first 2 shown]
	ds_read_b128 v[1:4], v24 offset:864
	s_waitcnt lgkmcnt(1)
	v_fma_f32 v5, -v29, v5, v9
	v_fma_f32 v5, -v30, v6, v5
	;; [unrolled: 1-line block ×4, first 2 shown]
	ds_read_b64 v[9:10], v24 offset:880
	s_waitcnt lgkmcnt(1)
	v_fma_f32 v1, -v16, v1, v5
	v_fma_f32 v1, -v17, v2, v1
	ds_read_b128 v[5:8], v24 offset:896
	v_fma_f32 v1, -v18, v3, v1
	v_fma_f32 v1, -v19, v4, v1
	s_waitcnt lgkmcnt(1)
	v_fma_f32 v1, -v15, v9, v1
	v_mul_f32_e32 v9, v1, v10
	ds_read_b128 v[1:4], v24 offset:912
	s_waitcnt lgkmcnt(1)
	v_fma_f32 v5, -v25, v5, v22
	v_fma_f32 v5, -v26, v6, v5
	;; [unrolled: 1-line block ×4, first 2 shown]
	ds_read_b128 v[5:8], v24 offset:928
	s_waitcnt lgkmcnt(1)
	v_fma_f32 v1, -v29, v1, v10
	v_fma_f32 v1, -v30, v2, v1
	;; [unrolled: 1-line block ×4, first 2 shown]
	ds_read_b96 v[12:14], v24 offset:944
	s_waitcnt lgkmcnt(1)
	v_fma_f32 v1, -v16, v5, v1
	v_fma_f32 v1, -v17, v6, v1
	;; [unrolled: 1-line block ×3, first 2 shown]
	ds_read_b128 v[1:4], v24 offset:960
	v_fma_f32 v5, -v19, v8, v5
	s_waitcnt lgkmcnt(1)
	v_fma_f32 v5, -v15, v12, v5
	v_fma_f32 v5, -v9, v13, v5
	v_mul_f32_e32 v10, v5, v14
	ds_read_b128 v[5:8], v24 offset:976
	s_waitcnt lgkmcnt(1)
	v_fma_f32 v1, -v25, v1, v23
	v_fma_f32 v1, -v26, v2, v1
	v_fma_f32 v1, -v27, v3, v1
	v_fma_f32 v12, -v28, v4, v1
	ds_read_b128 v[1:4], v24 offset:992
	s_waitcnt lgkmcnt(1)
	v_fma_f32 v5, -v29, v5, v12
	v_fma_f32 v5, -v30, v6, v5
	v_fma_f32 v5, -v31, v7, v5
	v_fma_f32 v12, -v32, v8, v5
	;; [unrolled: 6-line block ×3, first 2 shown]
	s_waitcnt lgkmcnt(0)
	v_fma_f32 v1, -v15, v5, v1
	v_fma_f32 v1, -v9, v6, v1
	;; [unrolled: 1-line block ×3, first 2 shown]
	v_mul_f32_e32 v1, v1, v8
	s_mov_b32 s8, 16
	ds_write2_b32 v11, v15, v9 offset0:192 offset1:208
	ds_write2_b32 v11, v10, v1 offset0:224 offset1:240
	s_cmp_lt_i32 s8, s16
	s_cbranch_scc1 .LBB16_13
	s_branch .LBB16_23
.LBB16_12:
	s_mov_b32 s8, 0
	s_cmp_lt_i32 s8, s16
	s_cbranch_scc0 .LBB16_23
.LBB16_13:
	s_or_b32 s12, s8, 11
	s_cmp_ge_u32 s12, s16
	s_cbranch_scc1 .LBB16_18
; %bb.14:
	s_lshl_b32 s11, s8, 6
	v_add_u32_e32 v15, s11, v11
	ds_read2_b32 v[9:10], v15 offset1:16
	ds_read2_b32 v[7:8], v15 offset0:32 offset1:48
	ds_read2_b32 v[5:6], v15 offset0:64 offset1:80
	;; [unrolled: 1-line block ×4, first 2 shown]
	s_lshl_b32 s12, s12, 6
	v_add_u32_e32 v12, s12, v11
	ds_read_b32 v14, v15 offset:640
	ds_read_b32 v13, v12
	s_andn2_b64 vcc, exec, s[4:5]
	s_cbranch_vccnz .LBB16_17
; %bb.15:
	v_mov_b32_e32 v16, 0x400
	v_lshl_or_b32 v16, v0, 2, v16
	s_mov_b32 s4, s8
	s_mov_b32 s5, s11
.LBB16_16:                              ; =>This Inner Loop Header: Depth=1
	ds_read2_b32 v[45:46], v16 offset1:16
	v_mov_b32_e32 v41, s5
	ds_read2_b32 v[47:48], v16 offset0:32 offset1:48
	ds_read_b128 v[17:20], v41
	ds_read_b128 v[21:24], v41 offset:64
	ds_read_b128 v[25:28], v41 offset:128
	;; [unrolled: 1-line block ×5, first 2 shown]
	s_add_i32 s5, s5, 16
	s_add_i32 s4, s4, -4
	s_waitcnt lgkmcnt(5)
	v_fma_f32 v9, -v45, v17, v9
	s_waitcnt lgkmcnt(4)
	v_fma_f32 v10, -v45, v21, v10
	;; [unrolled: 2-line block ×5, first 2 shown]
	v_fma_f32 v9, -v46, v18, v9
	v_fma_f32 v10, -v46, v22, v10
	v_fma_f32 v7, -v46, v26, v7
	v_fma_f32 v8, -v46, v30, v8
	v_fma_f32 v5, -v46, v34, v5
	v_fma_f32 v9, -v47, v19, v9
	v_fma_f32 v10, -v47, v23, v10
	v_fma_f32 v7, -v47, v27, v7
	v_fma_f32 v8, -v47, v31, v8
	v_fma_f32 v5, -v47, v35, v5
	v_fma_f32 v9, -v48, v20, v9
	ds_read_b128 v[17:20], v41 offset:384
	v_fma_f32 v10, -v48, v24, v10
	ds_read_b128 v[21:24], v41 offset:512
	v_fma_f32 v7, -v48, v28, v7
	;; [unrolled: 2-line block ×4, first 2 shown]
	ds_read_b128 v[33:36], v41 offset:640
	ds_read_b128 v[41:44], v41 offset:704
	s_waitcnt lgkmcnt(5)
	v_fma_f32 v1, -v45, v17, v1
	s_waitcnt lgkmcnt(4)
	v_fma_f32 v3, -v45, v21, v3
	;; [unrolled: 2-line block ×6, first 2 shown]
	v_fma_f32 v6, -v45, v37, v6
	v_fma_f32 v6, -v46, v38, v6
	;; [unrolled: 1-line block ×15, first 2 shown]
	v_add_u32_e32 v16, 0x100, v16
	s_cmp_lg_u32 s4, 0
	v_fma_f32 v6, -v48, v40, v6
	v_fma_f32 v1, -v48, v20, v1
	;; [unrolled: 1-line block ×7, first 2 shown]
	s_cbranch_scc1 .LBB16_16
.LBB16_17:
	s_lshl_b32 s4, s8, 2
	s_add_i32 s5, s4, s11
	v_mov_b32_e32 v20, s5
	ds_read2_b32 v[22:23], v20 offset1:68
	s_or_b32 s5, s11, 64
	s_add_i32 s13, s4, s5
	v_mov_b32_e32 v16, s13
	s_or_b32 s13, s11, 0x80
	ds_read_b64 v[18:19], v16
	s_waitcnt lgkmcnt(1)
	v_mul_f32_e32 v24, v9, v22
	s_add_i32 s14, s4, s13
	ds_write_b32 v15, v24
	v_mov_b32_e32 v9, s14
	ds_read_b96 v[15:17], v9
	ds_read_b32 v25, v20 offset:544
	s_waitcnt lgkmcnt(3)
	v_fma_f32 v9, -v24, v18, v10
	v_mul_f32_e32 v26, v9, v19
	v_add_u32_e32 v9, s5, v11
	s_waitcnt lgkmcnt(1)
	v_fma_f32 v7, -v24, v15, v7
	v_fma_f32 v7, -v26, v16, v7
	s_or_b32 s5, s11, 0xc0
	v_mul_f32_e32 v27, v7, v17
	v_add_u32_e32 v7, s13, v11
	s_add_i32 s13, s4, s5
	ds_write_b32 v7, v27
	v_mov_b32_e32 v7, s13
	ds_read_b128 v[15:18], v7
	s_or_b32 s13, s11, 0x100
	s_add_i32 s14, s4, s13
	v_mov_b32_e32 v7, s14
	ds_read_b128 v[19:22], v7
	s_waitcnt lgkmcnt(1)
	v_fma_f32 v7, -v24, v15, v8
	v_fma_f32 v7, -v26, v16, v7
	v_fma_f32 v7, -v27, v17, v7
	v_mul_f32_e32 v28, v7, v18
	v_add_u32_e32 v7, s5, v11
	s_or_b32 s5, s11, 0x140
	s_add_i32 s14, s4, s5
	v_mov_b32_e32 v15, s14
	ds_write_b32 v9, v26
	ds_write_b32 v7, v28
	s_waitcnt lgkmcnt(2)
	v_fma_f32 v5, -v24, v19, v5
	ds_read_b128 v[7:10], v15
	v_fma_f32 v5, -v26, v20, v5
	v_fma_f32 v5, -v27, v21, v5
	;; [unrolled: 1-line block ×3, first 2 shown]
	v_mul_f32_e32 v19, v5, v23
	v_add_u32_e32 v5, s13, v11
	ds_read_b64 v[15:16], v15 offset:16
	ds_write_b32 v5, v19
	s_waitcnt lgkmcnt(2)
	v_fma_f32 v5, -v24, v7, v6
	v_fma_f32 v5, -v26, v8, v5
	s_or_b32 s13, s11, 0x180
	v_fma_f32 v5, -v27, v9, v5
	s_add_i32 s14, s4, s13
	v_fma_f32 v5, -v28, v10, v5
	v_mov_b32_e32 v10, s14
	s_waitcnt lgkmcnt(1)
	v_fma_f32 v9, -v19, v15, v5
	ds_read_b128 v[5:8], v10
	v_mul_f32_e32 v20, v9, v16
	v_add_u32_e32 v9, s5, v11
	ds_read_b96 v[15:17], v10 offset:16
	s_or_b32 s5, s11, 0x1c0
	s_waitcnt lgkmcnt(1)
	v_fma_f32 v1, -v24, v5, v1
	v_fma_f32 v1, -v26, v6, v1
	s_add_i32 s14, s4, s5
	ds_write_b32 v9, v20
	v_fma_f32 v1, -v27, v7, v1
	v_mov_b32_e32 v9, s14
	v_fma_f32 v1, -v28, v8, v1
	ds_read_b128 v[5:8], v9
	s_waitcnt lgkmcnt(2)
	v_fma_f32 v1, -v19, v15, v1
	v_fma_f32 v1, -v20, v16, v1
	v_mul_f32_e32 v21, v1, v17
	v_add_u32_e32 v1, s13, v11
	ds_read_b128 v[15:18], v9 offset:16
	ds_write_b32 v1, v21
	s_waitcnt lgkmcnt(2)
	v_fma_f32 v1, -v24, v5, v2
	s_or_b32 s13, s11, 0x200
	v_fma_f32 v1, -v26, v6, v1
	s_add_i32 s14, s4, s13
	v_fma_f32 v1, -v27, v7, v1
	v_mov_b32_e32 v2, s14
	v_fma_f32 v1, -v28, v8, v1
	ds_read_b128 v[5:8], v2
	s_waitcnt lgkmcnt(2)
	v_fma_f32 v1, -v19, v15, v1
	v_fma_f32 v1, -v20, v16, v1
	;; [unrolled: 1-line block ×3, first 2 shown]
	v_mul_f32_e32 v22, v1, v18
	v_add_u32_e32 v1, s5, v11
	ds_read_b128 v[15:18], v2 offset:16
	ds_write_b32 v1, v22
	s_waitcnt lgkmcnt(2)
	v_fma_f32 v1, -v24, v5, v3
	v_fma_f32 v1, -v26, v6, v1
	;; [unrolled: 1-line block ×4, first 2 shown]
	s_waitcnt lgkmcnt(1)
	v_fma_f32 v1, -v19, v15, v1
	v_fma_f32 v1, -v20, v16, v1
	;; [unrolled: 1-line block ×3, first 2 shown]
	s_or_b32 s5, s11, 0x240
	v_fma_f32 v1, -v22, v18, v1
	s_add_i32 s14, s4, s5
	v_mul_f32_e32 v23, v1, v25
	v_mov_b32_e32 v1, s14
	ds_read_b128 v[5:8], v1
	v_add_u32_e32 v2, s13, v11
	ds_write_b32 v2, v23
	ds_read_b128 v[15:18], v1 offset:16
	ds_read_b64 v[9:10], v1 offset:32
	s_or_b32 s11, s11, 0x280
	s_waitcnt lgkmcnt(3)
	v_fma_f32 v1, -v24, v5, v4
	v_fma_f32 v1, -v26, v6, v1
	;; [unrolled: 1-line block ×4, first 2 shown]
	s_waitcnt lgkmcnt(1)
	v_fma_f32 v1, -v19, v15, v1
	v_fma_f32 v1, -v20, v16, v1
	s_add_i32 s13, s4, s11
	v_fma_f32 v1, -v21, v17, v1
	v_mov_b32_e32 v15, s13
	v_fma_f32 v5, -v22, v18, v1
	ds_read_b128 v[1:4], v15
	s_waitcnt lgkmcnt(1)
	v_fma_f32 v5, -v23, v9, v5
	v_mul_f32_e32 v9, v5, v10
	v_add_u32_e32 v5, s5, v11
	ds_write_b32 v5, v9
	ds_read_b128 v[5:8], v15 offset:16
	ds_read_b96 v[15:17], v15 offset:32
	s_waitcnt lgkmcnt(3)
	v_fma_f32 v1, -v24, v1, v14
	v_fma_f32 v1, -v26, v2, v1
	;; [unrolled: 1-line block ×4, first 2 shown]
	s_waitcnt lgkmcnt(1)
	v_fma_f32 v1, -v19, v5, v1
	v_fma_f32 v1, -v20, v6, v1
	;; [unrolled: 1-line block ×4, first 2 shown]
	s_waitcnt lgkmcnt(0)
	v_fma_f32 v1, -v23, v15, v1
	s_add_i32 s4, s4, s12
	v_fma_f32 v1, -v9, v16, v1
	v_mov_b32_e32 v14, s4
	v_mul_f32_e32 v10, v1, v17
	ds_read_b128 v[1:4], v14
	v_add_u32_e32 v5, s11, v11
	ds_write_b32 v5, v10
	ds_read_b128 v[5:8], v14 offset:16
	ds_read_b128 v[14:17], v14 offset:32
	s_or_b32 s8, s8, 12
	s_waitcnt lgkmcnt(3)
	v_fma_f32 v1, -v24, v1, v13
	v_fma_f32 v1, -v26, v2, v1
	;; [unrolled: 1-line block ×4, first 2 shown]
	s_waitcnt lgkmcnt(1)
	v_fma_f32 v1, -v19, v5, v1
	v_fma_f32 v1, -v20, v6, v1
	v_fma_f32 v1, -v21, v7, v1
	v_fma_f32 v1, -v22, v8, v1
	s_waitcnt lgkmcnt(0)
	v_fma_f32 v1, -v23, v14, v1
	v_fma_f32 v1, -v9, v15, v1
	;; [unrolled: 1-line block ×3, first 2 shown]
	v_mul_f32_e32 v1, v1, v17
	ds_write_b32 v12, v1
.LBB16_18:
	s_cmp_ge_i32 s8, s16
	s_cbranch_scc1 .LBB16_23
; %bb.19:
	v_mov_b32_e32 v1, 0x400
	s_lshl_b32 s4, s8, 6
	v_lshl_or_b32 v1, v0, 2, v1
	s_branch .LBB16_21
.LBB16_20:                              ;   in Loop: Header=BB16_21 Depth=1
	s_mul_i32 s5, s8, 0x44
	v_mov_b32_e32 v4, s5
	ds_read_b32 v4, v4
	s_add_i32 s8, s8, 1
	s_add_i32 s4, s4, 64
	s_cmp_ge_i32 s8, s16
	s_waitcnt lgkmcnt(0)
	v_mul_f32_e32 v3, v3, v4
	ds_write_b32 v2, v3
	s_cbranch_scc1 .LBB16_23
.LBB16_21:                              ; =>This Loop Header: Depth=1
                                        ;     Child Loop BB16_22 Depth 2
	s_lshl_b32 s5, s8, 6
	v_add_u32_e32 v2, s5, v11
	ds_read_b32 v3, v2
	s_cmp_eq_u32 s8, 0
	v_mov_b32_e32 v4, v1
	s_mov_b32 s5, s8
	s_mov_b32 s11, s4
	s_cbranch_scc1 .LBB16_20
.LBB16_22:                              ;   Parent Loop BB16_21 Depth=1
                                        ; =>  This Inner Loop Header: Depth=2
	v_mov_b32_e32 v6, s11
	ds_read_b32 v5, v4
	ds_read_b32 v6, v6
	s_add_i32 s11, s11, 4
	s_add_i32 s5, s5, -1
	v_add_u32_e32 v4, 64, v4
	s_cmp_lg_u32 s5, 0
	s_waitcnt lgkmcnt(0)
	v_fma_f32 v3, -v5, v6, v3
	s_cbranch_scc1 .LBB16_22
	s_branch .LBB16_20
.LBB16_23:
	s_mov_b64 s[4:5], 0
.LBB16_24:
	s_and_b64 vcc, exec, s[4:5]
	s_cbranch_vccz .LBB16_50
; %bb.25:
	s_add_i32 s4, s16, -1
	s_cmp_gt_i32 s10, 15
	s_mov_b32 s5, -1
	s_cbranch_scc0 .LBB16_27
; %bb.26:
	ds_read2_b32 v[9:10], v11 offset0:224 offset1:240
	ds_read2_b32 v[12:13], v11 offset0:192 offset1:208
	;; [unrolled: 1-line block ×4, first 2 shown]
	v_mov_b32_e32 v1, 0
	ds_read_b128 v[2:5], v1 offset:1008
	ds_read2_b32 v[20:21], v11 offset0:96 offset1:112
	ds_read2_b32 v[22:23], v11 offset0:64 offset1:80
	;; [unrolled: 1-line block ×3, first 2 shown]
	ds_read2_b32 v[26:27], v11 offset1:16
	s_waitcnt lgkmcnt(4)
	v_mul_f32_e32 v10, v10, v5
	ds_read_b128 v[5:8], v1 offset:992
	v_fma_f32 v9, -v10, v4, v9
	v_fma_f32 v28, -v10, v3, v13
	v_fma_f32 v29, -v10, v2, v12
	ds_read_b128 v[12:15], v1 offset:976
	s_waitcnt lgkmcnt(1)
	v_fma_f32 v32, -v10, v5, v18
	ds_read_b128 v[2:5], v1 offset:960
	v_fma_f32 v8, -v10, v8, v17
	v_fma_f32 v30, -v10, v7, v16
	ds_read_b96 v[16:18], v1 offset:944
	v_fma_f32 v31, -v10, v6, v19
	s_waitcnt lgkmcnt(1)
	v_fma_f32 v25, -v10, v5, v25
	v_fma_f32 v24, -v10, v4, v24
	ds_read_b128 v[4:7], v1 offset:928
	s_waitcnt lgkmcnt(1)
	v_mul_f32_e32 v33, v9, v18
	v_fma_f32 v21, -v10, v15, v21
	v_fma_f32 v20, -v10, v14, v20
	;; [unrolled: 1-line block ×6, first 2 shown]
	ds_read_b128 v[12:15], v1 offset:912
	s_waitcnt lgkmcnt(1)
	v_fma_f32 v2, -v33, v7, v8
	v_fma_f32 v3, -v33, v6, v30
	ds_read_b64 v[18:19], v1 offset:880
	ds_read_b128 v[6:9], v1 offset:864
	v_fma_f32 v17, -v33, v17, v28
	v_fma_f32 v5, -v33, v5, v31
	;; [unrolled: 1-line block ×3, first 2 shown]
	s_waitcnt lgkmcnt(1)
	v_mul_f32_e32 v28, v17, v19
	s_waitcnt lgkmcnt(0)
	v_fma_f32 v17, -v28, v9, v2
	v_fma_f32 v30, -v28, v8, v3
	;; [unrolled: 1-line block ×4, first 2 shown]
	ds_read_b32 v19, v1 offset:816
	ds_read_b128 v[2:5], v1 offset:800
	ds_read_b128 v[6:9], v1 offset:896
	v_fma_f32 v16, -v33, v16, v29
	v_fma_f32 v16, -v28, v18, v16
	s_waitcnt lgkmcnt(2)
	v_mul_f32_e32 v29, v16, v19
	s_waitcnt lgkmcnt(1)
	v_fma_f32 v34, -v29, v5, v17
	ds_read_b128 v[16:19], v1 offset:736
	v_fma_f32 v30, -v29, v4, v30
	v_fma_f32 v31, -v29, v3, v31
	;; [unrolled: 1-line block ×3, first 2 shown]
	ds_read_b128 v[2:5], v1 offset:848
	v_fma_f32 v15, -v33, v15, v21
	v_fma_f32 v14, -v33, v14, v20
	;; [unrolled: 1-line block ×4, first 2 shown]
	s_waitcnt lgkmcnt(0)
	v_fma_f32 v15, -v28, v5, v15
	v_fma_f32 v14, -v28, v4, v14
	;; [unrolled: 1-line block ×4, first 2 shown]
	ds_read_b128 v[2:5], v1 offset:720
	v_mul_f32_e32 v34, v34, v19
	v_fma_f32 v30, -v34, v18, v30
	v_fma_f32 v31, -v34, v17, v31
	;; [unrolled: 1-line block ×3, first 2 shown]
	ds_read_b128 v[16:19], v1 offset:784
	v_fma_f32 v25, -v33, v9, v25
	v_fma_f32 v24, -v33, v8, v24
	;; [unrolled: 1-line block ×4, first 2 shown]
	s_waitcnt lgkmcnt(0)
	v_fma_f32 v15, -v29, v19, v15
	v_fma_f32 v19, -v29, v18, v14
	;; [unrolled: 1-line block ×5, first 2 shown]
	ds_read_b96 v[16:18], v1 offset:672
	ds_read_b128 v[12:15], v1 offset:656
	v_fma_f32 v4, -v34, v4, v19
	v_fma_f32 v20, -v34, v3, v20
	;; [unrolled: 1-line block ×3, first 2 shown]
	s_waitcnt lgkmcnt(1)
	v_mul_f32_e32 v22, v30, v18
	s_waitcnt lgkmcnt(0)
	v_fma_f32 v15, -v22, v15, v5
	v_fma_f32 v14, -v22, v14, v4
	ds_read_b64 v[18:19], v1 offset:608
	ds_read_b128 v[2:5], v1 offset:592
	v_fma_f32 v17, -v22, v17, v31
	v_fma_f32 v13, -v22, v13, v20
	;; [unrolled: 1-line block ×3, first 2 shown]
	s_waitcnt lgkmcnt(1)
	v_mul_f32_e32 v20, v17, v19
	s_waitcnt lgkmcnt(0)
	v_fma_f32 v17, -v20, v5, v15
	v_fma_f32 v21, -v20, v4, v14
	;; [unrolled: 1-line block ×4, first 2 shown]
	ds_read_b32 v19, v1 offset:544
	ds_read_b128 v[2:5], v1 offset:528
	ds_read_b128 v[12:15], v1 offset:832
	v_fma_f32 v16, -v22, v16, v32
	v_fma_f32 v16, -v20, v18, v16
	s_waitcnt lgkmcnt(2)
	v_mul_f32_e32 v31, v16, v19
	s_waitcnt lgkmcnt(1)
	v_fma_f32 v32, -v31, v5, v17
	ds_read_b128 v[16:19], v1 offset:464
	v_fma_f32 v21, -v31, v4, v21
	v_fma_f32 v23, -v31, v3, v23
	;; [unrolled: 1-line block ×3, first 2 shown]
	ds_read_b128 v[2:5], v1 offset:768
	s_waitcnt lgkmcnt(2)
	v_fma_f32 v25, -v28, v15, v25
	v_fma_f32 v24, -v28, v14, v24
	;; [unrolled: 1-line block ×4, first 2 shown]
	s_waitcnt lgkmcnt(0)
	v_fma_f32 v25, -v29, v5, v25
	v_fma_f32 v24, -v29, v4, v24
	;; [unrolled: 1-line block ×4, first 2 shown]
	ds_read_b128 v[2:5], v1 offset:512
	v_mul_f32_e32 v32, v32, v19
	v_fma_f32 v21, -v32, v18, v21
	v_fma_f32 v23, -v32, v17, v23
	;; [unrolled: 1-line block ×3, first 2 shown]
	ds_read_b128 v[16:19], v1 offset:704
	ds_read_b128 v[6:9], v1 offset:640
	;; [unrolled: 1-line block ×3, first 2 shown]
	ds_write2_b32 v11, v33, v10 offset0:224 offset1:240
	ds_write2_b32 v11, v29, v28 offset0:192 offset1:208
	;; [unrolled: 1-line block ×4, first 2 shown]
	s_waitcnt lgkmcnt(6)
	v_fma_f32 v19, -v34, v19, v25
	v_fma_f32 v24, -v34, v18, v24
	v_fma_f32 v25, -v34, v17, v27
	v_fma_f32 v26, -v34, v16, v26
	ds_read_b96 v[16:18], v1 offset:400
	s_waitcnt lgkmcnt(6)
	v_fma_f32 v10, -v22, v9, v19
	v_fma_f32 v19, -v22, v8, v24
	;; [unrolled: 1-line block ×4, first 2 shown]
	ds_read_b128 v[6:9], v1 offset:448
	s_waitcnt lgkmcnt(1)
	v_mul_f32_e32 v21, v21, v18
	ds_write2_b32 v11, v21, v32 offset0:96 offset1:112
	v_fma_f32 v18, -v21, v17, v23
	v_fma_f32 v23, -v21, v16, v30
	ds_read_b64 v[16:17], v1 offset:336
	ds_read_b32 v25, v1 offset:272
	v_fma_f32 v10, -v20, v15, v10
	v_fma_f32 v26, -v20, v14, v19
	;; [unrolled: 1-line block ×4, first 2 shown]
	ds_read_b128 v[12:15], v1 offset:384
	s_waitcnt lgkmcnt(2)
	v_mul_f32_e32 v22, v18, v17
	v_fma_f32 v23, -v22, v16, v23
	ds_read_b128 v[16:19], v1 offset:320
	v_fma_f32 v5, -v31, v5, v10
	v_fma_f32 v4, -v31, v4, v26
	;; [unrolled: 1-line block ×4, first 2 shown]
	s_waitcnt lgkmcnt(2)
	v_mul_f32_e32 v23, v23, v25
	v_fma_f32 v10, -v32, v9, v5
	v_fma_f32 v25, -v32, v8, v4
	;; [unrolled: 1-line block ×4, first 2 shown]
	ds_read_b128 v[2:5], v1 offset:256
	ds_read_b128 v[6:9], v1 offset:192
	s_waitcnt lgkmcnt(3)
	v_fma_f32 v10, -v21, v15, v10
	s_waitcnt lgkmcnt(2)
	v_fma_f32 v10, -v22, v19, v10
	v_fma_f32 v12, -v21, v12, v26
	s_waitcnt lgkmcnt(1)
	v_fma_f32 v5, -v23, v5, v10
	s_waitcnt lgkmcnt(0)
	v_mul_f32_e32 v9, v5, v9
	v_fma_f32 v5, -v21, v14, v25
	v_fma_f32 v5, -v22, v18, v5
	ds_read_b96 v[18:20], v1 offset:128
	v_fma_f32 v4, -v23, v4, v5
	v_fma_f32 v8, -v9, v8, v4
	;; [unrolled: 1-line block ×3, first 2 shown]
	ds_read_b64 v[4:5], v1 offset:64
	v_fma_f32 v10, -v22, v17, v10
	v_fma_f32 v3, -v23, v3, v10
	s_waitcnt lgkmcnt(1)
	v_mul_f32_e32 v8, v8, v20
	v_fma_f32 v3, -v9, v7, v3
	v_fma_f32 v3, -v8, v19, v3
	ds_read_b32 v1, v1
	s_waitcnt lgkmcnt(1)
	v_mul_f32_e32 v3, v3, v5
	v_fma_f32 v5, -v22, v16, v12
	v_fma_f32 v2, -v23, v2, v5
	;; [unrolled: 1-line block ×5, first 2 shown]
	s_waitcnt lgkmcnt(0)
	v_mul_f32_e32 v1, v2, v1
	ds_write2_b32 v11, v23, v22 offset0:64 offset1:80
	ds_write2_b32 v11, v8, v9 offset0:32 offset1:48
	ds_write2_b32 v11, v1, v3 offset1:16
	s_cmp_gt_i32 s5, -1
	s_cbranch_scc1 .LBB16_28
	s_branch .LBB16_50
.LBB16_27:
	s_mov_b32 s5, s4
	s_cmp_gt_i32 s5, -1
	s_cbranch_scc0 .LBB16_50
.LBB16_28:
	s_cmp_lt_u32 s5, 11
	s_cbranch_scc1 .LBB16_33
; %bb.29:
	s_lshl_b32 s8, s5, 6
	v_add_u32_e32 v10, s8, v11
	v_add_u32_e32 v5, 0xfffffec0, v10
	v_add_u32_e32 v6, 0xfffffe80, v10
	v_subrev_u32_e32 v1, 64, v10
	v_add_u32_e32 v2, 0xffffff80, v10
	v_add_u32_e32 v3, 0xffffff40, v10
	;; [unrolled: 1-line block ×4, first 2 shown]
	ds_read_b32 v14, v10
	ds_read_b32 v13, v1
	;; [unrolled: 1-line block ×8, first 2 shown]
	v_add_u32_e32 v1, 0xfffffe00, v10
	v_add_u32_e32 v2, 0xfffffdc0, v10
	v_add_u32_e32 v15, 0xfffffd80, v10
	v_add_u32_e32 v16, 0xfffffd40, v10
	ds_read_b32 v4, v1
	ds_read_b32 v3, v2
	;; [unrolled: 1-line block ×4, first 2 shown]
	s_cmp_le_i32 s4, s5
	s_cbranch_scc1 .LBB16_32
; %bb.30:
	s_lshl_b32 s10, s16, 6
	s_lshl_b32 s11, s5, 2
	v_lshl_or_b32 v15, v0, 2, s10
	s_add_i32 s10, s10, s11
	v_add_u32_e32 v15, 0x3c0, v15
	s_addk_i32 s10, 0xff94
	s_mov_b32 s11, s4
.LBB16_31:                              ; =>This Inner Loop Header: Depth=1
	v_mov_b32_e32 v26, s10
	ds_read_b32 v28, v15
	ds_read2_b32 v[16:17], v26 offset0:10 offset1:11
	ds_read2_b32 v[18:19], v26 offset0:8 offset1:9
	;; [unrolled: 1-line block ×5, first 2 shown]
	ds_read2_b32 v[26:27], v26 offset1:1
	s_add_i32 s11, s11, -1
	s_sub_i32 s10, s10, 64
	v_subrev_u32_e32 v15, 64, v15
	s_cmp_gt_i32 s11, s5
	s_waitcnt lgkmcnt(5)
	v_fma_f32 v14, -v28, v17, v14
	v_fma_f32 v13, -v28, v16, v13
	s_waitcnt lgkmcnt(4)
	v_fma_f32 v12, -v28, v19, v12
	v_fma_f32 v9, -v28, v18, v9
	s_waitcnt lgkmcnt(3)
	v_fma_f32 v8, -v28, v21, v8
	v_fma_f32 v7, -v28, v20, v7
	s_waitcnt lgkmcnt(2)
	v_fma_f32 v6, -v28, v23, v6
	v_fma_f32 v5, -v28, v22, v5
	s_waitcnt lgkmcnt(1)
	v_fma_f32 v4, -v28, v25, v4
	v_fma_f32 v3, -v28, v24, v3
	s_waitcnt lgkmcnt(0)
	v_fma_f32 v2, -v28, v27, v2
	v_fma_f32 v1, -v28, v26, v1
	s_cbranch_scc1 .LBB16_31
.LBB16_32:
	s_add_i32 s10, s5, -1
	s_lshl_b32 s11, s10, 2
	s_add_i32 s12, s11, s8
	v_mov_b32_e32 v15, s12
	s_lshl_b32 s10, s10, 6
	s_add_i32 s12, s5, -3
	ds_read2_b32 v[15:16], v15 offset1:1
	s_add_i32 s11, s11, s10
	s_lshl_b32 s13, s12, 2
	v_mov_b32_e32 v17, s11
	s_add_i32 s11, s13, s8
	v_mov_b32_e32 v18, s11
	s_add_i32 s11, s13, s10
	v_mov_b32_e32 v19, s11
	ds_read_b32 v21, v17
	ds_read2_b32 v[17:18], v18 offset1:1
	ds_read2_b32 v[19:20], v19 offset1:1
	s_waitcnt lgkmcnt(3)
	v_mul_f32_e32 v22, v14, v16
	ds_write_b32 v10, v22
	v_fma_f32 v10, -v22, v15, v13
	s_add_i32 s11, s8, 0xffffff80
	s_waitcnt lgkmcnt(3)
	v_mul_f32_e32 v23, v10, v21
	v_add_u32_e32 v10, s10, v11
	s_add_i32 s14, s13, s11
	ds_write_b32 v10, v23
	s_waitcnt lgkmcnt(3)
	v_fma_f32 v10, -v22, v18, v12
	v_mov_b32_e32 v12, s14
	s_lshl_b32 s12, s12, 6
	s_add_i32 s14, s5, -5
	s_add_i32 s13, s13, s12
	s_lshl_b32 s15, s14, 2
	v_mov_b32_e32 v14, s13
	s_add_i32 s13, s15, s8
	ds_read2_b32 v[12:13], v12 offset1:1
	v_mov_b32_e32 v15, s13
	s_add_i32 s13, s15, s10
	s_waitcnt lgkmcnt(3)
	v_fma_f32 v10, -v23, v20, v10
	v_mov_b32_e32 v16, s13
	ds_read_b32 v18, v14
	ds_read2_b32 v[14:15], v15 offset1:1
	ds_read2_b32 v[20:21], v16 offset1:1
	s_waitcnt lgkmcnt(3)
	v_mul_f32_e32 v24, v10, v13
	v_add_u32_e32 v10, s11, v11
	v_fma_f32 v9, -v22, v17, v9
	s_waitcnt lgkmcnt(1)
	v_fma_f32 v8, -v22, v15, v8
	s_add_i32 s13, s15, s11
	ds_write_b32 v10, v24
	v_fma_f32 v9, -v23, v19, v9
	s_waitcnt lgkmcnt(1)
	v_fma_f32 v10, -v23, v21, v8
	v_mov_b32_e32 v8, s13
	s_add_i32 s13, s15, s12
	v_fma_f32 v9, -v24, v12, v9
	v_mov_b32_e32 v12, s13
	s_add_i32 s13, s8, 0xffffff00
	v_mul_f32_e32 v25, v9, v18
	v_add_u32_e32 v9, s12, v11
	s_add_i32 s17, s15, s13
	ds_write_b32 v9, v25
	v_mov_b32_e32 v15, s17
	s_lshl_b32 s14, s14, 6
	ds_read2_b32 v[8:9], v8 offset1:1
	ds_read2_b32 v[12:13], v12 offset1:1
	;; [unrolled: 1-line block ×3, first 2 shown]
	s_add_i32 s15, s15, s14
	v_mov_b32_e32 v17, s15
	ds_read_b32 v17, v17
	v_fma_f32 v7, -v22, v14, v7
	s_waitcnt lgkmcnt(3)
	v_fma_f32 v9, -v24, v9, v10
	v_fma_f32 v7, -v23, v20, v7
	s_waitcnt lgkmcnt(2)
	v_fma_f32 v9, -v25, v13, v9
	v_fma_f32 v7, -v24, v8, v7
	s_add_i32 s15, s5, -7
	s_waitcnt lgkmcnt(1)
	v_mul_f32_e32 v21, v9, v16
	v_fma_f32 v7, -v25, v12, v7
	s_lshl_b32 s17, s15, 2
	v_fma_f32 v7, -v21, v15, v7
	s_add_i32 s18, s17, s8
	v_add_u32_e32 v9, s13, v11
	s_waitcnt lgkmcnt(0)
	v_mul_f32_e32 v26, v7, v17
	v_mov_b32_e32 v7, s18
	s_add_i32 s18, s17, s10
	ds_write_b32 v9, v21
	v_mov_b32_e32 v9, s18
	s_add_i32 s18, s17, s11
	v_mov_b32_e32 v12, s18
	s_add_i32 s18, s17, s12
	v_mov_b32_e32 v14, s18
	ds_read2_b32 v[7:8], v7 offset1:1
	ds_read2_b32 v[9:10], v9 offset1:1
	;; [unrolled: 1-line block ×4, first 2 shown]
	s_add_i32 s18, s17, s13
	s_waitcnt lgkmcnt(3)
	v_fma_f32 v6, -v22, v8, v6
	v_mov_b32_e32 v8, s18
	s_add_i32 s18, s17, s14
	v_add_u32_e32 v16, s14, v11
	s_waitcnt lgkmcnt(2)
	v_fma_f32 v6, -v23, v10, v6
	v_mov_b32_e32 v10, s18
	s_add_i32 s18, s8, 0xfffffe80
	ds_write_b32 v16, v26
	s_waitcnt lgkmcnt(2)
	v_fma_f32 v6, -v24, v13, v6
	s_add_i32 s19, s17, s18
	s_lshl_b32 s15, s15, 6
	s_waitcnt lgkmcnt(1)
	v_fma_f32 v6, -v25, v15, v6
	v_mov_b32_e32 v13, s19
	ds_read2_b32 v[15:16], v8 offset1:1
	ds_read2_b32 v[17:18], v10 offset1:1
	;; [unrolled: 1-line block ×3, first 2 shown]
	s_add_i32 s17, s17, s15
	v_fma_f32 v5, -v22, v7, v5
	v_mov_b32_e32 v8, s17
	v_fma_f32 v5, -v23, v9, v5
	ds_read_b32 v8, v8
	v_fma_f32 v5, -v24, v12, v5
	s_waitcnt lgkmcnt(3)
	v_fma_f32 v6, -v21, v16, v6
	v_fma_f32 v5, -v25, v14, v5
	s_waitcnt lgkmcnt(2)
	v_fma_f32 v6, -v26, v18, v6
	v_fma_f32 v5, -v21, v15, v5
	s_waitcnt lgkmcnt(1)
	v_mul_f32_e32 v18, v6, v20
	v_fma_f32 v5, -v26, v17, v5
	s_add_i32 s17, s5, -9
	v_fma_f32 v5, -v18, v19, v5
	s_lshl_b32 s19, s17, 2
	s_waitcnt lgkmcnt(0)
	v_mul_f32_e32 v19, v5, v8
	v_add_u32_e32 v5, s15, v11
	s_add_i32 s20, s19, s8
	ds_write_b32 v5, v19
	v_mov_b32_e32 v5, s20
	s_add_i32 s20, s19, s10
	v_add_u32_e32 v6, s18, v11
	v_mov_b32_e32 v7, s20
	s_add_i32 s20, s19, s11
	ds_write_b32 v6, v18
	v_mov_b32_e32 v9, s20
	ds_read2_b32 v[5:6], v5 offset1:1
	ds_read2_b32 v[7:8], v7 offset1:1
	;; [unrolled: 1-line block ×3, first 2 shown]
	s_add_i32 s20, s19, s12
	v_mov_b32_e32 v12, s20
	s_waitcnt lgkmcnt(2)
	v_fma_f32 v4, -v22, v6, v4
	s_waitcnt lgkmcnt(1)
	v_fma_f32 v4, -v23, v8, v4
	s_add_i32 s20, s19, s13
	ds_read2_b32 v[12:13], v12 offset1:1
	s_waitcnt lgkmcnt(1)
	v_fma_f32 v8, -v24, v10, v4
	v_mov_b32_e32 v4, s20
	s_add_i32 s20, s19, s14
	v_mov_b32_e32 v6, s20
	s_add_i32 s20, s19, s18
	;; [unrolled: 2-line block ×3, first 2 shown]
	v_mov_b32_e32 v16, s20
	v_fma_f32 v20, -v22, v5, v3
	ds_read2_b32 v[3:4], v4 offset1:1
	ds_read2_b32 v[5:6], v6 offset1:1
	;; [unrolled: 1-line block ×4, first 2 shown]
	s_waitcnt lgkmcnt(4)
	v_fma_f32 v8, -v25, v13, v8
	s_waitcnt lgkmcnt(3)
	v_fma_f32 v4, -v21, v4, v8
	s_add_i32 s20, s8, 0xfffffe00
	v_fma_f32 v8, -v23, v7, v20
	s_lshl_b32 s17, s17, 6
	s_add_i32 s21, s19, s20
	v_fma_f32 v8, -v24, v9, v8
	s_add_i32 s19, s19, s17
	v_fma_f32 v10, -v25, v12, v8
	v_mov_b32_e32 v8, s19
	s_add_i32 s19, s5, -11
	s_waitcnt lgkmcnt(2)
	v_fma_f32 v4, -v26, v6, v4
	v_mov_b32_e32 v6, s21
	s_lshl_b32 s21, s19, 2
	s_add_i32 s22, s21, s8
	s_add_i32 s10, s21, s10
	ds_read2_b32 v[6:7], v6 offset1:1
	v_mov_b32_e32 v9, s22
	v_mov_b32_e32 v12, s10
	s_waitcnt lgkmcnt(2)
	v_fma_f32 v4, -v18, v15, v4
	ds_read_b32 v15, v8
	ds_read2_b32 v[8:9], v9 offset1:1
	ds_read2_b32 v[12:13], v12 offset1:1
	v_fma_f32 v3, -v21, v3, v10
	v_fma_f32 v3, -v26, v5, v3
	s_waitcnt lgkmcnt(4)
	v_fma_f32 v4, -v19, v17, v4
	v_fma_f32 v3, -v18, v14, v3
	s_waitcnt lgkmcnt(3)
	v_mul_f32_e32 v20, v4, v7
	v_fma_f32 v3, -v19, v16, v3
	s_waitcnt lgkmcnt(1)
	v_fma_f32 v2, -v22, v9, v2
	s_add_i32 s10, s21, s11
	v_add_u32_e32 v4, s20, v11
	v_fma_f32 v3, -v20, v6, v3
	s_waitcnt lgkmcnt(0)
	v_fma_f32 v13, -v23, v13, v2
	v_mov_b32_e32 v2, s10
	s_add_i32 s10, s21, s12
	ds_write_b32 v4, v20
	v_mul_f32_e32 v27, v3, v15
	v_add_u32_e32 v3, s17, v11
	v_mov_b32_e32 v4, s10
	s_add_i32 s10, s21, s13
	ds_write_b32 v3, v27
	v_mov_b32_e32 v6, s10
	ds_read2_b32 v[2:3], v2 offset1:1
	ds_read2_b32 v[4:5], v4 offset1:1
	;; [unrolled: 1-line block ×3, first 2 shown]
	s_add_i32 s10, s21, s14
	v_mov_b32_e32 v9, s10
	s_waitcnt lgkmcnt(2)
	v_fma_f32 v3, -v24, v3, v13
	s_add_i32 s10, s21, s18
	ds_read2_b32 v[9:10], v9 offset1:1
	s_waitcnt lgkmcnt(2)
	v_fma_f32 v3, -v25, v5, v3
	v_mov_b32_e32 v5, s10
	s_add_i32 s10, s21, s15
	v_mov_b32_e32 v13, s10
	s_add_i32 s10, s21, s20
	;; [unrolled: 2-line block ×3, first 2 shown]
	v_fma_f32 v1, -v22, v8, v1
	v_mov_b32_e32 v16, s10
	s_addk_i32 s8, 0xfd80
	s_waitcnt lgkmcnt(1)
	v_fma_f32 v3, -v21, v7, v3
	v_fma_f32 v1, -v23, v12, v1
	ds_read2_b32 v[7:8], v5 offset1:1
	ds_read2_b32 v[12:13], v13 offset1:1
	;; [unrolled: 1-line block ×4, first 2 shown]
	s_add_i32 s10, s21, s8
	s_waitcnt lgkmcnt(4)
	v_fma_f32 v3, -v26, v10, v3
	v_mov_b32_e32 v5, s10
	s_waitcnt lgkmcnt(3)
	v_fma_f32 v3, -v18, v8, v3
	v_fma_f32 v8, -v24, v2, v1
	ds_read2_b32 v[1:2], v5 offset1:1
	s_waitcnt lgkmcnt(3)
	v_fma_f32 v3, -v19, v13, v3
	s_waitcnt lgkmcnt(2)
	v_fma_f32 v3, -v20, v15, v3
	;; [unrolled: 2-line block ×3, first 2 shown]
	s_lshl_b32 s10, s19, 6
	s_waitcnt lgkmcnt(0)
	v_mul_f32_e32 v2, v3, v2
	v_add_u32_e32 v3, s8, v11
	ds_write_b32 v3, v2
	v_fma_f32 v3, -v25, v4, v8
	s_add_i32 s11, s21, s10
	v_fma_f32 v3, -v21, v6, v3
	v_mov_b32_e32 v5, s11
	v_fma_f32 v3, -v26, v9, v3
	ds_read_b32 v5, v5
	v_fma_f32 v3, -v18, v7, v3
	v_fma_f32 v3, -v19, v12, v3
	;; [unrolled: 1-line block ×5, first 2 shown]
	s_waitcnt lgkmcnt(0)
	v_mul_f32_e32 v1, v1, v5
	v_add_u32_e32 v2, s10, v11
	s_add_i32 s5, s5, -12
	ds_write_b32 v2, v1
.LBB16_33:
	s_cmp_lt_i32 s5, 0
	s_cbranch_scc1 .LBB16_50
; %bb.34:
	s_and_b32 s8, s5, 3
	s_cmp_eq_u32 s8, 3
	s_mov_b32 s8, s5
	s_cbranch_scc1 .LBB16_39
; %bb.35:
	s_add_i32 s8, s5, 1
	s_and_b32 s10, s8, 3
	s_lshl_b32 s8, s16, 6
	s_lshl_b32 s11, s5, 2
	s_add_i32 s11, s8, s11
	v_lshl_or_b32 v1, v0, 2, s8
	s_sub_i32 s11, s11, 64
	v_add_u32_e32 v1, 0x3c0, v1
	s_mov_b32 s12, 0
	s_mov_b32 s8, s5
	s_branch .LBB16_37
.LBB16_36:                              ;   in Loop: Header=BB16_37 Depth=1
	s_mul_i32 s13, s8, 0x44
	v_mov_b32_e32 v4, s13
	ds_read_b32 v4, v4
	s_add_i32 s8, s8, -1
	s_add_i32 s12, s12, 1
	s_add_i32 s11, s11, -4
	s_cmp_lg_u32 s12, s10
	s_waitcnt lgkmcnt(0)
	v_mul_f32_e32 v3, v3, v4
	ds_write_b32 v2, v3
	s_cbranch_scc0 .LBB16_39
.LBB16_37:                              ; =>This Loop Header: Depth=1
                                        ;     Child Loop BB16_38 Depth 2
	s_lshl_b32 s13, s8, 6
	v_add_u32_e32 v2, s13, v11
	ds_read_b32 v3, v2
	s_cmp_le_i32 s4, s8
	v_mov_b32_e32 v4, v1
	s_mov_b32 s13, s11
	s_mov_b32 s14, s4
	s_cbranch_scc1 .LBB16_36
.LBB16_38:                              ;   Parent Loop BB16_37 Depth=1
                                        ; =>  This Inner Loop Header: Depth=2
	v_mov_b32_e32 v6, s13
	ds_read_b32 v5, v4
	ds_read_b32 v6, v6
	s_add_i32 s14, s14, -1
	s_sub_i32 s13, s13, 64
	v_subrev_u32_e32 v4, 64, v4
	s_cmp_gt_i32 s14, s8
	s_waitcnt lgkmcnt(0)
	v_fma_f32 v3, -v5, v6, v3
	s_cbranch_scc1 .LBB16_38
	s_branch .LBB16_36
.LBB16_39:
	s_cmp_lt_u32 s5, 3
	s_cbranch_scc1 .LBB16_50
; %bb.40:
	s_lshl_b32 s10, s16, 6
	s_lshl_b32 s5, s8, 2
	s_add_i32 s12, s10, s5
	v_lshl_or_b32 v1, v0, 2, s10
	s_sub_i32 s5, s12, 64
	v_add_u32_e32 v1, 0x3c0, v1
	s_add_i32 s10, s12, 0xffffffbc
	s_add_i32 s11, s12, 0xffffffb8
	s_addk_i32 s12, 0xffb4
	s_branch .LBB16_42
.LBB16_41:                              ;   in Loop: Header=BB16_42 Depth=1
	s_addk_i32 s13, 0xffbc
	v_mov_b32_e32 v3, s13
	ds_read_b32 v3, v3
	s_add_i32 s13, s8, -4
	s_add_i32 s5, s5, -16
	;; [unrolled: 1-line block ×5, first 2 shown]
	s_waitcnt lgkmcnt(0)
	v_mul_f32_e32 v3, v5, v3
	s_cmp_lt_i32 s8, 4
	s_mov_b32 s8, s13
	ds_write_b32 v2, v3
	s_cbranch_scc1 .LBB16_50
.LBB16_42:                              ; =>This Loop Header: Depth=1
                                        ;     Child Loop BB16_43 Depth 2
                                        ;     Child Loop BB16_45 Depth 2
	;; [unrolled: 1-line block ×4, first 2 shown]
	s_lshl_b32 s14, s8, 6
	v_add_u32_e32 v3, s14, v11
	ds_read_b32 v4, v3
	s_cmp_le_i32 s4, s8
	v_mov_b32_e32 v2, v1
	s_mov_b32 s13, s5
	s_mov_b32 s15, s4
	s_cbranch_scc1 .LBB16_44
.LBB16_43:                              ;   Parent Loop BB16_42 Depth=1
                                        ; =>  This Inner Loop Header: Depth=2
	v_mov_b32_e32 v6, s13
	ds_read_b32 v5, v2
	ds_read_b32 v6, v6
	s_add_i32 s15, s15, -1
	s_sub_i32 s13, s13, 64
	v_subrev_u32_e32 v2, 64, v2
	s_cmp_gt_i32 s15, s8
	s_waitcnt lgkmcnt(0)
	v_fma_f32 v4, -v5, v6, v4
	s_cbranch_scc1 .LBB16_43
.LBB16_44:                              ;   in Loop: Header=BB16_42 Depth=1
	s_mul_i32 s13, s8, 0x44
	v_mov_b32_e32 v2, s13
	ds_read_b32 v6, v2
	s_sub_i32 s14, s14, 64
	v_add_u32_e32 v2, s14, v11
	ds_read_b32 v5, v2
	s_cmp_le_i32 s16, s8
	s_waitcnt lgkmcnt(1)
	v_mul_f32_e32 v4, v4, v6
	ds_write_b32 v3, v4
	v_mov_b32_e32 v3, v1
	s_mov_b32 s14, s10
	s_mov_b32 s15, s16
	s_cbranch_scc1 .LBB16_46
.LBB16_45:                              ;   Parent Loop BB16_42 Depth=1
                                        ; =>  This Inner Loop Header: Depth=2
	v_mov_b32_e32 v6, s14
	ds_read_b32 v4, v3
	ds_read_b32 v6, v6
	s_add_i32 s15, s15, -1
	s_sub_i32 s14, s14, 64
	v_subrev_u32_e32 v3, 64, v3
	s_cmp_gt_i32 s15, s8
	s_waitcnt lgkmcnt(0)
	v_fma_f32 v5, -v4, v6, v5
	s_cbranch_scc1 .LBB16_45
.LBB16_46:                              ;   in Loop: Header=BB16_42 Depth=1
	s_addk_i32 s13, 0xffbc
	v_mov_b32_e32 v3, s13
	s_add_i32 s14, s8, -2
	ds_read_b32 v6, v3
	s_lshl_b32 s15, s14, 6
	v_add_u32_e32 v3, s15, v11
	ds_read_b32 v4, v3
	s_cmp_le_i32 s4, s14
	s_waitcnt lgkmcnt(1)
	v_mul_f32_e32 v5, v5, v6
	ds_write_b32 v2, v5
	v_mov_b32_e32 v2, v1
	s_mov_b32 s15, s11
	s_mov_b32 s17, s4
	s_cbranch_scc1 .LBB16_48
.LBB16_47:                              ;   Parent Loop BB16_42 Depth=1
                                        ; =>  This Inner Loop Header: Depth=2
	v_mov_b32_e32 v6, s15
	ds_read_b32 v5, v2
	ds_read_b32 v6, v6
	s_add_i32 s17, s17, -1
	s_sub_i32 s15, s15, 64
	v_subrev_u32_e32 v2, 64, v2
	s_cmp_gt_i32 s17, s14
	s_waitcnt lgkmcnt(0)
	v_fma_f32 v4, -v5, v6, v4
	s_cbranch_scc1 .LBB16_47
.LBB16_48:                              ;   in Loop: Header=BB16_42 Depth=1
	s_addk_i32 s13, 0xffbc
	v_mov_b32_e32 v2, s13
	s_add_i32 s14, s8, -3
	ds_read_b32 v6, v2
	s_lshl_b32 s15, s14, 6
	v_add_u32_e32 v2, s15, v11
	ds_read_b32 v5, v2
	s_cmp_le_i32 s4, s14
	s_waitcnt lgkmcnt(1)
	v_mul_f32_e32 v4, v4, v6
	ds_write_b32 v3, v4
	v_mov_b32_e32 v3, v1
	s_mov_b32 s15, s12
	s_mov_b32 s17, s4
	s_cbranch_scc1 .LBB16_41
.LBB16_49:                              ;   Parent Loop BB16_42 Depth=1
                                        ; =>  This Inner Loop Header: Depth=2
	v_mov_b32_e32 v6, s15
	ds_read_b32 v4, v3
	ds_read_b32 v6, v6
	s_add_i32 s17, s17, -1
	s_sub_i32 s15, s15, 64
	v_subrev_u32_e32 v3, 64, v3
	s_cmp_gt_i32 s17, s14
	s_waitcnt lgkmcnt(0)
	v_fma_f32 v5, -v4, v6, v5
	s_cbranch_scc1 .LBB16_49
	s_branch .LBB16_41
.LBB16_50:
	s_waitcnt lgkmcnt(0)
	; wave barrier
	s_and_saveexec_b64 s[4:5], s[0:1]
	s_cbranch_execz .LBB16_54
; %bb.51:
	s_andn2_b64 vcc, exec, s[2:3]
	s_cbranch_vccnz .LBB16_54
; %bb.52:
	v_mad_i64_i32 v[1:2], s[0:1], s9, v0, 0
	v_mov_b32_e32 v3, s7
	v_lshlrev_b64 v[1:2], 2, v[1:2]
	v_add_co_u32_e32 v1, vcc, s6, v1
	v_addc_co_u32_e32 v2, vcc, v3, v2, vcc
	v_mov_b32_e32 v3, 0x400
	v_lshl_or_b32 v0, v0, 2, v3
.LBB16_53:                              ; =>This Inner Loop Header: Depth=1
	ds_read_b32 v3, v0
	s_add_i32 s16, s16, -1
	v_add_u32_e32 v0, 64, v0
	s_cmp_lg_u32 s16, 0
	s_waitcnt lgkmcnt(0)
	global_store_dword v[1:2], v3, off
	v_add_co_u32_e32 v1, vcc, 4, v1
	v_addc_co_u32_e32 v2, vcc, 0, v2, vcc
	s_cbranch_scc1 .LBB16_53
.LBB16_54:
	s_endpgm
	.section	.rodata,"a",@progbits
	.p2align	6, 0x0
	.amdhsa_kernel _ZL38rocblas_trsm_small_left_device_sharedBILi16ELi16ELb0EffPKfPfEv13rocblas_fill_18rocblas_operation_17rocblas_diagonal_iiT3_T4_lilT5_lili
		.amdhsa_group_segment_fixed_size 2048
		.amdhsa_private_segment_fixed_size 0
		.amdhsa_kernarg_size 352
		.amdhsa_user_sgpr_count 6
		.amdhsa_user_sgpr_private_segment_buffer 1
		.amdhsa_user_sgpr_dispatch_ptr 0
		.amdhsa_user_sgpr_queue_ptr 0
		.amdhsa_user_sgpr_kernarg_segment_ptr 1
		.amdhsa_user_sgpr_dispatch_id 0
		.amdhsa_user_sgpr_flat_scratch_init 0
		.amdhsa_user_sgpr_private_segment_size 0
		.amdhsa_uses_dynamic_stack 0
		.amdhsa_system_sgpr_private_segment_wavefront_offset 0
		.amdhsa_system_sgpr_workgroup_id_x 1
		.amdhsa_system_sgpr_workgroup_id_y 0
		.amdhsa_system_sgpr_workgroup_id_z 1
		.amdhsa_system_sgpr_workgroup_info 0
		.amdhsa_system_vgpr_workitem_id 0
		.amdhsa_next_free_vgpr 49
		.amdhsa_next_free_sgpr 61
		.amdhsa_reserve_vcc 1
		.amdhsa_reserve_flat_scratch 0
		.amdhsa_float_round_mode_32 0
		.amdhsa_float_round_mode_16_64 0
		.amdhsa_float_denorm_mode_32 3
		.amdhsa_float_denorm_mode_16_64 3
		.amdhsa_dx10_clamp 1
		.amdhsa_ieee_mode 1
		.amdhsa_fp16_overflow 0
		.amdhsa_exception_fp_ieee_invalid_op 0
		.amdhsa_exception_fp_denorm_src 0
		.amdhsa_exception_fp_ieee_div_zero 0
		.amdhsa_exception_fp_ieee_overflow 0
		.amdhsa_exception_fp_ieee_underflow 0
		.amdhsa_exception_fp_ieee_inexact 0
		.amdhsa_exception_int_div_zero 0
	.end_amdhsa_kernel
	.section	.text._ZL38rocblas_trsm_small_left_device_sharedBILi16ELi16ELb0EffPKfPfEv13rocblas_fill_18rocblas_operation_17rocblas_diagonal_iiT3_T4_lilT5_lili,"axG",@progbits,_ZL38rocblas_trsm_small_left_device_sharedBILi16ELi16ELb0EffPKfPfEv13rocblas_fill_18rocblas_operation_17rocblas_diagonal_iiT3_T4_lilT5_lili,comdat
.Lfunc_end16:
	.size	_ZL38rocblas_trsm_small_left_device_sharedBILi16ELi16ELb0EffPKfPfEv13rocblas_fill_18rocblas_operation_17rocblas_diagonal_iiT3_T4_lilT5_lili, .Lfunc_end16-_ZL38rocblas_trsm_small_left_device_sharedBILi16ELi16ELb0EffPKfPfEv13rocblas_fill_18rocblas_operation_17rocblas_diagonal_iiT3_T4_lilT5_lili
                                        ; -- End function
	.set _ZL38rocblas_trsm_small_left_device_sharedBILi16ELi16ELb0EffPKfPfEv13rocblas_fill_18rocblas_operation_17rocblas_diagonal_iiT3_T4_lilT5_lili.num_vgpr, 49
	.set _ZL38rocblas_trsm_small_left_device_sharedBILi16ELi16ELb0EffPKfPfEv13rocblas_fill_18rocblas_operation_17rocblas_diagonal_iiT3_T4_lilT5_lili.num_agpr, 0
	.set _ZL38rocblas_trsm_small_left_device_sharedBILi16ELi16ELb0EffPKfPfEv13rocblas_fill_18rocblas_operation_17rocblas_diagonal_iiT3_T4_lilT5_lili.numbered_sgpr, 24
	.set _ZL38rocblas_trsm_small_left_device_sharedBILi16ELi16ELb0EffPKfPfEv13rocblas_fill_18rocblas_operation_17rocblas_diagonal_iiT3_T4_lilT5_lili.num_named_barrier, 0
	.set _ZL38rocblas_trsm_small_left_device_sharedBILi16ELi16ELb0EffPKfPfEv13rocblas_fill_18rocblas_operation_17rocblas_diagonal_iiT3_T4_lilT5_lili.private_seg_size, 0
	.set _ZL38rocblas_trsm_small_left_device_sharedBILi16ELi16ELb0EffPKfPfEv13rocblas_fill_18rocblas_operation_17rocblas_diagonal_iiT3_T4_lilT5_lili.uses_vcc, 1
	.set _ZL38rocblas_trsm_small_left_device_sharedBILi16ELi16ELb0EffPKfPfEv13rocblas_fill_18rocblas_operation_17rocblas_diagonal_iiT3_T4_lilT5_lili.uses_flat_scratch, 0
	.set _ZL38rocblas_trsm_small_left_device_sharedBILi16ELi16ELb0EffPKfPfEv13rocblas_fill_18rocblas_operation_17rocblas_diagonal_iiT3_T4_lilT5_lili.has_dyn_sized_stack, 0
	.set _ZL38rocblas_trsm_small_left_device_sharedBILi16ELi16ELb0EffPKfPfEv13rocblas_fill_18rocblas_operation_17rocblas_diagonal_iiT3_T4_lilT5_lili.has_recursion, 0
	.set _ZL38rocblas_trsm_small_left_device_sharedBILi16ELi16ELb0EffPKfPfEv13rocblas_fill_18rocblas_operation_17rocblas_diagonal_iiT3_T4_lilT5_lili.has_indirect_call, 0
	.section	.AMDGPU.csdata,"",@progbits
; Kernel info:
; codeLenInByte = 8960
; TotalNumSgprs: 28
; NumVgprs: 49
; ScratchSize: 0
; MemoryBound: 0
; FloatMode: 240
; IeeeMode: 1
; LDSByteSize: 2048 bytes/workgroup (compile time only)
; SGPRBlocks: 8
; VGPRBlocks: 12
; NumSGPRsForWavesPerEU: 65
; NumVGPRsForWavesPerEU: 49
; Occupancy: 4
; WaveLimiterHint : 0
; COMPUTE_PGM_RSRC2:SCRATCH_EN: 0
; COMPUTE_PGM_RSRC2:USER_SGPR: 6
; COMPUTE_PGM_RSRC2:TRAP_HANDLER: 0
; COMPUTE_PGM_RSRC2:TGID_X_EN: 1
; COMPUTE_PGM_RSRC2:TGID_Y_EN: 0
; COMPUTE_PGM_RSRC2:TGID_Z_EN: 1
; COMPUTE_PGM_RSRC2:TIDIG_COMP_CNT: 0
	.section	.text._ZL30rocblas_trsm_small_left_deviceILi16ELi16ELb0EffPKfPfEv13rocblas_fill_18rocblas_operation_17rocblas_diagonal_iiT3_T4_lilT5_lili,"axG",@progbits,_ZL30rocblas_trsm_small_left_deviceILi16ELi16ELb0EffPKfPfEv13rocblas_fill_18rocblas_operation_17rocblas_diagonal_iiT3_T4_lilT5_lili,comdat
	.globl	_ZL30rocblas_trsm_small_left_deviceILi16ELi16ELb0EffPKfPfEv13rocblas_fill_18rocblas_operation_17rocblas_diagonal_iiT3_T4_lilT5_lili ; -- Begin function _ZL30rocblas_trsm_small_left_deviceILi16ELi16ELb0EffPKfPfEv13rocblas_fill_18rocblas_operation_17rocblas_diagonal_iiT3_T4_lilT5_lili
	.p2align	8
	.type	_ZL30rocblas_trsm_small_left_deviceILi16ELi16ELb0EffPKfPfEv13rocblas_fill_18rocblas_operation_17rocblas_diagonal_iiT3_T4_lilT5_lili,@function
_ZL30rocblas_trsm_small_left_deviceILi16ELi16ELb0EffPKfPfEv13rocblas_fill_18rocblas_operation_17rocblas_diagonal_iiT3_T4_lilT5_lili: ; @_ZL30rocblas_trsm_small_left_deviceILi16ELi16ELb0EffPKfPfEv13rocblas_fill_18rocblas_operation_17rocblas_diagonal_iiT3_T4_lilT5_lili
; %bb.0:
	s_load_dwordx4 s[0:3], s[4:5], 0x4
	s_load_dword s16, s[4:5], 0x14
	s_load_dwordx4 s[8:11], s[4:5], 0x30
	s_load_dwordx2 s[12:13], s[4:5], 0x40
	s_waitcnt lgkmcnt(0)
	s_min_i32 s17, s2, 16
	v_cmp_gt_i32_e32 vcc, s17, v0
	s_and_saveexec_b64 s[14:15], vcc
	s_cbranch_execz .LBB17_6
; %bb.1:
	s_load_dword s18, s[4:5], 0x28
	s_load_dwordx4 s[20:23], s[4:5], 0x18
	s_mul_i32 s9, s9, s7
	s_mul_hi_u32 s19, s8, s7
	s_add_i32 s9, s19, s9
	s_mul_i32 s8, s8, s7
	s_waitcnt lgkmcnt(0)
	s_ashr_i32 s19, s18, 31
	s_lshl_b64 s[8:9], s[8:9], 2
	s_add_u32 s20, s20, s8
	s_addc_u32 s21, s21, s9
	s_lshl_b64 s[8:9], s[22:23], 2
	s_add_u32 s8, s20, s8
	s_addc_u32 s9, s21, s9
	v_lshlrev_b32_e32 v3, 2, v0
	v_mov_b32_e32 v2, s9
	v_add_co_u32_e32 v1, vcc, s8, v3
	s_lshl_b64 s[8:9], s[18:19], 2
	v_addc_co_u32_e32 v2, vcc, 0, v2, vcc
	v_mov_b32_e32 v4, s9
	v_mov_b32_e32 v5, v3
	s_mov_b32 s9, s17
.LBB17_2:                               ; =>This Inner Loop Header: Depth=1
	global_load_dword v6, v[1:2], off
	v_add_co_u32_e32 v1, vcc, s8, v1
	s_add_i32 s9, s9, -1
	v_addc_co_u32_e32 v2, vcc, v2, v4, vcc
	s_cmp_eq_u32 s9, 0
	s_waitcnt vmcnt(0)
	ds_write_b32 v5, v6
	v_add_u32_e32 v5, 64, v5
	s_cbranch_scc0 .LBB17_2
; %bb.3:
	v_lshlrev_b32_e32 v1, 6, v0
	s_cmpk_lg_i32 s1, 0x84
	v_mov_b32_e32 v2, 1.0
	v_add_u32_e32 v1, v3, v1
	s_cbranch_scc0 .LBB17_5
; %bb.4:
	ds_read_b32 v2, v1
	s_waitcnt lgkmcnt(0)
	v_div_scale_f32 v3, s[8:9], v2, v2, 1.0
	v_div_scale_f32 v4, vcc, 1.0, v2, 1.0
	v_rcp_f32_e32 v5, v3
	v_fma_f32 v6, -v3, v5, 1.0
	v_fmac_f32_e32 v5, v6, v5
	v_mul_f32_e32 v6, v4, v5
	v_fma_f32 v7, -v3, v6, v4
	v_fmac_f32_e32 v6, v7, v5
	v_fma_f32 v3, -v3, v6, v4
	v_div_fmas_f32 v3, v3, v5, v6
	v_div_fixup_f32 v2, v3, v2, 1.0
.LBB17_5:
	ds_write_b32 v1, v2
.LBB17_6:
	s_or_b64 exec, exec, s[14:15]
	s_load_dword s1, s[4:5], 0x60
	s_waitcnt lgkmcnt(0)
	; wave barrier
	s_add_i32 s8, s1, -1
	s_lshl_b32 s1, s6, 4
	s_sub_i32 s3, s3, s1
	s_cmp_ge_u32 s6, s8
	s_cselect_b32 s3, s3, 16
	v_cmp_gt_i32_e32 vcc, s3, v0
	s_and_saveexec_b64 s[8:9], vcc
	s_cbranch_execz .LBB17_51
; %bb.7:
	s_load_dwordx2 s[8:9], s[4:5], 0x50
	s_load_dword s3, s[4:5], 0x48
	v_add_u32_e32 v0, s1, v0
	s_waitcnt lgkmcnt(0)
	s_mul_i32 s1, s9, s7
	s_mul_hi_u32 s5, s8, s7
	s_mul_i32 s4, s8, s7
	s_add_i32 s5, s5, s1
	v_mad_i64_i32 v[0:1], s[6:7], s3, v0, 0
	s_lshl_b64 s[4:5], s[4:5], 2
	s_add_u32 s1, s10, s4
	s_addc_u32 s8, s11, s5
	s_lshl_b64 s[6:7], s[12:13], 2
	s_add_u32 s1, s1, s6
	v_lshlrev_b64 v[10:11], 2, v[0:1]
	s_addc_u32 s3, s8, s7
	v_mov_b32_e32 v0, s3
	v_add_co_u32_e32 v8, vcc, s1, v10
	v_addc_co_u32_e32 v9, vcc, v0, v11, vcc
	s_cmpk_eq_i32 s0, 0x6f
	s_mov_b64 s[0:1], -1
	s_cbranch_scc1 .LBB17_25
; %bb.8:
	s_cmp_lt_i32 s2, 16
	s_cselect_b64 s[8:9], -1, 0
	s_cmp_gt_i32 s2, 15
	s_mov_b32 s0, 16
	s_cbranch_scc0 .LBB17_10
; %bb.9:
	global_load_dwordx4 v[0:3], v[8:9], off
	global_load_dwordx4 v[4:7], v[8:9], off offset:16
	v_mov_b32_e32 v12, 0
	ds_read_b32 v21, v12
	ds_read_b64 v[31:32], v12 offset:64
	ds_read_b96 v[28:30], v12 offset:128
	ds_read_b128 v[13:16], v12 offset:192
	ds_read_b128 v[17:20], v12 offset:256
	s_waitcnt vmcnt(1)
	v_mul_f32_e32 v0, s16, v0
	s_waitcnt lgkmcnt(4)
	v_mul_f32_e32 v0, v0, v21
	s_waitcnt lgkmcnt(3)
	;; [unrolled: 2-line block ×3, first 2 shown]
	v_mul_f32_e32 v22, v0, v28
	v_fma_f32 v1, s16, v1, -v21
	v_fma_f32 v2, s16, v2, -v22
	ds_read_b128 v[21:24], v12 offset:320
	ds_read_b128 v[25:28], v12 offset:384
	s_waitcnt lgkmcnt(3)
	v_mul_f32_e32 v13, v0, v13
	v_fma_f32 v13, s16, v3, -v13
	s_waitcnt lgkmcnt(2)
	v_mul_f32_e32 v3, v0, v17
	s_waitcnt vmcnt(0)
	v_fma_f32 v17, s16, v4, -v3
	s_waitcnt lgkmcnt(1)
	v_mul_f32_e32 v3, v0, v21
	v_fma_f32 v21, s16, v5, -v3
	s_waitcnt lgkmcnt(0)
	v_mul_f32_e32 v3, v0, v25
	v_fma_f32 v25, s16, v6, -v3
	ds_read_b128 v[3:6], v12 offset:448
	v_mul_f32_e32 v1, v1, v32
	v_fma_f32 v2, -v1, v29, v2
	v_mul_f32_e32 v2, v2, v30
	v_fma_f32 v17, -v1, v18, v17
	s_waitcnt lgkmcnt(0)
	v_mul_f32_e32 v3, v0, v3
	v_fma_f32 v7, s16, v7, -v3
	v_fma_f32 v3, -v1, v14, v13
	v_fma_f32 v3, -v2, v15, v3
	v_mul_f32_e32 v3, v3, v16
	global_load_dwordx4 v[13:16], v[8:9], off offset:32
	v_fma_f32 v17, -v2, v19, v17
	v_fma_f32 v33, -v3, v20, v17
	ds_read_b128 v[17:20], v12 offset:512
	v_fma_f32 v21, -v1, v22, v21
	v_fma_f32 v22, -v1, v26, v25
	;; [unrolled: 1-line block ×8, first 2 shown]
	ds_read_b128 v[21:24], v12 offset:576
	ds_read_b128 v[25:28], v12 offset:592
	v_fma_f32 v36, -v3, v6, v4
	s_waitcnt lgkmcnt(2)
	v_mul_f32_e32 v4, v0, v17
	ds_read_b128 v[29:32], v12 offset:640
	ds_read_b32 v17, v12 offset:272
	s_waitcnt vmcnt(0)
	v_fma_f32 v4, s16, v13, -v4
	v_fma_f32 v4, -v1, v18, v4
	v_fma_f32 v4, -v2, v19, v4
	;; [unrolled: 1-line block ×3, first 2 shown]
	s_waitcnt lgkmcnt(3)
	v_mul_f32_e32 v4, v0, v21
	v_fma_f32 v4, s16, v14, -v4
	v_fma_f32 v4, -v1, v22, v4
	v_fma_f32 v4, -v2, v23, v4
	;; [unrolled: 1-line block ×3, first 2 shown]
	global_load_dwordx4 v[4:7], v[8:9], off offset:48
	s_waitcnt lgkmcnt(1)
	v_mul_f32_e32 v13, v0, v29
	v_fma_f32 v13, s16, v15, -v13
	v_fma_f32 v13, -v1, v30, v13
	v_fma_f32 v13, -v2, v31, v13
	;; [unrolled: 1-line block ×3, first 2 shown]
	ds_read_b64 v[13:14], v12 offset:336
	s_waitcnt lgkmcnt(1)
	v_mul_f32_e32 v17, v33, v17
	ds_read_b128 v[20:23], v12 offset:464
	s_waitcnt lgkmcnt(1)
	v_fma_f32 v13, -v17, v13, v34
	v_mul_f32_e32 v18, v13, v14
	ds_read_b96 v[13:15], v12 offset:400
	s_waitcnt lgkmcnt(0)
	v_fma_f32 v13, -v17, v13, v35
	v_fma_f32 v13, -v18, v14, v13
	v_mul_f32_e32 v19, v13, v15
	v_fma_f32 v13, -v17, v20, v36
	v_fma_f32 v13, -v18, v21, v13
	;; [unrolled: 1-line block ×3, first 2 shown]
	v_mul_f32_e32 v20, v13, v23
	ds_read_b128 v[21:24], v12 offset:528
	ds_read_b32 v13, v12 offset:544
	global_store_dwordx4 v[8:9], v[0:3], off
	global_store_dwordx4 v[8:9], v[17:20], off offset:16
	s_waitcnt lgkmcnt(1)
	v_fma_f32 v14, -v17, v21, v37
	v_fma_f32 v14, -v18, v22, v14
	;; [unrolled: 1-line block ×6, first 2 shown]
	ds_read_b64 v[14:15], v12 offset:608
	v_fma_f32 v21, -v19, v27, v21
	v_fma_f32 v25, -v20, v28, v21
	ds_read_b128 v[21:24], v12 offset:656
	s_waitcnt lgkmcnt(2)
	v_mul_f32_e32 v13, v30, v13
	s_waitcnt lgkmcnt(1)
	v_fma_f32 v14, -v13, v14, v25
	v_mul_f32_e32 v14, v14, v15
	ds_read_b96 v[25:27], v12 offset:672
	s_waitcnt lgkmcnt(1)
	v_fma_f32 v15, -v17, v21, v29
	v_fma_f32 v15, -v18, v22, v15
	;; [unrolled: 1-line block ×4, first 2 shown]
	ds_read_b128 v[21:24], v12 offset:704
	s_waitcnt lgkmcnt(1)
	v_fma_f32 v15, -v13, v25, v15
	v_fma_f32 v15, -v14, v26, v15
	v_mul_f32_e32 v15, v15, v27
	ds_read_b128 v[25:28], v12 offset:720
	s_waitcnt lgkmcnt(1)
	v_mul_f32_e32 v21, v0, v21
	v_fma_f32 v16, s16, v16, -v21
	v_fma_f32 v16, -v1, v22, v16
	v_fma_f32 v16, -v2, v23, v16
	;; [unrolled: 1-line block ×3, first 2 shown]
	ds_read_b128 v[21:24], v12 offset:736
	s_waitcnt lgkmcnt(1)
	v_fma_f32 v16, -v17, v25, v16
	v_fma_f32 v16, -v18, v26, v16
	;; [unrolled: 1-line block ×4, first 2 shown]
	ds_read_b128 v[25:28], v12 offset:768
	s_waitcnt lgkmcnt(1)
	v_fma_f32 v16, -v13, v21, v16
	v_fma_f32 v16, -v14, v22, v16
	;; [unrolled: 1-line block ×3, first 2 shown]
	v_mul_f32_e32 v16, v16, v24
	s_waitcnt lgkmcnt(0)
	v_mul_f32_e32 v25, v0, v25
	ds_read_b128 v[21:24], v12 offset:784
	ds_read_b128 v[29:32], v12 offset:800
	s_waitcnt vmcnt(2)
	v_fma_f32 v4, s16, v4, -v25
	v_fma_f32 v4, -v1, v26, v4
	v_fma_f32 v4, -v2, v27, v4
	;; [unrolled: 1-line block ×3, first 2 shown]
	s_waitcnt lgkmcnt(1)
	v_fma_f32 v4, -v17, v21, v4
	v_fma_f32 v4, -v18, v22, v4
	;; [unrolled: 1-line block ×4, first 2 shown]
	ds_read_b32 v33, v12 offset:816
	ds_read_b128 v[21:24], v12 offset:832
	ds_read_b128 v[25:28], v12 offset:848
	s_waitcnt lgkmcnt(3)
	v_fma_f32 v4, -v13, v29, v4
	v_fma_f32 v4, -v14, v30, v4
	v_fma_f32 v4, -v15, v31, v4
	s_waitcnt lgkmcnt(1)
	v_mul_f32_e32 v21, v0, v21
	v_fma_f32 v5, s16, v5, -v21
	v_fma_f32 v5, -v1, v22, v5
	v_fma_f32 v5, -v2, v23, v5
	;; [unrolled: 1-line block ×3, first 2 shown]
	ds_read_b128 v[21:24], v12 offset:864
	s_waitcnt lgkmcnt(1)
	v_fma_f32 v5, -v17, v25, v5
	v_fma_f32 v5, -v18, v26, v5
	;; [unrolled: 1-line block ×4, first 2 shown]
	s_waitcnt lgkmcnt(0)
	v_fma_f32 v5, -v13, v21, v5
	v_fma_f32 v5, -v14, v22, v5
	ds_read_b64 v[21:22], v12 offset:880
	ds_read_b128 v[25:28], v12 offset:896
	v_fma_f32 v4, -v16, v32, v4
	v_fma_f32 v5, -v15, v23, v5
	v_fma_f32 v5, -v16, v24, v5
	v_mul_f32_e32 v4, v4, v33
	s_waitcnt lgkmcnt(1)
	v_fma_f32 v5, -v4, v21, v5
	s_waitcnt lgkmcnt(0)
	v_mul_f32_e32 v21, v0, v25
	v_mul_f32_e32 v5, v5, v22
	v_fma_f32 v6, s16, v6, -v21
	ds_read_b128 v[21:24], v12 offset:912
	v_fma_f32 v6, -v1, v26, v6
	v_fma_f32 v6, -v2, v27, v6
	;; [unrolled: 1-line block ×3, first 2 shown]
	ds_read_b128 v[25:28], v12 offset:928
	s_waitcnt lgkmcnt(1)
	v_fma_f32 v6, -v17, v21, v6
	v_fma_f32 v6, -v18, v22, v6
	;; [unrolled: 1-line block ×4, first 2 shown]
	ds_read_b96 v[29:31], v12 offset:944
	ds_read_b128 v[21:24], v12 offset:960
	s_waitcnt lgkmcnt(2)
	v_fma_f32 v6, -v13, v25, v6
	v_fma_f32 v6, -v14, v26, v6
	;; [unrolled: 1-line block ×4, first 2 shown]
	s_waitcnt lgkmcnt(0)
	v_mul_f32_e32 v0, v0, v21
	ds_read_b128 v[25:28], v12 offset:976
	v_fma_f32 v0, s16, v7, -v0
	v_fma_f32 v0, -v1, v22, v0
	v_fma_f32 v0, -v2, v23, v0
	;; [unrolled: 1-line block ×3, first 2 shown]
	ds_read_b128 v[0:3], v12 offset:992
	s_waitcnt lgkmcnt(1)
	v_fma_f32 v7, -v17, v25, v7
	v_fma_f32 v7, -v18, v26, v7
	;; [unrolled: 1-line block ×4, first 2 shown]
	ds_read_b128 v[17:20], v12 offset:1008
	s_waitcnt lgkmcnt(1)
	v_fma_f32 v0, -v13, v0, v7
	v_fma_f32 v0, -v14, v1, v0
	;; [unrolled: 1-line block ×6, first 2 shown]
	s_waitcnt lgkmcnt(0)
	v_fma_f32 v0, -v4, v17, v0
	v_mul_f32_e32 v6, v6, v31
	v_fma_f32 v0, -v5, v18, v0
	v_fma_f32 v0, -v6, v19, v0
	v_mul_f32_e32 v7, v0, v20
	global_store_dwordx4 v[8:9], v[13:16], off offset:32
	global_store_dwordx4 v[8:9], v[4:7], off offset:48
	s_cmp_lt_i32 s0, s17
	s_cbranch_scc1 .LBB17_11
	s_branch .LBB17_24
.LBB17_10:
	s_mov_b32 s0, 0
	s_cmp_lt_i32 s0, s17
	s_cbranch_scc0 .LBB17_24
.LBB17_11:
	s_or_b32 s13, s0, 11
	s_cmp_ge_u32 s13, s17
	s_cbranch_scc1 .LBB17_19
; %bb.12:
	s_lshl_b32 s1, s0, 2
	v_add_co_u32_e32 v0, vcc, s1, v8
	v_addc_co_u32_e32 v1, vcc, 0, v9, vcc
	global_load_dwordx4 v[2:5], v[0:1], off
	global_load_dwordx4 v[20:23], v[0:1], off offset:16
	global_load_dwordx4 v[24:27], v[0:1], off offset:32
	s_andn2_b64 vcc, exec, s[8:9]
	s_waitcnt vmcnt(2)
	v_mul_f32_e32 v19, s16, v2
	v_mul_f32_e32 v18, s16, v3
	v_mul_f32_e32 v17, s16, v4
	v_mul_f32_e32 v16, s16, v5
	s_waitcnt vmcnt(1)
	v_mul_f32_e32 v15, s16, v20
	v_mul_f32_e32 v14, s16, v21
	v_mul_f32_e32 v13, s16, v22
	v_mul_f32_e32 v12, s16, v23
	;; [unrolled: 5-line block ×3, first 2 shown]
	s_cbranch_vccnz .LBB17_14
; %bb.13:
	s_lshl_b32 s12, s0, 6
	s_lshl_b32 s3, s13, 6
	s_mov_b64 s[8:9], 0
	s_branch .LBB17_15
.LBB17_14:
	s_mov_b64 s[8:9], -1
                                        ; implicit-def: $sgpr12
                                        ; implicit-def: $sgpr3
.LBB17_15:
	s_andn2_b64 vcc, exec, s[8:9]
	s_cbranch_vccnz .LBB17_18
; %bb.16:
	s_lshl_b32 s12, s0, 6
	s_lshl_b32 s3, s13, 6
	s_add_u32 s6, s10, s6
	s_addc_u32 s7, s11, s7
	s_add_u32 s4, s6, s4
	s_addc_u32 s5, s7, s5
	v_mov_b32_e32 v2, s5
	v_add_co_u32_e32 v3, vcc, s4, v10
	v_addc_co_u32_e32 v10, vcc, v2, v11, vcc
	v_add_co_u32_e32 v2, vcc, 8, v3
	v_addc_co_u32_e32 v3, vcc, 0, v10, vcc
	s_mov_b32 s4, s0
	s_mov_b32 s5, s12
.LBB17_17:                              ; =>This Inner Loop Header: Depth=1
	global_load_dwordx4 v[20:23], v[2:3], off offset:-8
	v_mov_b32_e32 v10, s5
	ds_read_b128 v[24:27], v10
	ds_read_b128 v[28:31], v10 offset:64
	ds_read_b128 v[32:35], v10 offset:128
	s_add_i32 s5, s5, 16
	s_add_i32 s4, s4, -4
	v_add_co_u32_e32 v2, vcc, 16, v2
	v_addc_co_u32_e32 v3, vcc, 0, v3, vcc
	s_cmp_lg_u32 s4, 0
	s_waitcnt vmcnt(0) lgkmcnt(2)
	v_fma_f32 v11, -v20, v24, v19
	v_fma_f32 v11, -v21, v25, v11
	;; [unrolled: 1-line block ×4, first 2 shown]
	s_waitcnt lgkmcnt(1)
	v_fma_f32 v11, -v20, v28, v18
	ds_read_b128 v[24:27], v10 offset:192
	v_fma_f32 v11, -v21, v29, v11
	v_fma_f32 v11, -v22, v30, v11
	v_fma_f32 v18, -v23, v31, v11
	s_waitcnt lgkmcnt(1)
	v_fma_f32 v11, -v20, v32, v17
	ds_read_b128 v[28:31], v10 offset:256
	v_fma_f32 v11, -v21, v33, v11
	v_fma_f32 v11, -v22, v34, v11
	v_fma_f32 v17, -v23, v35, v11
	;; [unrolled: 6-line block ×3, first 2 shown]
	s_waitcnt lgkmcnt(1)
	v_fma_f32 v11, -v20, v28, v15
	v_fma_f32 v11, -v21, v29, v11
	;; [unrolled: 1-line block ×3, first 2 shown]
	ds_read_b128 v[24:27], v10 offset:384
	v_fma_f32 v15, -v23, v31, v11
	s_waitcnt lgkmcnt(1)
	v_fma_f32 v11, -v20, v32, v14
	v_fma_f32 v11, -v21, v33, v11
	;; [unrolled: 1-line block ×3, first 2 shown]
	ds_read_b128 v[28:31], v10 offset:448
	v_fma_f32 v14, -v23, v35, v11
	ds_read_b128 v[32:35], v10 offset:512
	s_waitcnt lgkmcnt(2)
	v_fma_f32 v11, -v20, v24, v13
	v_fma_f32 v11, -v21, v25, v11
	;; [unrolled: 1-line block ×4, first 2 shown]
	s_waitcnt lgkmcnt(1)
	v_fma_f32 v11, -v20, v28, v12
	s_waitcnt lgkmcnt(0)
	v_fma_f32 v7, -v20, v32, v7
	v_fma_f32 v11, -v21, v29, v11
	;; [unrolled: 1-line block ×5, first 2 shown]
	ds_read_b128 v[24:27], v10 offset:576
	v_fma_f32 v12, -v23, v31, v11
	ds_read_b128 v[28:31], v10 offset:640
	v_fma_f32 v7, -v23, v35, v7
	ds_read_b128 v[32:35], v10 offset:704
	s_waitcnt lgkmcnt(2)
	v_fma_f32 v6, -v20, v24, v6
	v_fma_f32 v6, -v21, v25, v6
	s_waitcnt lgkmcnt(1)
	v_fma_f32 v5, -v20, v28, v5
	v_fma_f32 v5, -v21, v29, v5
	;; [unrolled: 3-line block ×3, first 2 shown]
	v_fma_f32 v6, -v22, v26, v6
	v_fma_f32 v5, -v22, v30, v5
	;; [unrolled: 1-line block ×6, first 2 shown]
	s_cbranch_scc1 .LBB17_17
.LBB17_18:
	s_add_i32 s4, s1, s12
	v_mov_b32_e32 v10, s4
	s_lshl_b32 s4, s0, 6
	s_add_i32 s4, s1, s4
	ds_read2_b32 v[2:3], v10 offset1:68
	v_mov_b32_e32 v32, s4
	ds_read2_b64 v[20:23], v32 offset0:8 offset1:42
	ds_read_b96 v[26:28], v32 offset:128
	s_add_i32 s1, s1, s3
	s_waitcnt lgkmcnt(2)
	v_mul_f32_e32 v24, v19, v2
	s_or_b32 s0, s0, 12
	s_waitcnt lgkmcnt(1)
	v_fma_f32 v2, -v24, v20, v18
	v_mul_f32_e32 v25, v2, v21
	ds_read_b128 v[18:21], v32 offset:192
	ds_read_b32 v2, v10 offset:544
	s_waitcnt lgkmcnt(2)
	v_fma_f32 v10, -v24, v26, v17
	v_fma_f32 v10, -v25, v27, v10
	v_mul_f32_e32 v26, v10, v28
	ds_read_b128 v[28:31], v32 offset:256
	s_waitcnt lgkmcnt(2)
	v_fma_f32 v10, -v24, v18, v16
	v_fma_f32 v10, -v25, v19, v10
	;; [unrolled: 1-line block ×3, first 2 shown]
	v_mul_f32_e32 v27, v10, v21
	s_waitcnt lgkmcnt(0)
	v_fma_f32 v10, -v24, v28, v15
	ds_read_b128 v[15:18], v32 offset:320
	v_fma_f32 v10, -v25, v29, v10
	v_fma_f32 v10, -v26, v30, v10
	;; [unrolled: 1-line block ×3, first 2 shown]
	v_mul_f32_e32 v19, v10, v3
	ds_read_b128 v[28:31], v32 offset:384
	s_waitcnt lgkmcnt(1)
	v_fma_f32 v3, -v24, v15, v14
	v_fma_f32 v3, -v25, v16, v3
	;; [unrolled: 1-line block ×5, first 2 shown]
	v_mul_f32_e32 v20, v3, v23
	ds_read_b96 v[21:23], v32 offset:400
	s_waitcnt lgkmcnt(1)
	v_fma_f32 v3, -v24, v28, v13
	v_fma_f32 v3, -v25, v29, v3
	ds_read_b128 v[13:16], v32 offset:448
	v_fma_f32 v3, -v26, v30, v3
	v_fma_f32 v3, -v27, v31, v3
	s_waitcnt lgkmcnt(1)
	v_fma_f32 v3, -v19, v21, v3
	v_fma_f32 v3, -v20, v22, v3
	v_mul_f32_e32 v21, v3, v23
	s_waitcnt lgkmcnt(0)
	v_fma_f32 v3, -v24, v13, v12
	ds_read_b128 v[10:13], v32 offset:464
	v_fma_f32 v3, -v25, v14, v3
	v_fma_f32 v3, -v26, v15, v3
	;; [unrolled: 1-line block ×3, first 2 shown]
	ds_read_b128 v[14:17], v32 offset:512
	s_waitcnt lgkmcnt(1)
	v_fma_f32 v3, -v19, v10, v3
	v_fma_f32 v3, -v20, v11, v3
	;; [unrolled: 1-line block ×3, first 2 shown]
	v_mul_f32_e32 v22, v3, v13
	ds_read_b128 v[10:13], v32 offset:528
	s_waitcnt lgkmcnt(1)
	v_fma_f32 v3, -v24, v14, v7
	v_fma_f32 v3, -v25, v15, v3
	;; [unrolled: 1-line block ×4, first 2 shown]
	ds_read_b128 v[14:17], v32 offset:576
	s_waitcnt lgkmcnt(1)
	v_fma_f32 v3, -v19, v10, v3
	v_fma_f32 v3, -v20, v11, v3
	v_fma_f32 v3, -v21, v12, v3
	v_fma_f32 v3, -v22, v13, v3
	v_mul_f32_e32 v10, v3, v2
	s_waitcnt lgkmcnt(0)
	v_fma_f32 v2, -v24, v14, v6
	ds_read_b128 v[11:14], v32 offset:592
	v_fma_f32 v2, -v25, v15, v2
	v_fma_f32 v2, -v26, v16, v2
	;; [unrolled: 1-line block ×3, first 2 shown]
	ds_read_b64 v[2:3], v32 offset:608
	s_waitcnt lgkmcnt(1)
	v_fma_f32 v6, -v19, v11, v6
	ds_read_b128 v[15:18], v32 offset:640
	v_fma_f32 v6, -v20, v12, v6
	v_fma_f32 v6, -v21, v13, v6
	;; [unrolled: 1-line block ×3, first 2 shown]
	s_waitcnt lgkmcnt(1)
	v_fma_f32 v2, -v10, v2, v6
	ds_read_b128 v[28:31], v32 offset:656
	v_mul_f32_e32 v11, v2, v3
	s_waitcnt lgkmcnt(1)
	v_fma_f32 v2, -v24, v15, v5
	v_fma_f32 v2, -v25, v16, v2
	;; [unrolled: 1-line block ×4, first 2 shown]
	ds_read_b96 v[5:7], v32 offset:672
	v_mov_b32_e32 v3, s1
	ds_read_b128 v[13:16], v3
	s_waitcnt lgkmcnt(2)
	v_fma_f32 v2, -v19, v28, v2
	v_fma_f32 v2, -v20, v29, v2
	;; [unrolled: 1-line block ×4, first 2 shown]
	s_waitcnt lgkmcnt(1)
	v_fma_f32 v2, -v10, v5, v2
	global_store_dwordx4 v[0:1], v[24:27], off
	global_store_dwordx4 v[0:1], v[19:22], off offset:16
	v_fma_f32 v2, -v11, v6, v2
	v_mul_f32_e32 v12, v2, v7
	ds_read_b128 v[28:31], v3 offset:16
	ds_read_b128 v[32:35], v3 offset:32
	s_waitcnt lgkmcnt(2)
	v_fma_f32 v2, -v24, v13, v4
	v_fma_f32 v2, -v25, v14, v2
	;; [unrolled: 1-line block ×4, first 2 shown]
	s_waitcnt lgkmcnt(1)
	v_fma_f32 v2, -v19, v28, v2
	v_fma_f32 v2, -v20, v29, v2
	v_fma_f32 v2, -v21, v30, v2
	v_fma_f32 v2, -v22, v31, v2
	s_waitcnt lgkmcnt(0)
	v_fma_f32 v2, -v10, v32, v2
	v_fma_f32 v2, -v11, v33, v2
	v_fma_f32 v2, -v12, v34, v2
	v_mul_f32_e32 v13, v2, v35
	global_store_dwordx4 v[0:1], v[10:13], off offset:32
.LBB17_19:
	s_cmp_ge_i32 s0, s17
	s_cbranch_scc1 .LBB17_24
; %bb.20:
	s_lshl_b32 s3, s0, 6
	s_mov_b32 s1, 0
	s_branch .LBB17_22
.LBB17_21:                              ;   in Loop: Header=BB17_22 Depth=1
	s_mul_i32 s4, s0, 0x44
	v_mov_b32_e32 v2, s4
	ds_read_b32 v2, v2
	s_add_i32 s0, s0, 1
	s_add_i32 s3, s3, 64
	s_cmp_ge_i32 s0, s17
	s_waitcnt lgkmcnt(0)
	v_mul_f32_e32 v2, v4, v2
	global_store_dword v[0:1], v2, off
	s_cbranch_scc1 .LBB17_24
.LBB17_22:                              ; =>This Loop Header: Depth=1
                                        ;     Child Loop BB17_23 Depth 2
	s_lshl_b64 s[4:5], s[0:1], 2
	v_mov_b32_e32 v1, s5
	v_add_co_u32_e32 v0, vcc, s4, v8
	v_addc_co_u32_e32 v1, vcc, v9, v1, vcc
	global_load_dword v4, v[0:1], off
	v_mov_b32_e32 v2, v8
	v_mov_b32_e32 v3, v9
	s_mov_b32 s4, s0
	s_cmp_eq_u32 s0, 0
	s_mov_b32 s5, s3
	s_waitcnt vmcnt(0)
	v_mul_f32_e32 v4, s16, v4
	s_cbranch_scc1 .LBB17_21
.LBB17_23:                              ;   Parent Loop BB17_22 Depth=1
                                        ; =>  This Inner Loop Header: Depth=2
	global_load_dword v5, v[2:3], off
	v_mov_b32_e32 v6, s5
	ds_read_b32 v6, v6
	s_add_i32 s5, s5, 4
	s_add_i32 s4, s4, -1
	v_add_co_u32_e32 v2, vcc, 4, v2
	v_addc_co_u32_e32 v3, vcc, 0, v3, vcc
	s_cmp_lg_u32 s4, 0
	s_waitcnt vmcnt(0) lgkmcnt(0)
	v_fma_f32 v4, -v5, v6, v4
	s_cbranch_scc1 .LBB17_23
	s_branch .LBB17_21
.LBB17_24:
	s_mov_b64 s[0:1], 0
.LBB17_25:
	s_and_b64 vcc, exec, s[0:1]
	s_cbranch_vccz .LBB17_51
; %bb.26:
	s_add_i32 s8, s17, -1
	s_cmp_gt_i32 s2, 15
	s_mov_b32 s0, -1
	s_cbranch_scc0 .LBB17_28
; %bb.27:
	global_load_dwordx4 v[0:3], v[8:9], off offset:48
	global_load_dwordx4 v[10:13], v[8:9], off offset:32
	v_mov_b32_e32 v24, 0
	ds_read_b128 v[4:7], v24 offset:1008
	ds_read_b128 v[14:17], v24 offset:992
	;; [unrolled: 1-line block ×3, first 2 shown]
	s_waitcnt vmcnt(1)
	v_mul_f32_e32 v3, s16, v3
	s_waitcnt lgkmcnt(2)
	v_mul_f32_e32 v3, v3, v7
	v_mul_f32_e32 v22, v3, v6
	;; [unrolled: 1-line block ×4, first 2 shown]
	global_load_dwordx4 v[4:7], v[8:9], off offset:16
	s_waitcnt lgkmcnt(1)
	v_mul_f32_e32 v26, v3, v17
	v_mul_f32_e32 v27, v3, v16
	;; [unrolled: 1-line block ×4, first 2 shown]
	global_load_dwordx4 v[14:17], v[8:9], off
	s_waitcnt vmcnt(2)
	v_fma_f32 v26, s16, v13, -v26
	v_fma_f32 v27, s16, v12, -v27
	;; [unrolled: 1-line block ×4, first 2 shown]
	ds_read_b128 v[10:13], v24 offset:960
	s_waitcnt lgkmcnt(1)
	v_mul_f32_e32 v21, v3, v21
	v_mul_f32_e32 v20, v3, v20
	;; [unrolled: 1-line block ×4, first 2 shown]
	v_fma_f32 v22, s16, v2, -v22
	v_fma_f32 v23, s16, v1, -v23
	;; [unrolled: 1-line block ×3, first 2 shown]
	ds_read_b96 v[0:2], v24 offset:944
	s_waitcnt lgkmcnt(0)
	v_mul_f32_e32 v2, v22, v2
	v_fma_f32 v1, -v2, v1, v23
	v_fma_f32 v0, -v2, v0, v25
	s_waitcnt vmcnt(1)
	v_fma_f32 v21, s16, v7, -v21
	v_fma_f32 v20, s16, v6, -v20
	;; [unrolled: 1-line block ×4, first 2 shown]
	v_mul_f32_e32 v4, v3, v13
	v_mul_f32_e32 v5, v3, v12
	;; [unrolled: 1-line block ×4, first 2 shown]
	s_waitcnt vmcnt(0)
	v_fma_f32 v17, s16, v17, -v4
	v_fma_f32 v16, s16, v16, -v5
	;; [unrolled: 1-line block ×4, first 2 shown]
	ds_read_b128 v[4:7], v24 offset:928
	ds_read_b128 v[10:13], v24 offset:912
	ds_read_b64 v[14:15], v24 offset:880
	s_waitcnt lgkmcnt(2)
	v_fma_f32 v22, -v2, v7, v26
	v_fma_f32 v26, -v2, v6, v27
	;; [unrolled: 1-line block ×4, first 2 shown]
	ds_read_b128 v[4:7], v24 offset:896
	s_waitcnt lgkmcnt(2)
	v_fma_f32 v21, -v2, v13, v21
	v_fma_f32 v20, -v2, v12, v20
	;; [unrolled: 1-line block ×4, first 2 shown]
	s_waitcnt lgkmcnt(0)
	v_fma_f32 v17, -v2, v7, v17
	v_fma_f32 v16, -v2, v6, v16
	;; [unrolled: 1-line block ×4, first 2 shown]
	ds_read_b128 v[4:7], v24 offset:864
	ds_read_b128 v[10:13], v24 offset:848
	v_mul_f32_e32 v1, v1, v15
	v_fma_f32 v0, -v1, v14, v0
	s_waitcnt lgkmcnt(1)
	v_fma_f32 v22, -v1, v7, v22
	v_fma_f32 v23, -v1, v6, v26
	;; [unrolled: 1-line block ×4, first 2 shown]
	ds_read_b128 v[4:7], v24 offset:832
	ds_read_b32 v15, v24 offset:816
	s_waitcnt lgkmcnt(2)
	v_fma_f32 v21, -v1, v13, v21
	v_fma_f32 v20, -v1, v12, v20
	;; [unrolled: 1-line block ×4, first 2 shown]
	s_waitcnt lgkmcnt(1)
	v_fma_f32 v27, -v1, v7, v17
	v_fma_f32 v28, -v1, v6, v16
	;; [unrolled: 1-line block ×4, first 2 shown]
	ds_read_b128 v[4:7], v24 offset:800
	ds_read_b128 v[10:13], v24 offset:784
	s_waitcnt lgkmcnt(2)
	v_mul_f32_e32 v0, v0, v15
	ds_read_b128 v[14:17], v24 offset:768
	global_store_dwordx4 v[8:9], v[0:3], off offset:48
	s_waitcnt lgkmcnt(2)
	v_fma_f32 v22, -v0, v7, v22
	v_fma_f32 v23, -v0, v6, v23
	;; [unrolled: 1-line block ×4, first 2 shown]
	ds_read_b128 v[4:7], v24 offset:736
	s_waitcnt lgkmcnt(2)
	v_fma_f32 v21, -v0, v13, v21
	v_fma_f32 v20, -v0, v12, v20
	v_fma_f32 v19, -v0, v11, v19
	v_fma_f32 v18, -v0, v10, v18
	ds_read_b128 v[10:13], v24 offset:720
	s_waitcnt lgkmcnt(1)
	v_mul_f32_e32 v3, v22, v7
	v_fma_f32 v27, -v0, v17, v27
	v_fma_f32 v28, -v0, v16, v28
	;; [unrolled: 1-line block ×7, first 2 shown]
	ds_read_b128 v[4:7], v24 offset:704
	s_waitcnt lgkmcnt(1)
	v_fma_f32 v16, -v3, v13, v21
	v_fma_f32 v17, -v3, v12, v20
	;; [unrolled: 1-line block ×4, first 2 shown]
	ds_read_b96 v[0:2], v24 offset:672
	ds_read_b128 v[10:13], v24 offset:656
	ds_read_b64 v[22:23], v24 offset:608
	s_waitcnt lgkmcnt(3)
	v_fma_f32 v7, -v3, v7, v27
	v_fma_f32 v6, -v3, v6, v28
	s_waitcnt lgkmcnt(2)
	v_mul_f32_e32 v2, v14, v2
	s_waitcnt lgkmcnt(1)
	v_fma_f32 v26, -v2, v13, v16
	v_fma_f32 v31, -v2, v12, v17
	;; [unrolled: 1-line block ×5, first 2 shown]
	ds_read_b128 v[10:13], v24 offset:640
	ds_read_b128 v[14:17], v24 offset:592
	;; [unrolled: 1-line block ×3, first 2 shown]
	s_waitcnt lgkmcnt(3)
	v_mul_f32_e32 v1, v1, v23
	v_fma_f32 v0, -v2, v0, v25
	v_fma_f32 v0, -v1, v22, v0
	s_waitcnt lgkmcnt(1)
	v_fma_f32 v23, -v1, v17, v26
	v_fma_f32 v26, -v1, v16, v31
	;; [unrolled: 1-line block ×4, first 2 shown]
	ds_read_b32 v22, v24 offset:544
	ds_read_b128 v[14:17], v24 offset:528
	v_fma_f32 v5, -v3, v5, v29
	v_fma_f32 v4, -v3, v4, v30
	;; [unrolled: 1-line block ×3, first 2 shown]
	s_waitcnt lgkmcnt(1)
	v_mul_f32_e32 v0, v0, v22
	s_waitcnt lgkmcnt(0)
	v_fma_f32 v25, -v0, v14, v32
	v_fma_f32 v12, -v2, v12, v6
	;; [unrolled: 1-line block ×5, first 2 shown]
	ds_read_b128 v[4:7], v24 offset:512
	v_fma_f32 v17, -v0, v17, v23
	v_fma_f32 v22, -v0, v16, v26
	v_fma_f32 v23, -v0, v15, v31
	v_fma_f32 v15, -v1, v20, v12
	v_fma_f32 v16, -v1, v19, v11
	v_fma_f32 v18, -v1, v18, v10
	ds_read_b128 v[10:13], v24 offset:464
	s_waitcnt lgkmcnt(1)
	v_fma_f32 v19, -v0, v7, v14
	v_fma_f32 v20, -v0, v6, v15
	v_fma_f32 v21, -v0, v5, v16
	ds_read_b96 v[14:16], v24 offset:400
	global_store_dwordx4 v[8:9], v[0:3], off offset:32
	v_fma_f32 v18, -v0, v4, v18
	s_waitcnt lgkmcnt(1)
	v_mul_f32_e32 v3, v17, v13
	v_fma_f32 v0, -v3, v12, v22
	ds_read_b128 v[4:7], v24 offset:448
	s_waitcnt lgkmcnt(1)
	v_mul_f32_e32 v2, v0, v16
	ds_read_b64 v[0:1], v24 offset:336
	v_fma_f32 v11, -v3, v11, v23
	v_fma_f32 v10, -v3, v10, v25
	;; [unrolled: 1-line block ×4, first 2 shown]
	ds_read_b32 v22, v24 offset:272
	ds_read_b128 v[10:13], v24 offset:384
	s_waitcnt lgkmcnt(2)
	v_mul_f32_e32 v1, v15, v1
	v_fma_f32 v0, -v1, v0, v14
	ds_read_b128 v[14:17], v24 offset:320
	v_fma_f32 v7, -v3, v7, v19
	v_fma_f32 v6, -v3, v6, v20
	;; [unrolled: 1-line block ×4, first 2 shown]
	s_waitcnt lgkmcnt(1)
	v_fma_f32 v7, -v2, v13, v7
	s_waitcnt lgkmcnt(0)
	v_fma_f32 v17, -v1, v17, v7
	v_fma_f32 v12, -v2, v12, v6
	;; [unrolled: 1-line block ×4, first 2 shown]
	ds_read_b128 v[4:7], v24 offset:256
	v_fma_f32 v16, -v1, v16, v12
	v_fma_f32 v15, -v1, v15, v11
	v_fma_f32 v14, -v1, v14, v10
	ds_read_b128 v[10:13], v24 offset:192
	v_mul_f32_e32 v0, v0, v22
	s_waitcnt lgkmcnt(1)
	v_fma_f32 v16, -v0, v6, v16
	v_fma_f32 v15, -v0, v5, v15
	;; [unrolled: 1-line block ×3, first 2 shown]
	ds_read_b96 v[4:6], v24 offset:128
	v_fma_f32 v7, -v0, v7, v17
	global_store_dwordx4 v[8:9], v[0:3], off offset:16
	ds_read_b64 v[0:1], v24 offset:64
	s_waitcnt lgkmcnt(2)
	v_mul_f32_e32 v3, v7, v13
	v_fma_f32 v2, -v3, v12, v16
	s_waitcnt lgkmcnt(1)
	v_mul_f32_e32 v2, v2, v6
	v_fma_f32 v6, -v3, v11, v15
	v_fma_f32 v5, -v2, v5, v6
	ds_read_b32 v6, v24
	s_waitcnt lgkmcnt(1)
	v_mul_f32_e32 v1, v5, v1
	v_fma_f32 v5, -v3, v10, v14
	v_fma_f32 v4, -v2, v4, v5
	;; [unrolled: 1-line block ×3, first 2 shown]
	s_waitcnt lgkmcnt(0)
	v_mul_f32_e32 v0, v0, v6
	global_store_dwordx4 v[8:9], v[0:3], off
	s_cmp_gt_i32 s0, -1
	s_cbranch_scc1 .LBB17_29
	s_branch .LBB17_51
.LBB17_28:
	s_mov_b32 s0, s8
	s_cmp_gt_i32 s0, -1
	s_cbranch_scc0 .LBB17_51
.LBB17_29:
	s_cmp_lt_u32 s0, 11
	s_cbranch_scc1 .LBB17_34
; %bb.30:
	s_mov_b32 s3, 0
	s_mov_b32 s1, s3
	s_lshl_b64 s[4:5], s[0:1], 2
	v_mov_b32_e32 v1, s5
	v_add_co_u32_e32 v0, vcc, s4, v8
	v_addc_co_u32_e32 v1, vcc, v9, v1, vcc
	global_load_dwordx4 v[2:5], v[0:1], off offset:-12
	global_load_dwordx4 v[16:19], v[0:1], off offset:-28
	;; [unrolled: 1-line block ×3, first 2 shown]
	s_cmp_le_i32 s8, s0
	s_waitcnt vmcnt(2)
	v_mul_f32_e32 v5, s16, v5
	v_mul_f32_e32 v15, s16, v4
	v_mul_f32_e32 v14, s16, v3
	v_mul_f32_e32 v6, s16, v2
	s_waitcnt vmcnt(1)
	v_mul_f32_e32 v7, s16, v19
	v_mul_f32_e32 v11, s16, v18
	v_mul_f32_e32 v13, s16, v17
	v_mul_f32_e32 v12, s16, v16
	;; [unrolled: 5-line block ×3, first 2 shown]
	s_cbranch_scc1 .LBB17_33
; %bb.31:
	s_lshl_b32 s1, s17, 6
	s_lshl_b32 s2, s0, 2
	s_add_i32 s1, s1, s2
	s_addk_i32 s1, 0xff94
	s_mov_b32 s2, s8
.LBB17_32:                              ; =>This Inner Loop Header: Depth=1
	s_lshl_b64 s[4:5], s[2:3], 2
	v_mov_b32_e32 v17, s5
	v_add_co_u32_e32 v16, vcc, s4, v8
	v_addc_co_u32_e32 v17, vcc, v9, v17, vcc
	global_load_dword v28, v[16:17], off
	v_mov_b32_e32 v26, s1
	ds_read2_b32 v[16:17], v26 offset0:10 offset1:11
	ds_read2_b32 v[18:19], v26 offset0:8 offset1:9
	;; [unrolled: 1-line block ×5, first 2 shown]
	ds_read2_b32 v[26:27], v26 offset1:1
	s_add_i32 s2, s2, -1
	s_sub_i32 s1, s1, 64
	s_cmp_gt_i32 s2, s0
	s_waitcnt vmcnt(0) lgkmcnt(5)
	v_fma_f32 v5, -v28, v17, v5
	v_fma_f32 v15, -v28, v16, v15
	s_waitcnt lgkmcnt(4)
	v_fma_f32 v14, -v28, v19, v14
	v_fma_f32 v6, -v28, v18, v6
	s_waitcnt lgkmcnt(3)
	;; [unrolled: 3-line block ×5, first 2 shown]
	v_fma_f32 v3, -v28, v27, v3
	v_fma_f32 v2, -v28, v26, v2
	s_cbranch_scc1 .LBB17_32
.LBB17_33:
	s_add_i32 s2, s0, -1
	s_lshl_b32 s3, s2, 2
	s_lshl_b32 s1, s0, 6
	s_add_i32 s4, s3, s1
	s_lshl_b32 s9, s2, 6
	s_add_i32 s6, s0, -3
	v_mov_b32_e32 v16, s4
	s_add_i32 s3, s3, s9
	s_lshl_b32 s7, s6, 2
	ds_read2_b32 v[16:17], v16 offset1:1
	v_mov_b32_e32 v18, s3
	s_add_i32 s3, s7, s1
	v_mov_b32_e32 v19, s3
	s_add_i32 s3, s7, s9
	v_mov_b32_e32 v20, s3
	ds_read_b32 v22, v18
	ds_read2_b32 v[18:19], v19 offset1:1
	ds_read2_b32 v[20:21], v20 offset1:1
	s_mov_b32 s3, 0
	s_lshl_b64 s[4:5], s[2:3], 2
	s_add_i32 s2, s0, -2
	s_waitcnt lgkmcnt(3)
	v_mul_f32_e32 v5, v5, v17
	s_lshl_b32 s10, s2, 6
	global_store_dword v[0:1], v5, off
	v_fma_f32 v0, -v5, v16, v15
	v_mov_b32_e32 v1, s5
	v_add_co_u32_e32 v15, vcc, s4, v8
	s_add_i32 s4, s7, s10
	s_waitcnt lgkmcnt(2)
	v_mul_f32_e32 v0, v0, v22
	v_addc_co_u32_e32 v16, vcc, v9, v1, vcc
	s_waitcnt lgkmcnt(1)
	v_fma_f32 v1, -v5, v19, v14
	v_mov_b32_e32 v14, s4
	s_lshl_b32 s11, s6, 6
	global_store_dword v[15:16], v0, off
	ds_read2_b32 v[14:15], v14 offset1:1
	s_add_i32 s4, s7, s11
	v_mov_b32_e32 v16, s4
	s_add_i32 s4, s0, -5
	s_lshl_b32 s5, s4, 2
	s_add_i32 s7, s5, s1
	s_waitcnt lgkmcnt(1)
	v_fma_f32 v1, -v0, v21, v1
	v_mov_b32_e32 v17, s7
	s_add_i32 s7, s5, s9
	s_lshl_b64 s[12:13], s[2:3], 2
	v_mov_b32_e32 v19, s7
	ds_read_b32 v25, v16
	ds_read2_b32 v[16:17], v17 offset1:1
	ds_read2_b32 v[21:22], v19 offset1:1
	s_waitcnt lgkmcnt(3)
	v_mul_f32_e32 v1, v1, v15
	v_mov_b32_e32 v15, s13
	v_add_co_u32_e32 v23, vcc, s12, v8
	v_fma_f32 v6, -v5, v18, v6
	s_mov_b32 s7, s3
	v_addc_co_u32_e32 v24, vcc, v9, v15, vcc
	v_fma_f32 v6, -v0, v20, v6
	s_lshl_b64 s[6:7], s[6:7], 2
	v_fma_f32 v6, -v1, v14, v6
	v_mov_b32_e32 v15, s7
	v_add_co_u32_e32 v14, vcc, s6, v8
	s_waitcnt lgkmcnt(2)
	v_mul_f32_e32 v6, v6, v25
	v_addc_co_u32_e32 v15, vcc, v9, v15, vcc
	s_add_i32 s2, s0, -4
	s_add_i32 s6, s5, s10
	global_store_dword v[14:15], v6, off
	v_mov_b32_e32 v14, s6
	s_add_i32 s6, s5, s11
	s_lshl_b32 s12, s2, 6
	s_waitcnt lgkmcnt(1)
	v_fma_f32 v7, -v5, v17, v7
	v_mov_b32_e32 v17, s6
	s_add_i32 s6, s5, s12
	global_store_dword v[23:24], v1, off
	v_mov_b32_e32 v19, s6
	s_lshl_b32 s13, s4, 6
	ds_read2_b32 v[14:15], v14 offset1:1
	ds_read2_b32 v[17:18], v17 offset1:1
	;; [unrolled: 1-line block ×3, first 2 shown]
	s_add_i32 s5, s5, s13
	s_waitcnt lgkmcnt(3)
	v_fma_f32 v7, -v0, v22, v7
	v_mov_b32_e32 v22, s5
	ds_read_b32 v24, v22
	s_lshl_b64 s[6:7], s[2:3], 2
	v_fma_f32 v11, -v5, v16, v11
	s_waitcnt lgkmcnt(3)
	v_fma_f32 v7, -v1, v15, v7
	v_mov_b32_e32 v15, s7
	v_add_co_u32_e32 v22, vcc, s6, v8
	v_fma_f32 v11, -v0, v21, v11
	s_mov_b32 s5, s3
	s_waitcnt lgkmcnt(2)
	v_fma_f32 v7, -v6, v18, v7
	v_addc_co_u32_e32 v23, vcc, v9, v15, vcc
	v_fma_f32 v11, -v1, v14, v11
	s_lshl_b64 s[4:5], s[4:5], 2
	s_waitcnt lgkmcnt(1)
	v_mul_f32_e32 v7, v7, v20
	v_fma_f32 v11, -v6, v17, v11
	v_add_co_u32_e32 v14, vcc, s4, v8
	s_add_i32 s4, s0, -7
	v_fma_f32 v11, -v7, v19, v11
	v_mov_b32_e32 v15, s5
	s_lshl_b32 s5, s4, 2
	s_waitcnt lgkmcnt(0)
	v_mul_f32_e32 v11, v11, v24
	v_addc_co_u32_e32 v15, vcc, v9, v15, vcc
	s_add_i32 s2, s5, s1
	global_store_dword v[14:15], v11, off
	v_mov_b32_e32 v14, s2
	s_add_i32 s2, s5, s9
	v_mov_b32_e32 v16, s2
	s_add_i32 s2, s5, s10
	;; [unrolled: 2-line block ×3, first 2 shown]
	global_store_dword v[22:23], v7, off
	v_mov_b32_e32 v20, s2
	ds_read2_b32 v[14:15], v14 offset1:1
	ds_read2_b32 v[16:17], v16 offset1:1
	;; [unrolled: 1-line block ×4, first 2 shown]
	s_add_i32 s2, s0, -6
	s_waitcnt lgkmcnt(3)
	v_fma_f32 v13, -v5, v15, v13
	s_add_i32 s6, s5, s12
	s_waitcnt lgkmcnt(2)
	v_fma_f32 v13, -v0, v17, v13
	v_mov_b32_e32 v15, s6
	s_add_i32 s6, s5, s13
	s_lshl_b32 s14, s2, 6
	s_waitcnt lgkmcnt(1)
	v_fma_f32 v13, -v1, v19, v13
	v_mov_b32_e32 v17, s6
	s_add_i32 s6, s5, s14
	s_lshl_b32 s15, s4, 6
	s_waitcnt lgkmcnt(0)
	v_fma_f32 v13, -v6, v21, v13
	v_mov_b32_e32 v19, s6
	ds_read2_b32 v[21:22], v15 offset1:1
	ds_read2_b32 v[23:24], v17 offset1:1
	;; [unrolled: 1-line block ×3, first 2 shown]
	s_add_i32 s5, s5, s15
	v_fma_f32 v12, -v5, v14, v12
	v_mov_b32_e32 v15, s5
	v_fma_f32 v12, -v0, v16, v12
	ds_read_b32 v15, v15
	v_fma_f32 v12, -v1, v18, v12
	s_waitcnt lgkmcnt(3)
	v_fma_f32 v13, -v7, v22, v13
	v_fma_f32 v12, -v6, v20, v12
	s_waitcnt lgkmcnt(2)
	v_fma_f32 v13, -v11, v24, v13
	s_lshl_b64 s[6:7], s[2:3], 2
	v_fma_f32 v12, -v7, v21, v12
	s_waitcnt lgkmcnt(1)
	v_mul_f32_e32 v35, v13, v26
	v_mov_b32_e32 v13, s7
	v_add_co_u32_e32 v26, vcc, s6, v8
	v_fma_f32 v12, -v11, v23, v12
	s_mov_b32 s5, s3
	v_addc_co_u32_e32 v27, vcc, v9, v13, vcc
	v_fma_f32 v12, -v35, v25, v12
	s_lshl_b64 s[4:5], s[4:5], 2
	s_add_i32 s6, s0, -9
	s_waitcnt lgkmcnt(0)
	v_mul_f32_e32 v36, v12, v15
	v_mov_b32_e32 v13, s5
	v_add_co_u32_e32 v12, vcc, s4, v8
	s_lshl_b32 s7, s6, 2
	v_addc_co_u32_e32 v13, vcc, v9, v13, vcc
	s_add_i32 s4, s7, s1
	global_store_dword v[12:13], v36, off
	v_mov_b32_e32 v12, s4
	s_add_i32 s4, s7, s9
	v_mov_b32_e32 v14, s4
	s_add_i32 s4, s7, s10
	global_store_dword v[26:27], v35, off
	v_mov_b32_e32 v16, s4
	ds_read2_b32 v[12:13], v12 offset1:1
	ds_read2_b32 v[14:15], v14 offset1:1
	;; [unrolled: 1-line block ×3, first 2 shown]
	s_add_i32 s4, s7, s11
	v_mov_b32_e32 v18, s4
	s_add_i32 s4, s7, s12
	ds_read2_b32 v[18:19], v18 offset1:1
	s_waitcnt lgkmcnt(3)
	v_fma_f32 v10, -v5, v13, v10
	v_mov_b32_e32 v13, s4
	s_add_i32 s4, s7, s13
	s_waitcnt lgkmcnt(2)
	v_fma_f32 v10, -v0, v15, v10
	v_mov_b32_e32 v15, s4
	s_add_i32 s4, s7, s14
	;; [unrolled: 4-line block ×3, first 2 shown]
	v_mov_b32_e32 v28, s4
	ds_read2_b32 v[22:23], v13 offset1:1
	ds_read2_b32 v[24:25], v15 offset1:1
	;; [unrolled: 1-line block ×4, first 2 shown]
	s_add_i32 s2, s0, -8
	s_waitcnt lgkmcnt(4)
	v_fma_f32 v10, -v6, v19, v10
	s_lshl_b64 s[4:5], s[2:3], 2
	s_waitcnt lgkmcnt(3)
	v_fma_f32 v10, -v7, v23, v10
	s_lshl_b32 s18, s2, 6
	s_lshl_b32 s19, s6, 6
	v_add_co_u32_e32 v20, vcc, s4, v8
	s_waitcnt lgkmcnt(2)
	v_fma_f32 v10, -v11, v25, v10
	s_add_i32 s2, s7, s18
	s_add_i32 s4, s7, s19
	v_fma_f32 v4, -v5, v12, v4
	s_waitcnt lgkmcnt(1)
	v_fma_f32 v10, -v35, v27, v10
	v_mov_b32_e32 v13, s4
	s_add_i32 s4, s0, -11
	v_mov_b32_e32 v15, s2
	v_fma_f32 v4, -v0, v14, v4
	v_mov_b32_e32 v21, s5
	s_waitcnt lgkmcnt(0)
	v_fma_f32 v10, -v36, v29, v10
	ds_read_b32 v13, v13
	ds_read2_b32 v[29:30], v15 offset1:1
	s_lshl_b32 s5, s4, 2
	v_fma_f32 v4, -v1, v16, v4
	s_add_i32 s1, s5, s1
	v_fma_f32 v4, -v6, v18, v4
	s_add_i32 s7, s5, s9
	v_mov_b32_e32 v15, s1
	v_fma_f32 v4, -v7, v22, v4
	v_mov_b32_e32 v17, s7
	ds_read2_b32 v[31:32], v15 offset1:1
	ds_read2_b32 v[33:34], v17 offset1:1
	v_fma_f32 v4, -v11, v24, v4
	v_fma_f32 v4, -v35, v26, v4
	s_waitcnt lgkmcnt(2)
	v_mul_f32_e32 v10, v10, v30
	v_fma_f32 v4, -v36, v28, v4
	s_mov_b32 s7, s3
	v_addc_co_u32_e32 v21, vcc, v9, v21, vcc
	v_fma_f32 v4, -v10, v29, v4
	s_lshl_b64 s[6:7], s[6:7], 2
	v_mul_f32_e32 v27, v4, v13
	v_mov_b32_e32 v4, s7
	v_add_co_u32_e32 v12, vcc, s6, v8
	s_waitcnt lgkmcnt(1)
	v_fma_f32 v3, -v5, v32, v3
	s_add_i32 s1, s5, s10
	v_addc_co_u32_e32 v13, vcc, v9, v4, vcc
	s_waitcnt lgkmcnt(0)
	v_fma_f32 v18, -v0, v34, v3
	v_mov_b32_e32 v3, s1
	s_add_i32 s1, s5, s11
	global_store_dword v[12:13], v27, off
	v_mov_b32_e32 v12, s1
	s_add_i32 s1, s5, s12
	global_store_dword v[20:21], v10, off
	v_mov_b32_e32 v14, s1
	ds_read2_b32 v[3:4], v3 offset1:1
	ds_read2_b32 v[12:13], v12 offset1:1
	ds_read2_b32 v[14:15], v14 offset1:1
	s_add_i32 s1, s5, s13
	v_mov_b32_e32 v16, s1
	s_waitcnt lgkmcnt(2)
	v_fma_f32 v4, -v1, v4, v18
	s_waitcnt lgkmcnt(1)
	v_fma_f32 v4, -v6, v13, v4
	s_add_i32 s1, s5, s14
	ds_read2_b32 v[16:17], v16 offset1:1
	s_waitcnt lgkmcnt(1)
	v_fma_f32 v13, -v7, v15, v4
	v_mov_b32_e32 v4, s1
	s_add_i32 s1, s5, s15
	v_mov_b32_e32 v15, s1
	s_add_i32 s1, s5, s18
	;; [unrolled: 2-line block ×3, first 2 shown]
	v_mov_b32_e32 v22, s1
	v_fma_f32 v2, -v5, v31, v2
	ds_read2_b32 v[4:5], v4 offset1:1
	ds_read2_b32 v[18:19], v15 offset1:1
	;; [unrolled: 1-line block ×4, first 2 shown]
	s_add_i32 s2, s0, -10
	s_waitcnt lgkmcnt(4)
	v_fma_f32 v13, -v11, v17, v13
	s_waitcnt lgkmcnt(3)
	v_fma_f32 v5, -v35, v5, v13
	s_lshl_b32 s1, s2, 6
	s_waitcnt lgkmcnt(2)
	v_fma_f32 v5, -v36, v19, v5
	s_add_i32 s1, s5, s1
	s_waitcnt lgkmcnt(1)
	v_fma_f32 v5, -v10, v21, v5
	v_mov_b32_e32 v13, s1
	s_lshl_b64 s[6:7], s[2:3], 2
	v_fma_f32 v0, -v0, v33, v2
	s_lshl_b32 s1, s4, 6
	s_waitcnt lgkmcnt(0)
	v_fma_f32 v5, -v27, v23, v5
	v_mov_b32_e32 v2, s7
	v_add_co_u32_e32 v23, vcc, s6, v8
	s_add_i32 s1, s5, s1
	v_fma_f32 v0, -v1, v3, v0
	v_addc_co_u32_e32 v24, vcc, v9, v2, vcc
	v_mov_b32_e32 v2, s1
	v_fma_f32 v0, -v6, v12, v0
	ds_read_b32 v2, v2
	ds_read2_b32 v[25:26], v13 offset1:1
	v_fma_f32 v0, -v7, v14, v0
	v_fma_f32 v0, -v11, v16, v0
	v_fma_f32 v0, -v35, v4, v0
	v_fma_f32 v0, -v36, v18, v0
	v_fma_f32 v0, -v10, v20, v0
	s_waitcnt lgkmcnt(0)
	v_mul_f32_e32 v5, v5, v26
	v_fma_f32 v0, -v27, v22, v0
	s_mov_b32 s5, s3
	v_fma_f32 v0, -v5, v25, v0
	s_lshl_b64 s[2:3], s[4:5], 2
	v_mul_f32_e32 v2, v0, v2
	v_mov_b32_e32 v1, s3
	v_add_co_u32_e32 v0, vcc, s2, v8
	v_addc_co_u32_e32 v1, vcc, v9, v1, vcc
	s_add_i32 s0, s0, -12
	global_store_dword v[23:24], v5, off
	global_store_dword v[0:1], v2, off
.LBB17_34:
	s_cmp_lt_i32 s0, 0
	s_cbranch_scc1 .LBB17_51
; %bb.35:
	s_and_b32 s1, s0, 3
	s_cmp_eq_u32 s1, 3
	s_mov_b32 s2, s0
	s_cbranch_scc1 .LBB17_40
; %bb.36:
	s_lshl_b32 s2, s17, 6
	s_lshl_b32 s3, s0, 2
	s_add_i32 s1, s0, 1
	s_add_i32 s2, s2, s3
	s_and_b32 s1, s1, 3
	s_sub_i32 s6, s2, 64
	s_mov_b32 s5, 0
	s_mov_b32 s2, s0
	;; [unrolled: 1-line block ×3, first 2 shown]
	s_branch .LBB17_38
.LBB17_37:                              ;   in Loop: Header=BB17_38 Depth=1
	s_mul_i32 s3, s2, 0x44
	v_mov_b32_e32 v3, s3
	ds_read_b32 v3, v3
	s_add_i32 s2, s2, -1
	s_add_i32 s7, s7, 1
	s_add_i32 s6, s6, -4
	s_cmp_lg_u32 s7, s1
	s_waitcnt lgkmcnt(0)
	v_mul_f32_e32 v2, v2, v3
	global_store_dword v[0:1], v2, off
	s_cbranch_scc0 .LBB17_40
.LBB17_38:                              ; =>This Loop Header: Depth=1
                                        ;     Child Loop BB17_39 Depth 2
	s_mov_b32 s3, s5
	s_lshl_b64 s[10:11], s[2:3], 2
	v_mov_b32_e32 v1, s11
	v_add_co_u32_e32 v0, vcc, s10, v8
	v_addc_co_u32_e32 v1, vcc, v9, v1, vcc
	global_load_dword v2, v[0:1], off
	s_mov_b32 s3, s6
	s_cmp_le_i32 s8, s2
	s_mov_b32 s4, s8
	s_waitcnt vmcnt(0)
	v_mul_f32_e32 v2, s16, v2
	s_cbranch_scc1 .LBB17_37
.LBB17_39:                              ;   Parent Loop BB17_38 Depth=1
                                        ; =>  This Inner Loop Header: Depth=2
	s_lshl_b64 s[10:11], s[4:5], 2
	v_mov_b32_e32 v4, s11
	v_add_co_u32_e32 v3, vcc, s10, v8
	v_addc_co_u32_e32 v4, vcc, v9, v4, vcc
	global_load_dword v3, v[3:4], off
	v_mov_b32_e32 v4, s3
	ds_read_b32 v4, v4
	s_add_i32 s4, s4, -1
	s_sub_i32 s3, s3, 64
	s_cmp_gt_i32 s4, s2
	s_waitcnt vmcnt(0) lgkmcnt(0)
	v_fma_f32 v2, -v3, v4, v2
	s_cbranch_scc1 .LBB17_39
	s_branch .LBB17_37
.LBB17_40:
	s_cmp_lt_u32 s0, 3
	s_cbranch_scc1 .LBB17_51
; %bb.41:
	s_lshl_b32 s0, s17, 6
	s_lshl_b32 s1, s2, 2
	s_add_i32 s0, s0, s1
	s_sub_i32 s6, s0, 64
	s_add_i32 s7, s0, 0xffffffbc
	s_add_i32 s9, s0, 0xffffffb8
	;; [unrolled: 1-line block ×3, first 2 shown]
	s_mov_b32 s1, 0
	s_branch .LBB17_43
.LBB17_42:                              ;   in Loop: Header=BB17_43 Depth=1
	s_add_i32 s0, s3, 0xffffffbc
	v_mov_b32_e32 v3, s0
	ds_read_b32 v3, v3
	s_add_i32 s0, s2, -4
	s_add_i32 s6, s6, -16
	;; [unrolled: 1-line block ×5, first 2 shown]
	s_waitcnt lgkmcnt(0)
	v_mul_f32_e32 v2, v2, v3
	s_cmp_lt_i32 s2, 4
	s_mov_b32 s2, s0
	global_store_dword v[0:1], v2, off
	s_cbranch_scc1 .LBB17_51
.LBB17_43:                              ; =>This Loop Header: Depth=1
                                        ;     Child Loop BB17_44 Depth 2
                                        ;     Child Loop BB17_46 Depth 2
	;; [unrolled: 1-line block ×4, first 2 shown]
	s_mov_b32 s3, s1
	s_lshl_b64 s[4:5], s[2:3], 2
	v_mov_b32_e32 v0, s5
	v_add_co_u32_e32 v2, vcc, s4, v8
	v_addc_co_u32_e32 v3, vcc, v9, v0, vcc
	global_load_dword v0, v[2:3], off
	s_mov_b32 s3, s6
	s_cmp_le_i32 s8, s2
	s_mov_b32 s0, s8
	s_waitcnt vmcnt(0)
	v_mul_f32_e32 v4, s16, v0
	s_cbranch_scc1 .LBB17_45
.LBB17_44:                              ;   Parent Loop BB17_43 Depth=1
                                        ; =>  This Inner Loop Header: Depth=2
	s_lshl_b64 s[4:5], s[0:1], 2
	v_mov_b32_e32 v1, s5
	v_add_co_u32_e32 v0, vcc, s4, v8
	v_addc_co_u32_e32 v1, vcc, v9, v1, vcc
	global_load_dword v0, v[0:1], off
	v_mov_b32_e32 v1, s3
	ds_read_b32 v1, v1
	s_add_i32 s0, s0, -1
	s_sub_i32 s3, s3, 64
	s_cmp_gt_i32 s0, s2
	s_waitcnt vmcnt(0) lgkmcnt(0)
	v_fma_f32 v4, -v0, v1, v4
	s_cbranch_scc1 .LBB17_44
.LBB17_45:                              ;   in Loop: Header=BB17_43 Depth=1
	s_add_i32 s0, s2, -1
	s_lshl_b64 s[4:5], s[0:1], 2
	v_mov_b32_e32 v1, s5
	v_add_co_u32_e32 v0, vcc, s4, v8
	v_addc_co_u32_e32 v1, vcc, v9, v1, vcc
	global_load_dword v5, v[0:1], off
	s_mul_i32 s3, s2, 0x44
	v_mov_b32_e32 v6, s3
	ds_read_b32 v6, v6
	s_mov_b32 s4, s7
	s_cmp_le_i32 s17, s2
	s_mov_b32 s0, s17
	s_waitcnt lgkmcnt(0)
	v_mul_f32_e32 v4, v4, v6
	global_store_dword v[2:3], v4, off
	s_waitcnt vmcnt(1)
	v_mul_f32_e32 v4, s16, v5
	s_cbranch_scc1 .LBB17_47
.LBB17_46:                              ;   Parent Loop BB17_43 Depth=1
                                        ; =>  This Inner Loop Header: Depth=2
	s_add_i32 s0, s0, -1
	s_lshl_b64 s[12:13], s[0:1], 2
	v_mov_b32_e32 v3, s13
	v_add_co_u32_e32 v2, vcc, s12, v8
	v_addc_co_u32_e32 v3, vcc, v9, v3, vcc
	global_load_dword v2, v[2:3], off
	v_mov_b32_e32 v3, s4
	ds_read_b32 v3, v3
	s_sub_i32 s4, s4, 64
	s_cmp_gt_i32 s0, s2
	s_waitcnt vmcnt(0) lgkmcnt(0)
	v_fma_f32 v4, -v2, v3, v4
	s_cbranch_scc1 .LBB17_46
.LBB17_47:                              ;   in Loop: Header=BB17_43 Depth=1
	s_add_i32 s4, s2, -2
	s_mov_b32 s5, s1
	s_lshl_b64 s[12:13], s[4:5], 2
	v_mov_b32_e32 v3, s13
	v_add_co_u32_e32 v2, vcc, s12, v8
	v_addc_co_u32_e32 v3, vcc, v9, v3, vcc
	global_load_dword v5, v[2:3], off
	s_addk_i32 s3, 0xffbc
	v_mov_b32_e32 v6, s3
	ds_read_b32 v6, v6
	s_mov_b32 s5, s9
	s_cmp_le_i32 s8, s4
	s_mov_b32 s0, s8
	s_waitcnt lgkmcnt(0)
	v_mul_f32_e32 v4, v4, v6
	global_store_dword v[0:1], v4, off
	s_waitcnt vmcnt(1)
	v_mul_f32_e32 v4, s16, v5
	s_cbranch_scc1 .LBB17_49
.LBB17_48:                              ;   Parent Loop BB17_43 Depth=1
                                        ; =>  This Inner Loop Header: Depth=2
	s_lshl_b64 s[12:13], s[0:1], 2
	v_mov_b32_e32 v1, s13
	v_add_co_u32_e32 v0, vcc, s12, v8
	v_addc_co_u32_e32 v1, vcc, v9, v1, vcc
	global_load_dword v0, v[0:1], off
	v_mov_b32_e32 v1, s5
	ds_read_b32 v1, v1
	s_add_i32 s0, s0, -1
	s_sub_i32 s5, s5, 64
	s_cmp_gt_i32 s0, s4
	s_waitcnt vmcnt(0) lgkmcnt(0)
	v_fma_f32 v4, -v0, v1, v4
	s_cbranch_scc1 .LBB17_48
.LBB17_49:                              ;   in Loop: Header=BB17_43 Depth=1
	s_add_i32 s4, s2, -3
	s_mov_b32 s5, s1
	s_lshl_b64 s[12:13], s[4:5], 2
	v_mov_b32_e32 v1, s13
	v_add_co_u32_e32 v0, vcc, s12, v8
	v_addc_co_u32_e32 v1, vcc, v9, v1, vcc
	global_load_dword v5, v[0:1], off
	s_addk_i32 s3, 0xffbc
	v_mov_b32_e32 v6, s3
	ds_read_b32 v6, v6
	s_mov_b32 s5, s10
	s_cmp_le_i32 s8, s4
	s_mov_b32 s0, s8
	s_waitcnt lgkmcnt(0)
	v_mul_f32_e32 v4, v4, v6
	global_store_dword v[2:3], v4, off
	s_waitcnt vmcnt(1)
	v_mul_f32_e32 v2, s16, v5
	s_cbranch_scc1 .LBB17_42
.LBB17_50:                              ;   Parent Loop BB17_43 Depth=1
                                        ; =>  This Inner Loop Header: Depth=2
	s_lshl_b64 s[12:13], s[0:1], 2
	v_mov_b32_e32 v4, s13
	v_add_co_u32_e32 v3, vcc, s12, v8
	v_addc_co_u32_e32 v4, vcc, v9, v4, vcc
	global_load_dword v3, v[3:4], off
	v_mov_b32_e32 v4, s5
	ds_read_b32 v4, v4
	s_add_i32 s0, s0, -1
	s_sub_i32 s5, s5, 64
	s_cmp_gt_i32 s0, s4
	s_waitcnt vmcnt(0) lgkmcnt(0)
	v_fma_f32 v2, -v3, v4, v2
	s_cbranch_scc1 .LBB17_50
	s_branch .LBB17_42
.LBB17_51:
	s_endpgm
	.section	.rodata,"a",@progbits
	.p2align	6, 0x0
	.amdhsa_kernel _ZL30rocblas_trsm_small_left_deviceILi16ELi16ELb0EffPKfPfEv13rocblas_fill_18rocblas_operation_17rocblas_diagonal_iiT3_T4_lilT5_lili
		.amdhsa_group_segment_fixed_size 1024
		.amdhsa_private_segment_fixed_size 0
		.amdhsa_kernarg_size 352
		.amdhsa_user_sgpr_count 6
		.amdhsa_user_sgpr_private_segment_buffer 1
		.amdhsa_user_sgpr_dispatch_ptr 0
		.amdhsa_user_sgpr_queue_ptr 0
		.amdhsa_user_sgpr_kernarg_segment_ptr 1
		.amdhsa_user_sgpr_dispatch_id 0
		.amdhsa_user_sgpr_flat_scratch_init 0
		.amdhsa_user_sgpr_private_segment_size 0
		.amdhsa_uses_dynamic_stack 0
		.amdhsa_system_sgpr_private_segment_wavefront_offset 0
		.amdhsa_system_sgpr_workgroup_id_x 1
		.amdhsa_system_sgpr_workgroup_id_y 0
		.amdhsa_system_sgpr_workgroup_id_z 1
		.amdhsa_system_sgpr_workgroup_info 0
		.amdhsa_system_vgpr_workitem_id 0
		.amdhsa_next_free_vgpr 39
		.amdhsa_next_free_sgpr 24
		.amdhsa_reserve_vcc 1
		.amdhsa_reserve_flat_scratch 0
		.amdhsa_float_round_mode_32 0
		.amdhsa_float_round_mode_16_64 0
		.amdhsa_float_denorm_mode_32 3
		.amdhsa_float_denorm_mode_16_64 3
		.amdhsa_dx10_clamp 1
		.amdhsa_ieee_mode 1
		.amdhsa_fp16_overflow 0
		.amdhsa_exception_fp_ieee_invalid_op 0
		.amdhsa_exception_fp_denorm_src 0
		.amdhsa_exception_fp_ieee_div_zero 0
		.amdhsa_exception_fp_ieee_overflow 0
		.amdhsa_exception_fp_ieee_underflow 0
		.amdhsa_exception_fp_ieee_inexact 0
		.amdhsa_exception_int_div_zero 0
	.end_amdhsa_kernel
	.section	.text._ZL30rocblas_trsm_small_left_deviceILi16ELi16ELb0EffPKfPfEv13rocblas_fill_18rocblas_operation_17rocblas_diagonal_iiT3_T4_lilT5_lili,"axG",@progbits,_ZL30rocblas_trsm_small_left_deviceILi16ELi16ELb0EffPKfPfEv13rocblas_fill_18rocblas_operation_17rocblas_diagonal_iiT3_T4_lilT5_lili,comdat
.Lfunc_end17:
	.size	_ZL30rocblas_trsm_small_left_deviceILi16ELi16ELb0EffPKfPfEv13rocblas_fill_18rocblas_operation_17rocblas_diagonal_iiT3_T4_lilT5_lili, .Lfunc_end17-_ZL30rocblas_trsm_small_left_deviceILi16ELi16ELb0EffPKfPfEv13rocblas_fill_18rocblas_operation_17rocblas_diagonal_iiT3_T4_lilT5_lili
                                        ; -- End function
	.set _ZL30rocblas_trsm_small_left_deviceILi16ELi16ELb0EffPKfPfEv13rocblas_fill_18rocblas_operation_17rocblas_diagonal_iiT3_T4_lilT5_lili.num_vgpr, 39
	.set _ZL30rocblas_trsm_small_left_deviceILi16ELi16ELb0EffPKfPfEv13rocblas_fill_18rocblas_operation_17rocblas_diagonal_iiT3_T4_lilT5_lili.num_agpr, 0
	.set _ZL30rocblas_trsm_small_left_deviceILi16ELi16ELb0EffPKfPfEv13rocblas_fill_18rocblas_operation_17rocblas_diagonal_iiT3_T4_lilT5_lili.numbered_sgpr, 24
	.set _ZL30rocblas_trsm_small_left_deviceILi16ELi16ELb0EffPKfPfEv13rocblas_fill_18rocblas_operation_17rocblas_diagonal_iiT3_T4_lilT5_lili.num_named_barrier, 0
	.set _ZL30rocblas_trsm_small_left_deviceILi16ELi16ELb0EffPKfPfEv13rocblas_fill_18rocblas_operation_17rocblas_diagonal_iiT3_T4_lilT5_lili.private_seg_size, 0
	.set _ZL30rocblas_trsm_small_left_deviceILi16ELi16ELb0EffPKfPfEv13rocblas_fill_18rocblas_operation_17rocblas_diagonal_iiT3_T4_lilT5_lili.uses_vcc, 1
	.set _ZL30rocblas_trsm_small_left_deviceILi16ELi16ELb0EffPKfPfEv13rocblas_fill_18rocblas_operation_17rocblas_diagonal_iiT3_T4_lilT5_lili.uses_flat_scratch, 0
	.set _ZL30rocblas_trsm_small_left_deviceILi16ELi16ELb0EffPKfPfEv13rocblas_fill_18rocblas_operation_17rocblas_diagonal_iiT3_T4_lilT5_lili.has_dyn_sized_stack, 0
	.set _ZL30rocblas_trsm_small_left_deviceILi16ELi16ELb0EffPKfPfEv13rocblas_fill_18rocblas_operation_17rocblas_diagonal_iiT3_T4_lilT5_lili.has_recursion, 0
	.set _ZL30rocblas_trsm_small_left_deviceILi16ELi16ELb0EffPKfPfEv13rocblas_fill_18rocblas_operation_17rocblas_diagonal_iiT3_T4_lilT5_lili.has_indirect_call, 0
	.section	.AMDGPU.csdata,"",@progbits
; Kernel info:
; codeLenInByte = 8776
; TotalNumSgprs: 28
; NumVgprs: 39
; ScratchSize: 0
; MemoryBound: 0
; FloatMode: 240
; IeeeMode: 1
; LDSByteSize: 1024 bytes/workgroup (compile time only)
; SGPRBlocks: 3
; VGPRBlocks: 9
; NumSGPRsForWavesPerEU: 28
; NumVGPRsForWavesPerEU: 39
; Occupancy: 6
; WaveLimiterHint : 0
; COMPUTE_PGM_RSRC2:SCRATCH_EN: 0
; COMPUTE_PGM_RSRC2:USER_SGPR: 6
; COMPUTE_PGM_RSRC2:TRAP_HANDLER: 0
; COMPUTE_PGM_RSRC2:TGID_X_EN: 1
; COMPUTE_PGM_RSRC2:TGID_Y_EN: 0
; COMPUTE_PGM_RSRC2:TGID_Z_EN: 1
; COMPUTE_PGM_RSRC2:TIDIG_COMP_CNT: 0
	.section	.text._ZL38rocblas_trsm_small_left_device_sharedBILi16ELi16ELb1EffPKfPfEv13rocblas_fill_18rocblas_operation_17rocblas_diagonal_iiT3_T4_lilT5_lili,"axG",@progbits,_ZL38rocblas_trsm_small_left_device_sharedBILi16ELi16ELb1EffPKfPfEv13rocblas_fill_18rocblas_operation_17rocblas_diagonal_iiT3_T4_lilT5_lili,comdat
	.globl	_ZL38rocblas_trsm_small_left_device_sharedBILi16ELi16ELb1EffPKfPfEv13rocblas_fill_18rocblas_operation_17rocblas_diagonal_iiT3_T4_lilT5_lili ; -- Begin function _ZL38rocblas_trsm_small_left_device_sharedBILi16ELi16ELb1EffPKfPfEv13rocblas_fill_18rocblas_operation_17rocblas_diagonal_iiT3_T4_lilT5_lili
	.p2align	8
	.type	_ZL38rocblas_trsm_small_left_device_sharedBILi16ELi16ELb1EffPKfPfEv13rocblas_fill_18rocblas_operation_17rocblas_diagonal_iiT3_T4_lilT5_lili,@function
_ZL38rocblas_trsm_small_left_device_sharedBILi16ELi16ELb1EffPKfPfEv13rocblas_fill_18rocblas_operation_17rocblas_diagonal_iiT3_T4_lilT5_lili: ; @_ZL38rocblas_trsm_small_left_device_sharedBILi16ELi16ELb1EffPKfPfEv13rocblas_fill_18rocblas_operation_17rocblas_diagonal_iiT3_T4_lilT5_lili
; %bb.0:
	s_load_dwordx4 s[8:11], s[4:5], 0x4
	s_load_dword s17, s[4:5], 0x14
	s_load_dwordx4 s[0:3], s[4:5], 0x30
	s_load_dwordx2 s[12:13], s[4:5], 0x40
	s_waitcnt lgkmcnt(0)
	s_min_i32 s16, s10, 16
	v_cmp_gt_i32_e32 vcc, s16, v0
	s_and_saveexec_b64 s[14:15], vcc
	s_cbranch_execz .LBB18_6
; %bb.1:
	s_load_dword s18, s[4:5], 0x28
	s_load_dwordx4 s[20:23], s[4:5], 0x18
	s_mul_i32 s1, s1, s7
	s_mul_hi_u32 s19, s0, s7
	s_add_i32 s1, s19, s1
	s_mul_i32 s0, s0, s7
	s_waitcnt lgkmcnt(0)
	s_ashr_i32 s19, s18, 31
	s_lshl_b64 s[0:1], s[0:1], 2
	s_add_u32 s20, s20, s0
	s_addc_u32 s21, s21, s1
	s_lshl_b64 s[0:1], s[22:23], 2
	s_add_u32 s0, s20, s0
	s_addc_u32 s1, s21, s1
	v_lshlrev_b32_e32 v3, 2, v0
	v_mov_b32_e32 v2, s1
	v_add_co_u32_e32 v1, vcc, s0, v3
	s_lshl_b64 s[0:1], s[18:19], 2
	v_addc_co_u32_e32 v2, vcc, 0, v2, vcc
	v_mov_b32_e32 v4, s1
	v_mov_b32_e32 v5, v3
	s_mov_b32 s1, s16
.LBB18_2:                               ; =>This Inner Loop Header: Depth=1
	global_load_dword v6, v[1:2], off
	v_add_co_u32_e32 v1, vcc, s0, v1
	s_add_i32 s1, s1, -1
	v_addc_co_u32_e32 v2, vcc, v2, v4, vcc
	s_cmp_eq_u32 s1, 0
	s_waitcnt vmcnt(0)
	ds_write_b32 v5, v6
	v_add_u32_e32 v5, 64, v5
	s_cbranch_scc0 .LBB18_2
; %bb.3:
	v_lshlrev_b32_e32 v1, 6, v0
	s_cmpk_lg_i32 s9, 0x84
	v_mov_b32_e32 v2, 1.0
	v_add_u32_e32 v1, v3, v1
	s_cbranch_scc0 .LBB18_5
; %bb.4:
	ds_read_b32 v2, v1
	s_waitcnt lgkmcnt(0)
	v_div_scale_f32 v3, s[0:1], v2, v2, 1.0
	v_div_scale_f32 v4, vcc, 1.0, v2, 1.0
	v_rcp_f32_e32 v5, v3
	v_fma_f32 v6, -v3, v5, 1.0
	v_fmac_f32_e32 v5, v6, v5
	v_mul_f32_e32 v6, v4, v5
	v_fma_f32 v7, -v3, v6, v4
	v_fmac_f32_e32 v6, v7, v5
	v_fma_f32 v3, -v3, v6, v4
	v_div_fmas_f32 v3, v3, v5, v6
	v_div_fixup_f32 v2, v3, v2, 1.0
.LBB18_5:
	ds_write_b32 v1, v2
.LBB18_6:
	s_or_b64 exec, exec, s[14:15]
	s_load_dword s0, s[4:5], 0x60
	s_load_dwordx2 s[14:15], s[4:5], 0x50
	s_load_dword s9, s[4:5], 0x48
	s_waitcnt lgkmcnt(0)
	s_mul_i32 s1, s15, s7
	s_mul_hi_u32 s5, s14, s7
	s_mul_i32 s4, s14, s7
	s_add_i32 s5, s5, s1
	s_lshl_b64 s[4:5], s[4:5], 2
	s_add_u32 s1, s2, s4
	s_addc_u32 s4, s3, s5
	s_lshl_b64 s[2:3], s[12:13], 2
	s_add_u32 s2, s1, s2
	s_addc_u32 s3, s4, s3
	s_lshl_b32 s4, s6, 4
	s_add_i32 s0, s0, -1
	s_sub_i32 s1, s11, s4
	s_cmp_ge_u32 s6, s0
	s_cselect_b32 s5, s1, 16
	s_mul_hi_i32 s1, s9, s4
	s_mul_i32 s0, s9, s4
	s_lshl_b64 s[0:1], s[0:1], 2
	s_add_u32 s6, s2, s0
	s_addc_u32 s7, s3, s1
	s_cmp_gt_i32 s10, 0
	v_cmp_gt_i32_e64 s[0:1], s5, v0
	s_cselect_b64 s[2:3], -1, 0
	s_and_b64 s[12:13], s[0:1], s[2:3]
	s_and_saveexec_b64 s[4:5], s[12:13]
	s_cbranch_execz .LBB18_9
; %bb.7:
	v_mad_i64_i32 v[1:2], s[12:13], s9, v0, 0
	v_mov_b32_e32 v3, s7
	s_mov_b32 s11, s16
	v_lshlrev_b64 v[1:2], 2, v[1:2]
	v_add_co_u32_e32 v1, vcc, s6, v1
	v_addc_co_u32_e32 v2, vcc, v3, v2, vcc
	v_mov_b32_e32 v3, 0x400
	v_lshl_or_b32 v3, v0, 2, v3
.LBB18_8:                               ; =>This Inner Loop Header: Depth=1
	global_load_dword v4, v[1:2], off
	s_add_i32 s11, s11, -1
	v_add_co_u32_e32 v1, vcc, 4, v1
	v_addc_co_u32_e32 v2, vcc, 0, v2, vcc
	s_cmp_lg_u32 s11, 0
	s_waitcnt vmcnt(0)
	v_mul_f32_e32 v4, s17, v4
	ds_write_b32 v3, v4
	v_add_u32_e32 v3, 64, v3
	s_cbranch_scc1 .LBB18_8
.LBB18_9:
	s_or_b64 exec, exec, s[4:5]
	v_mov_b32_e32 v1, 0x400
	s_cmpk_eq_i32 s8, 0x6f
	v_lshl_or_b32 v11, v0, 2, v1
	s_mov_b64 s[4:5], -1
	s_waitcnt lgkmcnt(0)
	; wave barrier
	s_cbranch_scc1 .LBB18_36
; %bb.10:
	s_add_i32 s4, s16, -1
	s_cmp_gt_i32 s10, 15
	s_mov_b32 s5, -1
	s_cbranch_scc0 .LBB18_12
; %bb.11:
	v_mov_b32_e32 v24, 0
	ds_read2_b32 v[1:2], v11 offset0:224 offset1:240
	ds_read2_b32 v[5:6], v11 offset0:192 offset1:208
	;; [unrolled: 1-line block ×5, first 2 shown]
	ds_read_b32 v20, v24 offset:1020
	ds_read_b64 v[3:4], v24 offset:952
	ds_read2_b32 v[14:15], v11 offset0:64 offset1:80
	ds_read2_b32 v[16:17], v11 offset0:32 offset1:48
	ds_read2_b32 v[18:19], v11 offset1:16
	s_waitcnt lgkmcnt(4)
	v_mul_f32_e32 v25, v2, v20
	s_waitcnt lgkmcnt(3)
	v_fma_f32 v1, -v25, v4, v1
	ds_read2_b32 v[20:21], v24 offset0:191 offset1:223
	ds_read2_b32 v[22:23], v24 offset0:221 offset1:222
	v_mul_f32_e32 v26, v1, v3
	ds_read_b128 v[1:4], v24 offset:816
	ds_write2_b32 v11, v26, v25 offset0:224 offset1:240
	s_waitcnt lgkmcnt(3)
	v_fma_f32 v6, -v25, v21, v6
	s_waitcnt lgkmcnt(2)
	v_fma_f32 v6, -v26, v23, v6
	v_mul_f32_e32 v27, v6, v22
	s_waitcnt lgkmcnt(1)
	v_fma_f32 v4, -v25, v4, v5
	v_fma_f32 v3, -v26, v3, v4
	;; [unrolled: 1-line block ×3, first 2 shown]
	ds_read2_b32 v[2:3], v24 offset0:189 offset1:190
	ds_read2_b32 v[5:6], v24 offset0:187 offset1:188
	v_mul_f32_e32 v28, v4, v1
	v_fma_f32 v1, -v25, v20, v8
	ds_read_b64 v[20:21], v24 offset:696
	s_waitcnt lgkmcnt(2)
	v_fma_f32 v1, -v26, v3, v1
	v_fma_f32 v1, -v27, v2, v1
	s_waitcnt lgkmcnt(1)
	v_fma_f32 v6, -v28, v6, v1
	ds_read2_b64 v[1:4], v24 offset0:85 offset1:86
	v_mul_f32_e32 v29, v6, v5
	s_waitcnt lgkmcnt(1)
	v_fma_f32 v5, -v25, v21, v7
	v_fma_f32 v5, -v26, v20, v5
	ds_read2_b32 v[22:23], v24 offset0:127 offset1:159
	s_waitcnt lgkmcnt(1)
	v_fma_f32 v4, -v27, v4, v5
	v_fma_f32 v3, -v28, v3, v4
	v_fma_f32 v4, -v29, v2, v3
	ds_read2_b32 v[2:3], v24 offset0:157 offset1:158
	ds_read2_b32 v[5:6], v24 offset0:155 offset1:156
	v_mul_f32_e32 v20, v4, v1
	s_waitcnt lgkmcnt(2)
	v_fma_f32 v1, -v25, v23, v10
	ds_read2_b32 v[7:8], v24 offset0:153 offset1:154
	s_waitcnt lgkmcnt(2)
	v_fma_f32 v1, -v26, v3, v1
	v_fma_f32 v10, -v27, v2, v1
	ds_read_b128 v[1:4], v24 offset:560
	s_waitcnt lgkmcnt(2)
	v_fma_f32 v6, -v28, v6, v10
	v_fma_f32 v5, -v29, v5, v6
	s_waitcnt lgkmcnt(1)
	v_fma_f32 v5, -v20, v8, v5
	v_mul_f32_e32 v21, v5, v7
	s_waitcnt lgkmcnt(0)
	v_fma_f32 v8, -v25, v4, v9
	ds_read_b128 v[4:7], v24 offset:544
	v_fma_f32 v3, -v26, v3, v8
	v_fma_f32 v2, -v27, v2, v3
	;; [unrolled: 1-line block ×3, first 2 shown]
	ds_read2_b32 v[1:2], v24 offset0:125 offset1:126
	s_waitcnt lgkmcnt(1)
	v_fma_f32 v3, -v29, v7, v3
	v_fma_f32 v3, -v20, v6, v3
	;; [unrolled: 1-line block ×3, first 2 shown]
	v_mul_f32_e32 v23, v3, v4
	ds_read2_b32 v[3:4], v24 offset0:123 offset1:124
	v_fma_f32 v5, -v25, v22, v13
	s_waitcnt lgkmcnt(1)
	v_fma_f32 v2, -v26, v2, v5
	ds_read2_b32 v[5:6], v24 offset0:121 offset1:122
	v_fma_f32 v1, -v27, v1, v2
	s_waitcnt lgkmcnt(1)
	v_fma_f32 v4, -v28, v4, v1
	;; [unrolled: 4-line block ×3, first 2 shown]
	v_fma_f32 v3, -v21, v5, v3
	ds_read_b64 v[5:6], v24 offset:440
	ds_write2_b32 v11, v28, v27 offset0:192 offset1:208
	ds_write2_b32 v11, v20, v29 offset0:160 offset1:176
	;; [unrolled: 1-line block ×3, first 2 shown]
	s_waitcnt lgkmcnt(4)
	v_fma_f32 v2, -v23, v2, v3
	v_mul_f32_e32 v22, v2, v1
	ds_read2_b64 v[1:4], v24 offset0:53 offset1:54
	ds_read2_b32 v[9:10], v24 offset0:63 offset1:95
	s_waitcnt lgkmcnt(5)
	v_fma_f32 v6, -v25, v6, v12
	v_fma_f32 v12, -v26, v5, v6
	ds_read2_b64 v[5:8], v24 offset0:51 offset1:52
	s_waitcnt lgkmcnt(2)
	v_fma_f32 v4, -v27, v4, v12
	v_fma_f32 v3, -v28, v3, v4
	;; [unrolled: 1-line block ×4, first 2 shown]
	s_waitcnt lgkmcnt(0)
	v_fma_f32 v1, -v21, v8, v1
	v_fma_f32 v1, -v23, v7, v1
	;; [unrolled: 1-line block ×3, first 2 shown]
	ds_read2_b32 v[1:2], v24 offset0:93 offset1:94
	ds_read2_b32 v[7:8], v24 offset0:87 offset1:88
	v_mul_f32_e32 v30, v3, v5
	ds_read2_b32 v[3:4], v24 offset0:91 offset1:92
	v_fma_f32 v5, -v25, v10, v15
	s_waitcnt lgkmcnt(2)
	v_fma_f32 v2, -v26, v2, v5
	ds_read2_b32 v[5:6], v24 offset0:89 offset1:90
	v_fma_f32 v1, -v27, v1, v2
	s_waitcnt lgkmcnt(1)
	v_fma_f32 v1, -v28, v4, v1
	v_fma_f32 v1, -v29, v3, v1
	ds_read2_b32 v[12:13], v24 offset0:85 offset1:86
	s_waitcnt lgkmcnt(1)
	v_fma_f32 v1, -v20, v6, v1
	v_fma_f32 v5, -v21, v5, v1
	ds_read_b128 v[1:4], v24 offset:304
	v_fma_f32 v5, -v23, v8, v5
	v_fma_f32 v5, -v22, v7, v5
	s_waitcnt lgkmcnt(1)
	v_fma_f32 v5, -v30, v13, v5
	v_mul_f32_e32 v31, v5, v12
	s_waitcnt lgkmcnt(0)
	v_fma_f32 v8, -v25, v4, v14
	ds_read_b128 v[4:7], v24 offset:288
	ds_read_b128 v[12:15], v24 offset:272
	v_fma_f32 v3, -v26, v3, v8
	v_fma_f32 v2, -v27, v2, v3
	;; [unrolled: 1-line block ×3, first 2 shown]
	s_waitcnt lgkmcnt(1)
	v_fma_f32 v1, -v29, v7, v1
	v_fma_f32 v1, -v20, v6, v1
	;; [unrolled: 1-line block ×4, first 2 shown]
	s_waitcnt lgkmcnt(0)
	v_fma_f32 v1, -v22, v15, v1
	v_fma_f32 v1, -v30, v14, v1
	;; [unrolled: 1-line block ×3, first 2 shown]
	ds_read2_b32 v[1:2], v24 offset0:61 offset1:62
	v_mul_f32_e32 v32, v3, v12
	ds_read2_b32 v[3:4], v24 offset0:59 offset1:60
	v_fma_f32 v5, -v25, v9, v17
	ds_read_b64 v[7:8], v24 offset:184
	s_waitcnt lgkmcnt(2)
	v_fma_f32 v2, -v26, v2, v5
	ds_read2_b32 v[5:6], v24 offset0:57 offset1:58
	v_fma_f32 v1, -v27, v1, v2
	s_waitcnt lgkmcnt(2)
	v_fma_f32 v4, -v28, v4, v1
	ds_read2_b32 v[1:2], v24 offset0:55 offset1:56
	v_fma_f32 v3, -v29, v3, v4
	;; [unrolled: 4-line block ×4, first 2 shown]
	s_waitcnt lgkmcnt(1)
	v_fma_f32 v1, -v30, v4, v1
	v_fma_f32 v9, -v31, v3, v1
	ds_read2_b64 v[1:4], v24 offset0:21 offset1:22
	s_waitcnt lgkmcnt(1)
	v_fma_f32 v6, -v32, v6, v9
	v_mul_f32_e32 v33, v6, v5
	v_fma_f32 v5, -v25, v8, v16
	v_fma_f32 v5, -v26, v7, v5
	s_waitcnt lgkmcnt(0)
	v_fma_f32 v8, -v27, v4, v5
	ds_read2_b64 v[4:7], v24 offset0:19 offset1:20
	ds_read2_b64 v[12:15], v24 offset0:17 offset1:18
	v_fma_f32 v3, -v28, v3, v8
	v_fma_f32 v2, -v29, v2, v3
	;; [unrolled: 1-line block ×3, first 2 shown]
	s_waitcnt lgkmcnt(1)
	v_fma_f32 v1, -v21, v7, v1
	v_fma_f32 v1, -v23, v6, v1
	;; [unrolled: 1-line block ×4, first 2 shown]
	s_waitcnt lgkmcnt(0)
	v_fma_f32 v1, -v31, v15, v1
	ds_write2_b32 v11, v30, v22 offset0:96 offset1:112
	ds_write2_b32 v11, v32, v31 offset0:64 offset1:80
	v_fma_f32 v1, -v32, v14, v1
	v_fma_f32 v3, -v33, v13, v1
	ds_read_b32 v5, v24 offset:124
	ds_read2_b32 v[1:2], v24 offset0:29 offset1:30
	v_mul_f32_e32 v34, v3, v12
	ds_read2_b32 v[3:4], v24 offset0:27 offset1:28
	ds_write2_b32 v11, v34, v33 offset0:32 offset1:48
	s_waitcnt lgkmcnt(3)
	v_fma_f32 v5, -v25, v5, v19
	s_waitcnt lgkmcnt(2)
	v_fma_f32 v2, -v26, v2, v5
	ds_read2_b32 v[5:6], v24 offset0:25 offset1:26
	ds_read2_b32 v[9:10], v24 offset0:19 offset1:20
	v_fma_f32 v1, -v27, v1, v2
	s_waitcnt lgkmcnt(3)
	v_fma_f32 v4, -v28, v4, v1
	ds_read2_b32 v[1:2], v24 offset0:23 offset1:24
	v_fma_f32 v3, -v29, v3, v4
	s_waitcnt lgkmcnt(2)
	v_fma_f32 v6, -v20, v6, v3
	;; [unrolled: 4-line block ×3, first 2 shown]
	v_fma_f32 v1, -v22, v1, v2
	s_waitcnt lgkmcnt(0)
	v_fma_f32 v1, -v30, v4, v1
	v_fma_f32 v14, -v31, v3, v1
	ds_read2_b32 v[12:13], v24 offset0:17 offset1:18
	ds_read_b128 v[1:4], v24 offset:32
	ds_read_b128 v[5:8], v24 offset:48
	v_fma_f32 v10, -v32, v10, v14
	v_fma_f32 v9, -v33, v9, v10
	s_waitcnt lgkmcnt(2)
	v_fma_f32 v9, -v34, v13, v9
	v_mul_f32_e32 v9, v9, v12
	s_waitcnt lgkmcnt(0)
	v_fma_f32 v8, -v25, v8, v18
	v_fma_f32 v7, -v26, v7, v8
	;; [unrolled: 1-line block ×3, first 2 shown]
	ds_read_b128 v[12:15], v24
	ds_read_b128 v[16:19], v24 offset:16
	v_fma_f32 v5, -v28, v5, v6
	v_fma_f32 v4, -v29, v4, v5
	;; [unrolled: 1-line block ×5, first 2 shown]
	s_waitcnt lgkmcnt(0)
	v_fma_f32 v1, -v22, v19, v1
	v_fma_f32 v1, -v30, v18, v1
	;; [unrolled: 1-line block ×7, first 2 shown]
	v_mul_f32_e32 v1, v1, v12
	ds_write2_b32 v11, v1, v9 offset1:16
	s_cmp_gt_i32 s5, -1
	s_cbranch_scc1 .LBB18_13
	s_branch .LBB18_35
.LBB18_12:
	s_mov_b32 s5, s4
	s_cmp_gt_i32 s5, -1
	s_cbranch_scc0 .LBB18_35
.LBB18_13:
	s_cmp_lt_u32 s5, 11
	s_cbranch_scc1 .LBB18_18
; %bb.14:
	s_lshl_b32 s8, s5, 6
	v_add_u32_e32 v10, s8, v11
	v_add_u32_e32 v5, 0xfffffec0, v10
	;; [unrolled: 1-line block ×3, first 2 shown]
	v_subrev_u32_e32 v1, 64, v10
	v_add_u32_e32 v2, 0xffffff80, v10
	v_add_u32_e32 v3, 0xffffff40, v10
	;; [unrolled: 1-line block ×4, first 2 shown]
	ds_read_b32 v14, v10
	ds_read_b32 v13, v1
	;; [unrolled: 1-line block ×8, first 2 shown]
	v_add_u32_e32 v1, 0xfffffe00, v10
	v_add_u32_e32 v2, 0xfffffdc0, v10
	;; [unrolled: 1-line block ×4, first 2 shown]
	ds_read_b32 v4, v1
	ds_read_b32 v3, v2
	;; [unrolled: 1-line block ×4, first 2 shown]
	s_cmp_le_i32 s4, s5
	s_cbranch_scc1 .LBB18_17
; %bb.15:
	v_lshlrev_b32_e32 v15, 2, v0
	s_lshl_b32 s11, s16, 2
	v_lshl_or_b32 v15, s16, 6, v15
	s_add_i32 s8, s8, s11
	v_add_u32_e32 v15, 0x3c0, v15
	s_addk_i32 s8, 0xfd3c
	s_mov_b32 s11, s4
.LBB18_16:                              ; =>This Inner Loop Header: Depth=1
	v_mov_b32_e32 v26, s8
	ds_read_b32 v28, v15
	ds_read2_b32 v[16:17], v26 offset0:160 offset1:176
	ds_read2_b32 v[18:19], v26 offset0:128 offset1:144
	;; [unrolled: 1-line block ×5, first 2 shown]
	ds_read2_b32 v[26:27], v26 offset1:16
	s_add_i32 s11, s11, -1
	s_add_i32 s8, s8, -4
	v_subrev_u32_e32 v15, 64, v15
	s_cmp_gt_i32 s11, s5
	s_waitcnt lgkmcnt(5)
	v_fma_f32 v14, -v28, v17, v14
	v_fma_f32 v13, -v28, v16, v13
	s_waitcnt lgkmcnt(4)
	v_fma_f32 v12, -v28, v19, v12
	v_fma_f32 v9, -v28, v18, v9
	;; [unrolled: 3-line block ×6, first 2 shown]
	s_cbranch_scc1 .LBB18_16
.LBB18_17:
	s_mul_i32 s8, s5, 0x44
	v_mov_b32_e32 v15, s8
	s_add_i32 s8, s5, -1
	s_lshl_b32 s11, s8, 6
	s_lshl_b32 s8, s8, 2
	s_add_i32 s8, s11, s8
	s_add_i32 s12, s5, -2
	ds_read_b32 v19, v15
	v_mov_b32_e32 v15, s8
	s_lshl_b32 s13, s12, 6
	s_lshl_b32 s8, s5, 2
	;; [unrolled: 1-line block ×3, first 2 shown]
	s_add_i32 s14, s13, s8
	s_add_i32 s12, s13, s12
	v_mov_b32_e32 v17, s14
	v_mov_b32_e32 v18, s12
	ds_read2_b32 v[15:16], v15 offset1:1
	ds_read_b32 v20, v17
	ds_read2_b32 v[17:18], v18 offset1:1
	s_waitcnt lgkmcnt(3)
	v_mul_f32_e32 v19, v14, v19
	ds_write_b32 v10, v19
	s_waitcnt lgkmcnt(3)
	v_fma_f32 v10, -v19, v16, v13
	v_mul_f32_e32 v21, v10, v15
	v_add_u32_e32 v10, s11, v11
	ds_write_b32 v10, v21
	s_waitcnt lgkmcnt(3)
	v_fma_f32 v10, -v19, v20, v12
	s_add_i32 s11, s5, -3
	s_waitcnt lgkmcnt(2)
	v_fma_f32 v10, -v21, v18, v10
	s_lshl_b32 s12, s11, 6
	v_mul_f32_e32 v18, v10, v17
	v_add_u32_e32 v10, s13, v11
	s_add_i32 s13, s12, s8
	s_add_i32 s13, s13, -4
	s_lshl_b32 s11, s11, 2
	ds_write_b32 v10, v18
	v_mov_b32_e32 v10, s13
	s_add_i32 s11, s12, s11
	ds_read2_b32 v[12:13], v10 offset1:1
	v_mov_b32_e32 v10, s11
	s_add_i32 s11, s5, -4
	s_lshl_b32 s13, s11, 6
	s_add_i32 s14, s13, s8
	v_mov_b32_e32 v16, s14
	s_add_i32 s14, s14, -8
	v_mov_b32_e32 v17, s14
	ds_read2_b32 v[14:15], v10 offset1:1
	ds_read_b32 v10, v16
	ds_read2_b32 v[16:17], v17 offset1:1
	s_waitcnt lgkmcnt(3)
	v_fma_f32 v9, -v19, v13, v9
	s_lshl_b32 s11, s11, 2
	v_fma_f32 v9, -v21, v12, v9
	s_waitcnt lgkmcnt(1)
	v_fma_f32 v8, -v19, v10, v8
	s_waitcnt lgkmcnt(0)
	v_fma_f32 v8, -v21, v17, v8
	s_add_i32 s11, s13, s11
	v_fma_f32 v9, -v18, v15, v9
	v_fma_f32 v10, -v18, v16, v8
	v_mov_b32_e32 v8, s11
	s_add_i32 s11, s5, -5
	v_mul_f32_e32 v20, v9, v14
	v_add_u32_e32 v9, s12, v11
	s_lshl_b32 s12, s11, 6
	s_add_i32 s14, s12, s8
	s_lshl_b32 s11, s11, 2
	s_add_i32 s15, s14, -4
	s_add_i32 s14, s14, -12
	s_add_i32 s11, s12, s11
	ds_write_b32 v9, v20
	v_mov_b32_e32 v12, s15
	v_mov_b32_e32 v14, s14
	;; [unrolled: 1-line block ×3, first 2 shown]
	ds_read2_b32 v[8:9], v8 offset1:1
	ds_read2_b32 v[12:13], v12 offset1:1
	;; [unrolled: 1-line block ×4, first 2 shown]
	s_add_i32 s11, s5, -6
	s_waitcnt lgkmcnt(2)
	v_fma_f32 v7, -v19, v13, v7
	v_fma_f32 v7, -v21, v12, v7
	;; [unrolled: 1-line block ×3, first 2 shown]
	s_waitcnt lgkmcnt(1)
	v_fma_f32 v7, -v18, v15, v7
	v_mul_f32_e32 v22, v9, v8
	v_fma_f32 v7, -v20, v14, v7
	s_waitcnt lgkmcnt(0)
	v_fma_f32 v7, -v22, v17, v7
	v_mul_f32_e32 v16, v7, v16
	v_add_u32_e32 v7, s12, v11
	s_lshl_b32 s12, s11, 6
	v_add_u32_e32 v8, s13, v11
	s_add_i32 s13, s12, s8
	s_add_i32 s14, s13, -8
	ds_write_b32 v8, v22
	ds_write_b32 v7, v16
	v_mov_b32_e32 v7, s13
	v_mov_b32_e32 v8, s14
	ds_read_b32 v14, v7
	ds_read2_b32 v[7:8], v8 offset1:1
	s_lshl_b32 s11, s11, 2
	s_add_i32 s13, s13, -16
	s_add_i32 s11, s12, s11
	v_mov_b32_e32 v9, s13
	v_mov_b32_e32 v12, s11
	ds_read2_b32 v[9:10], v9 offset1:1
	ds_read2_b32 v[12:13], v12 offset1:1
	s_waitcnt lgkmcnt(3)
	v_fma_f32 v6, -v19, v14, v6
	s_waitcnt lgkmcnt(2)
	v_fma_f32 v6, -v21, v8, v6
	v_fma_f32 v6, -v18, v7, v6
	s_waitcnt lgkmcnt(1)
	v_fma_f32 v6, -v20, v10, v6
	;; [unrolled: 3-line block ×3, first 2 shown]
	s_add_i32 s11, s5, -7
	v_mul_f32_e32 v17, v6, v12
	v_add_u32_e32 v6, s12, v11
	s_lshl_b32 s12, s11, 6
	s_add_i32 s13, s12, s8
	s_add_i32 s14, s13, -4
	ds_write_b32 v6, v17
	v_mov_b32_e32 v6, s14
	ds_read2_b32 v[6:7], v6 offset1:1
	s_lshl_b32 s11, s11, 2
	s_add_i32 s14, s13, -12
	s_add_i32 s11, s12, s11
	v_mov_b32_e32 v8, s14
	s_sub_i32 s13, s13, 20
	v_mov_b32_e32 v14, s11
	v_mov_b32_e32 v10, s13
	ds_read2_b32 v[8:9], v8 offset1:1
	ds_read2_b32 v[12:13], v10 offset1:1
	;; [unrolled: 1-line block ×3, first 2 shown]
	s_waitcnt lgkmcnt(3)
	v_fma_f32 v5, -v19, v7, v5
	v_fma_f32 v5, -v21, v6, v5
	s_waitcnt lgkmcnt(2)
	v_fma_f32 v5, -v18, v9, v5
	v_fma_f32 v5, -v20, v8, v5
	;; [unrolled: 3-line block ×3, first 2 shown]
	s_waitcnt lgkmcnt(0)
	v_fma_f32 v5, -v17, v15, v5
	s_add_i32 s11, s5, -8
	v_mul_f32_e32 v14, v5, v14
	v_add_u32_e32 v5, s12, v11
	s_lshl_b32 s12, s11, 6
	s_add_i32 s13, s12, s8
	s_add_i32 s14, s13, -8
	ds_write_b32 v5, v14
	v_mov_b32_e32 v5, s13
	v_mov_b32_e32 v6, s14
	ds_read_b32 v12, v5
	ds_read2_b32 v[5:6], v6 offset1:1
	s_add_i32 s14, s13, -16
	s_sub_i32 s13, s13, 24
	v_mov_b32_e32 v7, s14
	v_mov_b32_e32 v9, s13
	ds_read2_b32 v[7:8], v7 offset1:1
	ds_read2_b32 v[9:10], v9 offset1:1
	s_waitcnt lgkmcnt(3)
	v_fma_f32 v4, -v19, v12, v4
	s_waitcnt lgkmcnt(2)
	v_fma_f32 v4, -v21, v6, v4
	v_fma_f32 v4, -v18, v5, v4
	s_waitcnt lgkmcnt(1)
	v_fma_f32 v4, -v20, v8, v4
	v_fma_f32 v4, -v22, v7, v4
	s_lshl_b32 s11, s11, 2
	s_waitcnt lgkmcnt(0)
	v_fma_f32 v4, -v16, v10, v4
	s_add_i32 s11, s12, s11
	v_fma_f32 v10, -v17, v9, v4
	v_mov_b32_e32 v4, s11
	s_add_i32 s11, s5, -9
	s_lshl_b32 s13, s11, 6
	s_add_i32 s14, s13, s8
	s_add_i32 s15, s14, -4
	v_mov_b32_e32 v6, s15
	s_add_i32 s15, s14, -12
	v_mov_b32_e32 v8, s15
	s_sub_i32 s15, s14, 20
	v_mov_b32_e32 v12, s15
	ds_read2_b32 v[4:5], v4 offset1:1
	ds_read2_b32 v[6:7], v6 offset1:1
	;; [unrolled: 1-line block ×4, first 2 shown]
	s_lshl_b32 s11, s11, 2
	s_add_i32 s11, s13, s11
	s_waitcnt lgkmcnt(2)
	v_fma_f32 v3, -v19, v7, v3
	v_fma_f32 v3, -v21, v6, v3
	s_waitcnt lgkmcnt(1)
	v_fma_f32 v3, -v18, v9, v3
	v_fma_f32 v5, -v14, v5, v10
	;; [unrolled: 1-line block ×3, first 2 shown]
	v_mul_f32_e32 v10, v5, v4
	v_add_u32_e32 v4, s12, v11
	s_waitcnt lgkmcnt(0)
	v_fma_f32 v3, -v22, v13, v3
	s_sub_i32 s12, s14, 28
	v_mov_b32_e32 v5, s11
	s_add_i32 s11, s5, -10
	v_fma_f32 v9, -v16, v12, v3
	v_mov_b32_e32 v3, s12
	s_lshl_b32 s12, s11, 6
	ds_write_b32 v4, v10
	ds_read2_b32 v[3:4], v3 offset1:1
	s_add_i32 s14, s12, s8
	s_add_i32 s15, s14, -8
	v_mov_b32_e32 v7, s14
	v_mov_b32_e32 v8, s15
	ds_read2_b32 v[5:6], v5 offset1:1
	ds_read_b32 v12, v7
	ds_read2_b32 v[7:8], v8 offset1:1
	s_waitcnt lgkmcnt(3)
	v_fma_f32 v4, -v17, v4, v9
	v_fma_f32 v3, -v14, v3, v4
	s_waitcnt lgkmcnt(2)
	v_fma_f32 v3, -v10, v6, v3
	s_waitcnt lgkmcnt(1)
	v_fma_f32 v2, -v19, v12, v2
	v_mul_f32_e32 v13, v3, v5
	v_add_u32_e32 v3, s13, v11
	s_waitcnt lgkmcnt(0)
	v_fma_f32 v2, -v21, v8, v2
	s_add_i32 s13, s14, -16
	v_fma_f32 v12, -v18, v7, v2
	v_mov_b32_e32 v2, s13
	ds_write_b32 v3, v13
	ds_read2_b32 v[2:3], v2 offset1:1
	s_sub_i32 s13, s14, 24
	s_lshl_b32 s11, s11, 2
	v_mov_b32_e32 v4, s13
	s_sub_i32 s13, s14, 32
	s_add_i32 s11, s12, s11
	v_mov_b32_e32 v6, s13
	v_mov_b32_e32 v8, s11
	ds_read2_b32 v[4:5], v4 offset1:1
	ds_read2_b32 v[6:7], v6 offset1:1
	;; [unrolled: 1-line block ×3, first 2 shown]
	s_waitcnt lgkmcnt(3)
	v_fma_f32 v3, -v20, v3, v12
	v_fma_f32 v2, -v22, v2, v3
	s_waitcnt lgkmcnt(2)
	v_fma_f32 v2, -v16, v5, v2
	v_fma_f32 v2, -v17, v4, v2
	;; [unrolled: 3-line block ×3, first 2 shown]
	s_waitcnt lgkmcnt(0)
	v_fma_f32 v2, -v13, v9, v2
	s_add_i32 s11, s5, -11
	v_mul_f32_e32 v12, v2, v8
	v_add_u32_e32 v2, s12, v11
	s_lshl_b32 s12, s11, 6
	s_add_i32 s8, s12, s8
	s_add_i32 s13, s8, -4
	ds_write_b32 v2, v12
	v_mov_b32_e32 v2, s13
	ds_read2_b32 v[2:3], v2 offset1:1
	s_add_i32 s13, s8, -12
	v_mov_b32_e32 v4, s13
	s_sub_i32 s13, s8, 20
	v_mov_b32_e32 v6, s13
	s_sub_i32 s13, s8, 28
	v_mov_b32_e32 v8, s13
	ds_read2_b32 v[4:5], v4 offset1:1
	ds_read2_b32 v[6:7], v6 offset1:1
	;; [unrolled: 1-line block ×3, first 2 shown]
	s_waitcnt lgkmcnt(3)
	v_fma_f32 v1, -v19, v3, v1
	v_fma_f32 v1, -v21, v2, v1
	s_waitcnt lgkmcnt(2)
	v_fma_f32 v1, -v18, v5, v1
	v_fma_f32 v1, -v20, v4, v1
	s_waitcnt lgkmcnt(1)
	v_fma_f32 v1, -v22, v7, v1
	s_sub_i32 s8, s8, 36
	v_fma_f32 v5, -v16, v6, v1
	v_mov_b32_e32 v1, s8
	s_lshl_b32 s8, s11, 2
	ds_read2_b32 v[1:2], v1 offset1:1
	s_add_i32 s8, s12, s8
	v_mov_b32_e32 v3, s8
	ds_read2_b32 v[3:4], v3 offset1:1
	s_waitcnt lgkmcnt(2)
	v_fma_f32 v5, -v17, v9, v5
	v_fma_f32 v5, -v14, v8, v5
	s_waitcnt lgkmcnt(1)
	v_fma_f32 v2, -v10, v2, v5
	v_fma_f32 v1, -v13, v1, v2
	s_waitcnt lgkmcnt(0)
	v_fma_f32 v1, -v12, v4, v1
	v_mul_f32_e32 v1, v1, v3
	v_add_u32_e32 v2, s12, v11
	s_add_i32 s5, s5, -12
	ds_write_b32 v2, v1
.LBB18_18:
	s_cmp_lt_i32 s5, 0
	s_cbranch_scc1 .LBB18_35
; %bb.19:
	s_and_b32 s8, s5, 3
	s_cmp_eq_u32 s8, 3
	v_lshlrev_b32_e32 v1, 2, v0
	s_mov_b32 s8, s5
	s_cbranch_scc1 .LBB18_24
; %bb.20:
	s_add_i32 s8, s5, 1
	s_and_b32 s11, s8, 3
	s_lshl_b32 s8, s5, 6
	s_lshl_b32 s12, s16, 2
	s_add_i32 s8, s8, s12
	v_lshl_or_b32 v2, s16, 6, v1
	s_add_i32 s12, s8, -4
	v_add_u32_e32 v2, 0x3c0, v2
	s_mov_b32 s13, 0
	s_mov_b32 s8, s5
	s_branch .LBB18_22
.LBB18_21:                              ;   in Loop: Header=BB18_22 Depth=1
	s_mul_i32 s14, s8, 0x44
	v_mov_b32_e32 v5, s14
	ds_read_b32 v5, v5
	s_add_i32 s8, s8, -1
	s_add_i32 s13, s13, 1
	s_sub_i32 s12, s12, 64
	s_cmp_lg_u32 s13, s11
	s_waitcnt lgkmcnt(0)
	v_mul_f32_e32 v4, v4, v5
	ds_write_b32 v3, v4
	s_cbranch_scc0 .LBB18_24
.LBB18_22:                              ; =>This Loop Header: Depth=1
                                        ;     Child Loop BB18_23 Depth 2
	s_lshl_b32 s14, s8, 6
	v_add_u32_e32 v3, s14, v11
	ds_read_b32 v4, v3
	s_cmp_le_i32 s4, s8
	v_mov_b32_e32 v5, v2
	s_mov_b32 s14, s12
	s_mov_b32 s15, s4
	s_cbranch_scc1 .LBB18_21
.LBB18_23:                              ;   Parent Loop BB18_22 Depth=1
                                        ; =>  This Inner Loop Header: Depth=2
	v_mov_b32_e32 v7, s14
	ds_read_b32 v6, v5
	ds_read_b32 v7, v7
	s_add_i32 s15, s15, -1
	s_add_i32 s14, s14, -4
	v_subrev_u32_e32 v5, 64, v5
	s_cmp_gt_i32 s15, s8
	s_waitcnt lgkmcnt(0)
	v_fma_f32 v4, -v6, v7, v4
	s_cbranch_scc1 .LBB18_23
	s_branch .LBB18_21
.LBB18_24:
	s_cmp_lt_u32 s5, 3
	s_cbranch_scc1 .LBB18_35
; %bb.25:
	s_lshl_b32 s5, s8, 6
	s_lshl_b32 s11, s16, 2
	s_add_i32 s13, s5, s11
	v_lshl_or_b32 v1, s16, 6, v1
	s_add_i32 s5, s13, -4
	v_add_u32_e32 v1, 0x3c0, v1
	s_add_i32 s11, s13, 0xffffffbc
	s_add_i32 s12, s13, 0xffffff7c
	s_addk_i32 s13, 0xff3c
	s_branch .LBB18_27
.LBB18_26:                              ;   in Loop: Header=BB18_27 Depth=1
	s_addk_i32 s14, 0xffbc
	v_mov_b32_e32 v3, s14
	ds_read_b32 v3, v3
	s_add_i32 s14, s8, -4
	s_addk_i32 s5, 0xff00
	s_addk_i32 s11, 0xff00
	;; [unrolled: 1-line block ×4, first 2 shown]
	s_waitcnt lgkmcnt(0)
	v_mul_f32_e32 v3, v5, v3
	s_cmp_lt_i32 s8, 4
	s_mov_b32 s8, s14
	ds_write_b32 v2, v3
	s_cbranch_scc1 .LBB18_35
.LBB18_27:                              ; =>This Loop Header: Depth=1
                                        ;     Child Loop BB18_28 Depth 2
                                        ;     Child Loop BB18_30 Depth 2
	;; [unrolled: 1-line block ×4, first 2 shown]
	s_lshl_b32 s15, s8, 6
	v_add_u32_e32 v3, s15, v11
	ds_read_b32 v4, v3
	s_cmp_le_i32 s4, s8
	v_mov_b32_e32 v2, v1
	s_mov_b32 s14, s5
	s_mov_b32 s17, s4
	s_cbranch_scc1 .LBB18_29
.LBB18_28:                              ;   Parent Loop BB18_27 Depth=1
                                        ; =>  This Inner Loop Header: Depth=2
	v_mov_b32_e32 v6, s14
	ds_read_b32 v5, v2
	ds_read_b32 v6, v6
	s_add_i32 s17, s17, -1
	s_add_i32 s14, s14, -4
	v_subrev_u32_e32 v2, 64, v2
	s_cmp_gt_i32 s17, s8
	s_waitcnt lgkmcnt(0)
	v_fma_f32 v4, -v5, v6, v4
	s_cbranch_scc1 .LBB18_28
.LBB18_29:                              ;   in Loop: Header=BB18_27 Depth=1
	s_mul_i32 s14, s8, 0x44
	v_mov_b32_e32 v2, s14
	ds_read_b32 v6, v2
	s_sub_i32 s15, s15, 64
	v_add_u32_e32 v2, s15, v11
	ds_read_b32 v5, v2
	s_cmp_le_i32 s16, s8
	s_waitcnt lgkmcnt(1)
	v_mul_f32_e32 v4, v4, v6
	ds_write_b32 v3, v4
	v_mov_b32_e32 v3, v1
	s_mov_b32 s15, s11
	s_mov_b32 s17, s16
	s_cbranch_scc1 .LBB18_31
.LBB18_30:                              ;   Parent Loop BB18_27 Depth=1
                                        ; =>  This Inner Loop Header: Depth=2
	v_mov_b32_e32 v6, s15
	ds_read_b32 v4, v3
	ds_read_b32 v6, v6
	s_add_i32 s17, s17, -1
	s_add_i32 s15, s15, -4
	v_subrev_u32_e32 v3, 64, v3
	s_cmp_gt_i32 s17, s8
	s_waitcnt lgkmcnt(0)
	v_fma_f32 v5, -v4, v6, v5
	s_cbranch_scc1 .LBB18_30
.LBB18_31:                              ;   in Loop: Header=BB18_27 Depth=1
	s_addk_i32 s14, 0xffbc
	v_mov_b32_e32 v3, s14
	s_add_i32 s15, s8, -2
	ds_read_b32 v6, v3
	s_lshl_b32 s17, s15, 6
	v_add_u32_e32 v3, s17, v11
	ds_read_b32 v4, v3
	s_cmp_le_i32 s4, s15
	s_waitcnt lgkmcnt(1)
	v_mul_f32_e32 v5, v5, v6
	ds_write_b32 v2, v5
	v_mov_b32_e32 v2, v1
	s_mov_b32 s17, s12
	s_mov_b32 s18, s4
	s_cbranch_scc1 .LBB18_33
.LBB18_32:                              ;   Parent Loop BB18_27 Depth=1
                                        ; =>  This Inner Loop Header: Depth=2
	v_mov_b32_e32 v6, s17
	ds_read_b32 v5, v2
	ds_read_b32 v6, v6
	s_add_i32 s18, s18, -1
	s_add_i32 s17, s17, -4
	v_subrev_u32_e32 v2, 64, v2
	s_cmp_gt_i32 s18, s15
	s_waitcnt lgkmcnt(0)
	v_fma_f32 v4, -v5, v6, v4
	s_cbranch_scc1 .LBB18_32
.LBB18_33:                              ;   in Loop: Header=BB18_27 Depth=1
	s_addk_i32 s14, 0xffbc
	v_mov_b32_e32 v2, s14
	s_add_i32 s15, s8, -3
	ds_read_b32 v6, v2
	s_lshl_b32 s17, s15, 6
	v_add_u32_e32 v2, s17, v11
	ds_read_b32 v5, v2
	s_cmp_le_i32 s4, s15
	s_waitcnt lgkmcnt(1)
	v_mul_f32_e32 v4, v4, v6
	ds_write_b32 v3, v4
	v_mov_b32_e32 v3, v1
	s_mov_b32 s17, s13
	s_mov_b32 s18, s4
	s_cbranch_scc1 .LBB18_26
.LBB18_34:                              ;   Parent Loop BB18_27 Depth=1
                                        ; =>  This Inner Loop Header: Depth=2
	v_mov_b32_e32 v6, s17
	ds_read_b32 v4, v3
	ds_read_b32 v6, v6
	s_add_i32 s18, s18, -1
	s_add_i32 s17, s17, -4
	v_subrev_u32_e32 v3, 64, v3
	s_cmp_gt_i32 s18, s15
	s_waitcnt lgkmcnt(0)
	v_fma_f32 v5, -v4, v6, v5
	s_cbranch_scc1 .LBB18_34
	s_branch .LBB18_26
.LBB18_35:
	s_mov_b64 s[4:5], 0
.LBB18_36:
	s_and_b64 vcc, exec, s[4:5]
	s_cbranch_vccz .LBB18_50
; %bb.37:
	s_cmp_gt_i32 s10, 15
	s_cselect_b64 s[4:5], -1, 0
	s_and_b64 vcc, exec, s[4:5]
	s_cbranch_vccz .LBB18_39
; %bb.38:
	v_mov_b32_e32 v1, 0
	ds_read2_b32 v[12:13], v11 offset1:16
	ds_read2_b32 v[14:15], v11 offset0:32 offset1:48
	ds_read_b128 v[2:5], v1
	ds_read2_b32 v[16:17], v11 offset0:64 offset1:80
	ds_read2_b32 v[18:19], v11 offset0:96 offset1:112
	;; [unrolled: 1-line block ×3, first 2 shown]
	ds_read_b128 v[6:9], v1 offset:16
	s_mov_b32 s8, 16
	s_waitcnt lgkmcnt(4)
	v_mul_f32_e32 v2, v12, v2
	v_fma_f32 v12, -v2, v3, v13
	v_fma_f32 v13, -v2, v4, v14
	;; [unrolled: 1-line block ×3, first 2 shown]
	s_waitcnt lgkmcnt(0)
	v_fma_f32 v15, -v2, v6, v16
	ds_read_b128 v[3:6], v1 offset:32
	v_fma_f32 v16, -v2, v7, v17
	v_fma_f32 v17, -v2, v8, v18
	;; [unrolled: 1-line block ×3, first 2 shown]
	ds_read2_b32 v[7:8], v11 offset0:160 offset1:176
	ds_read2_b32 v[9:10], v11 offset0:192 offset1:208
	s_waitcnt lgkmcnt(2)
	v_fma_f32 v19, -v2, v3, v20
	v_fma_f32 v20, -v2, v4, v21
	s_waitcnt lgkmcnt(1)
	v_fma_f32 v21, -v2, v5, v7
	v_fma_f32 v22, -v2, v6, v8
	ds_read_b128 v[3:6], v1 offset:48
	s_waitcnt lgkmcnt(0)
	v_fma_f32 v23, -v2, v3, v9
	v_fma_f32 v24, -v2, v4, v10
	ds_read2_b32 v[3:4], v11 offset0:224 offset1:240
	s_waitcnt lgkmcnt(0)
	v_fma_f32 v25, -v2, v5, v3
	v_fma_f32 v26, -v2, v6, v4
	ds_read2_b32 v[3:4], v1 offset0:17 offset1:18
	s_waitcnt lgkmcnt(0)
	v_mul_f32_e32 v27, v12, v3
	v_fma_f32 v7, -v27, v4, v13
	ds_read2_b32 v[3:4], v1 offset0:19 offset1:20
	s_waitcnt lgkmcnt(0)
	v_fma_f32 v8, -v27, v3, v14
	v_fma_f32 v9, -v27, v4, v15
	ds_read2_b64 v[3:6], v1 offset0:17 offset1:18
	s_waitcnt lgkmcnt(0)
	v_mul_f32_e32 v28, v7, v3
	v_fma_f32 v7, -v28, v4, v8
	ds_read2_b32 v[3:4], v1 offset0:21 offset1:22
	v_fma_f32 v8, -v28, v5, v9
	s_waitcnt lgkmcnt(0)
	v_fma_f32 v3, -v27, v3, v16
	v_fma_f32 v3, -v28, v6, v3
	ds_read2_b32 v[5:6], v1 offset0:51 offset1:52
	s_waitcnt lgkmcnt(0)
	v_mul_f32_e32 v29, v7, v5
	v_fma_f32 v12, -v29, v6, v8
	ds_read2_b32 v[6:7], v1 offset0:53 offset1:54
	v_fma_f32 v8, -v27, v4, v17
	s_waitcnt lgkmcnt(0)
	v_fma_f32 v13, -v29, v6, v3
	ds_read2_b64 v[3:6], v1 offset0:19 offset1:20
	s_waitcnt lgkmcnt(0)
	v_fma_f32 v3, -v28, v3, v8
	v_fma_f32 v3, -v29, v7, v3
	ds_read_b128 v[7:10], v1 offset:272
	s_waitcnt lgkmcnt(0)
	v_mul_f32_e32 v30, v12, v7
	v_fma_f32 v14, -v30, v8, v13
	ds_read2_b32 v[7:8], v1 offset0:23 offset1:24
	ds_read2_b32 v[12:13], v1 offset0:25 offset1:26
	v_fma_f32 v9, -v30, v9, v3
	s_waitcnt lgkmcnt(1)
	v_fma_f32 v3, -v27, v7, v18
	v_fma_f32 v7, -v28, v4, v3
	ds_read2_b32 v[3:4], v1 offset0:55 offset1:56
	s_waitcnt lgkmcnt(0)
	v_fma_f32 v3, -v29, v3, v7
	v_fma_f32 v7, -v27, v8, v19
	;; [unrolled: 1-line block ×5, first 2 shown]
	ds_read2_b32 v[5:6], v1 offset0:85 offset1:86
	v_fma_f32 v8, -v29, v4, v7
	v_fma_f32 v3, -v30, v10, v3
	s_waitcnt lgkmcnt(0)
	v_mul_f32_e32 v19, v14, v5
	v_fma_f32 v14, -v19, v6, v9
	ds_read2_b32 v[6:7], v1 offset0:87 offset1:88
	s_waitcnt lgkmcnt(0)
	v_fma_f32 v15, -v19, v6, v3
	ds_read_b128 v[3:6], v1 offset:288
	s_waitcnt lgkmcnt(0)
	v_fma_f32 v3, -v30, v3, v8
	v_fma_f32 v3, -v19, v7, v3
	ds_read2_b64 v[7:10], v1 offset0:51 offset1:52
	s_waitcnt lgkmcnt(0)
	v_mul_f32_e32 v20, v14, v7
	v_fma_f32 v17, -v20, v8, v15
	ds_read2_b32 v[14:15], v1 offset0:57 offset1:58
	v_fma_f32 v18, -v20, v9, v3
	s_waitcnt lgkmcnt(0)
	v_fma_f32 v3, -v29, v14, v12
	v_fma_f32 v7, -v30, v4, v3
	ds_read2_b32 v[3:4], v1 offset0:89 offset1:90
	v_fma_f32 v12, -v27, v13, v21
	s_waitcnt lgkmcnt(0)
	v_fma_f32 v3, -v19, v3, v7
	v_fma_f32 v3, -v20, v10, v3
	ds_read2_b64 v[7:10], v1 offset0:21 offset1:22
	s_waitcnt lgkmcnt(0)
	v_fma_f32 v7, -v28, v7, v12
	v_fma_f32 v7, -v29, v15, v7
	ds_read2_b32 v[15:16], v1 offset0:27 offset1:28
	v_fma_f32 v12, -v30, v5, v7
	v_fma_f32 v12, -v19, v4, v12
	s_waitcnt lgkmcnt(0)
	v_fma_f32 v5, -v27, v15, v22
	v_fma_f32 v5, -v28, v8, v5
	ds_read2_b32 v[7:8], v1 offset0:59 offset1:60
	s_waitcnt lgkmcnt(0)
	v_fma_f32 v5, -v29, v7, v5
	v_fma_f32 v21, -v30, v6, v5
	ds_read2_b32 v[5:6], v1 offset0:119 offset1:120
	s_waitcnt lgkmcnt(0)
	v_mul_f32_e32 v22, v17, v5
	v_fma_f32 v17, -v22, v6, v18
	ds_read2_b32 v[6:7], v1 offset0:121 offset1:122
	s_waitcnt lgkmcnt(0)
	v_fma_f32 v18, -v22, v6, v3
	ds_read2_b64 v[3:6], v1 offset0:53 offset1:54
	s_waitcnt lgkmcnt(0)
	v_fma_f32 v3, -v20, v3, v12
	ds_read_b128 v[12:15], v1 offset:544
	v_fma_f32 v3, -v22, v7, v3
	s_waitcnt lgkmcnt(0)
	v_mul_f32_e32 v31, v17, v12
	v_fma_f32 v32, -v31, v13, v18
	ds_read2_b32 v[12:13], v1 offset0:91 offset1:92
	ds_read2_b32 v[17:18], v1 offset0:123 offset1:124
	v_fma_f32 v33, -v31, v14, v3
	s_waitcnt lgkmcnt(1)
	v_fma_f32 v3, -v19, v12, v21
	v_fma_f32 v3, -v20, v4, v3
	s_waitcnt lgkmcnt(0)
	v_fma_f32 v3, -v22, v17, v3
	v_fma_f32 v17, -v31, v15, v3
	;; [unrolled: 1-line block ×4, first 2 shown]
	ds_read2_b32 v[3:4], v1 offset0:29 offset1:30
	v_fma_f32 v12, -v29, v8, v7
	s_waitcnt lgkmcnt(0)
	v_fma_f32 v3, -v27, v3, v24
	v_fma_f32 v3, -v28, v10, v3
	ds_read_b128 v[7:10], v1 offset:304
	s_waitcnt lgkmcnt(0)
	v_fma_f32 v7, -v30, v7, v12
	v_fma_f32 v7, -v19, v13, v7
	ds_read2_b32 v[12:13], v1 offset0:61 offset1:62
	v_fma_f32 v14, -v20, v5, v7
	v_fma_f32 v5, -v27, v4, v25
	s_waitcnt lgkmcnt(0)
	v_fma_f32 v3, -v29, v12, v3
	v_fma_f32 v3, -v30, v8, v3
	ds_read2_b32 v[7:8], v1 offset0:93 offset1:94
	s_waitcnt lgkmcnt(0)
	v_fma_f32 v3, -v19, v7, v3
	v_fma_f32 v15, -v20, v6, v3
	ds_read_b64 v[3:4], v1 offset:184
	s_waitcnt lgkmcnt(0)
	v_fma_f32 v3, -v28, v3, v5
	ds_read_b32 v5, v1 offset:124
	v_fma_f32 v3, -v29, v13, v3
	v_fma_f32 v6, -v30, v9, v3
	;; [unrolled: 1-line block ×3, first 2 shown]
	s_waitcnt lgkmcnt(0)
	v_fma_f32 v5, -v27, v5, v26
	v_fma_f32 v5, -v28, v4, v5
	ds_read2_b32 v[3:4], v1 offset0:63 offset1:95
	ds_write2_b32 v11, v2, v27 offset1:16
	ds_write2_b32 v11, v28, v29 offset0:32 offset1:48
	ds_write2_b32 v11, v30, v19 offset0:64 offset1:80
	ds_read2_b32 v[6:7], v1 offset0:153 offset1:154
	ds_read2_b32 v[12:13], v1 offset0:127 offset1:159
	ds_write2_b32 v11, v20, v22 offset0:96 offset1:112
	s_waitcnt lgkmcnt(6)
	v_fma_f32 v3, -v29, v3, v5
	v_fma_f32 v5, -v30, v10, v3
	ds_read_b64 v[2:3], v1 offset:440
	s_waitcnt lgkmcnt(0)
	v_fma_f32 v10, -v20, v2, v8
	v_fma_f32 v2, -v19, v4, v5
	;; [unrolled: 1-line block ×3, first 2 shown]
	ds_read_b128 v[2:5], v1 offset:560
	ds_read2_b32 v[8:9], v1 offset0:125 offset1:126
	v_mul_f32_e32 v19, v32, v6
	v_fma_f32 v6, -v22, v18, v14
	v_fma_f32 v7, -v19, v7, v33
	s_waitcnt lgkmcnt(1)
	v_fma_f32 v6, -v31, v2, v6
	s_waitcnt lgkmcnt(0)
	v_fma_f32 v2, -v22, v8, v15
	v_fma_f32 v18, -v31, v3, v2
	;; [unrolled: 1-line block ×6, first 2 shown]
	ds_read2_b64 v[2:5], v1 offset0:85 offset1:86
	ds_read2_b32 v[8:9], v1 offset0:155 offset1:156
	ds_read2_b32 v[14:15], v1 offset0:187 offset1:188
	ds_write2_b32 v11, v31, v19 offset0:128 offset1:144
	s_waitcnt lgkmcnt(3)
	v_mul_f32_e32 v16, v7, v2
	s_waitcnt lgkmcnt(2)
	v_fma_f32 v2, -v19, v8, v17
	v_fma_f32 v2, -v16, v3, v2
	s_waitcnt lgkmcnt(1)
	v_mul_f32_e32 v17, v2, v14
	ds_read2_b32 v[2:3], v1 offset0:157 offset1:158
	v_fma_f32 v6, -v19, v9, v6
	ds_write2_b32 v11, v16, v17 offset0:160 offset1:176
	v_fma_f32 v4, -v16, v4, v6
	ds_read_b128 v[6:9], v1 offset:816
	s_waitcnt lgkmcnt(2)
	v_fma_f32 v2, -v19, v2, v18
	v_fma_f32 v20, -v17, v15, v4
	;; [unrolled: 1-line block ×3, first 2 shown]
	ds_read2_b32 v[4:5], v1 offset0:189 offset1:190
	ds_read2_b32 v[14:15], v1 offset0:221 offset1:222
	v_fma_f32 v10, -v19, v3, v10
	ds_read_b64 v[2:3], v1 offset:696
	s_waitcnt lgkmcnt(3)
	v_mul_f32_e32 v20, v20, v6
	s_waitcnt lgkmcnt(2)
	v_fma_f32 v4, -v17, v4, v18
	v_fma_f32 v4, -v20, v7, v4
	s_waitcnt lgkmcnt(1)
	v_mul_f32_e32 v14, v4, v14
	s_waitcnt lgkmcnt(0)
	v_fma_f32 v2, -v16, v2, v10
	v_fma_f32 v2, -v17, v5, v2
	ds_read_b64 v[4:5], v1 offset:952
	ds_read2_b32 v[6:7], v1 offset0:191 offset1:223
	v_fma_f32 v2, -v20, v8, v2
	v_fma_f32 v2, -v14, v15, v2
	ds_read_b32 v1, v1 offset:1020
	s_waitcnt lgkmcnt(2)
	v_mul_f32_e32 v2, v2, v4
	v_fma_f32 v4, -v19, v13, v12
	v_fma_f32 v3, -v16, v3, v4
	s_waitcnt lgkmcnt(1)
	v_fma_f32 v3, -v17, v6, v3
	v_fma_f32 v3, -v20, v9, v3
	;; [unrolled: 1-line block ×4, first 2 shown]
	s_waitcnt lgkmcnt(0)
	v_mul_f32_e32 v1, v3, v1
	ds_write2_b32 v11, v20, v14 offset0:192 offset1:208
	ds_write2_b32 v11, v2, v1 offset0:224 offset1:240
	s_cmp_lt_i32 s8, s16
	s_cbranch_scc1 .LBB18_40
	s_branch .LBB18_50
.LBB18_39:
	s_mov_b32 s8, 0
	s_cmp_lt_i32 s8, s16
	s_cbranch_scc0 .LBB18_50
.LBB18_40:
	s_or_b32 s11, s8, 11
	s_cmp_ge_u32 s11, s16
	s_cbranch_scc1 .LBB18_45
; %bb.41:
	s_lshl_b32 s10, s8, 6
	v_add_u32_e32 v13, s10, v11
	ds_read2_b32 v[9:10], v13 offset1:16
	ds_read2_b32 v[7:8], v13 offset0:32 offset1:48
	ds_read2_b32 v[5:6], v13 offset0:64 offset1:80
	;; [unrolled: 1-line block ×4, first 2 shown]
	s_lshl_b32 s11, s11, 6
	v_add_u32_e32 v12, s11, v11
	ds_read_b32 v16, v13 offset:640
	ds_read_b32 v15, v12
	s_andn2_b64 vcc, exec, s[4:5]
	s_lshl_b32 s4, s8, 2
	s_cbranch_vccnz .LBB18_44
; %bb.42:
	v_mov_b32_e32 v14, 0x400
	v_lshl_or_b32 v14, v0, 2, v14
	s_mov_b32 s5, s4
	s_mov_b32 s11, s8
.LBB18_43:                              ; =>This Inner Loop Header: Depth=1
	v_mov_b32_e32 v25, s5
	ds_read_b32 v29, v14
	ds_read_b128 v[17:20], v25
	ds_read_b128 v[21:24], v25 offset:16
	ds_read_b128 v[25:28], v25 offset:32
	s_add_i32 s11, s11, -1
	s_add_i32 s5, s5, 64
	v_add_u32_e32 v14, 64, v14
	s_cmp_lg_u32 s11, 0
	s_waitcnt lgkmcnt(2)
	v_fma_f32 v9, -v29, v17, v9
	v_fma_f32 v10, -v29, v18, v10
	v_fma_f32 v7, -v29, v19, v7
	v_fma_f32 v8, -v29, v20, v8
	s_waitcnt lgkmcnt(1)
	v_fma_f32 v5, -v29, v21, v5
	v_fma_f32 v6, -v29, v22, v6
	v_fma_f32 v3, -v29, v23, v3
	v_fma_f32 v4, -v29, v24, v4
	;; [unrolled: 5-line block ×3, first 2 shown]
	s_cbranch_scc1 .LBB18_43
.LBB18_44:
	s_add_i32 s5, s4, s10
	v_mov_b32_e32 v14, s5
	ds_read_b128 v[17:20], v14
	s_or_b32 s12, s10, 64
	s_add_i32 s5, s4, s12
	v_mov_b32_e32 v22, s5
	s_or_b32 s5, s10, 0xc0
	s_waitcnt lgkmcnt(0)
	v_mul_f32_e32 v21, v9, v17
	v_fma_f32 v17, -v21, v18, v10
	v_fma_f32 v18, -v21, v19, v7
	;; [unrolled: 1-line block ×3, first 2 shown]
	ds_read_b128 v[7:10], v14 offset:16
	s_add_i32 s11, s4, s5
	v_mov_b32_e32 v25, s11
	s_or_b32 s11, s10, 0x80
	s_add_i32 s13, s4, s11
	s_waitcnt lgkmcnt(0)
	v_fma_f32 v9, -v21, v9, v3
	v_fma_f32 v20, -v21, v10, v4
	ds_read2_b32 v[3:4], v14 offset0:17 offset1:18
	v_fma_f32 v7, -v21, v7, v5
	v_fma_f32 v8, -v21, v8, v6
	ds_read2_b32 v[5:6], v22 offset0:3 offset1:4
	v_mov_b32_e32 v26, s13
	s_waitcnt lgkmcnt(1)
	v_mul_f32_e32 v23, v17, v3
	v_fma_f32 v10, -v23, v4, v18
	s_or_b32 s15, s10, 0x140
	s_waitcnt lgkmcnt(0)
	v_fma_f32 v17, -v23, v5, v19
	v_fma_f32 v7, -v23, v6, v7
	ds_read2_b64 v[3:6], v14 offset0:17 offset1:18
	s_add_i32 s17, s4, s15
	s_or_b32 s13, s10, 0x100
	s_add_i32 s14, s4, s13
	ds_write_b32 v13, v21
	s_waitcnt lgkmcnt(1)
	v_mul_f32_e32 v19, v10, v3
	v_fma_f32 v10, -v19, v4, v17
	ds_read2_b32 v[3:4], v22 offset0:5 offset1:6
	v_fma_f32 v7, -v19, v5, v7
	s_or_b32 s8, s8, 12
	s_waitcnt lgkmcnt(0)
	v_fma_f32 v3, -v23, v3, v8
	v_fma_f32 v3, -v19, v6, v3
	ds_read2_b32 v[5:6], v14 offset0:51 offset1:52
	v_fma_f32 v8, -v23, v4, v9
	s_waitcnt lgkmcnt(0)
	v_mul_f32_e32 v24, v10, v5
	v_fma_f32 v17, -v24, v6, v7
	ds_read2_b32 v[6:7], v25 offset0:5 offset1:6
	s_waitcnt lgkmcnt(0)
	v_fma_f32 v18, -v24, v6, v3
	ds_read2_b64 v[3:6], v26 offset0:3 offset1:4
	s_waitcnt lgkmcnt(0)
	v_fma_f32 v3, -v19, v3, v8
	v_fma_f32 v3, -v24, v7, v3
	ds_read_b128 v[7:10], v14 offset:272
	s_waitcnt lgkmcnt(0)
	v_mul_f32_e32 v27, v17, v7
	v_fma_f32 v28, -v27, v8, v18
	ds_read2_b32 v[17:18], v22 offset0:7 offset1:8
	v_fma_f32 v29, -v27, v9, v3
	s_waitcnt lgkmcnt(0)
	v_fma_f32 v3, -v23, v17, v20
	v_fma_f32 v7, -v19, v4, v3
	ds_read2_b32 v[3:4], v25 offset0:7 offset1:8
	s_waitcnt lgkmcnt(0)
	v_fma_f32 v3, -v24, v3, v7
	v_fma_f32 v3, -v27, v10, v3
	ds_read_b128 v[7:10], v14 offset:32
	s_waitcnt lgkmcnt(0)
	v_fma_f32 v1, -v21, v7, v1
	v_fma_f32 v1, -v23, v18, v1
	ds_read2_b32 v[17:18], v22 offset0:9 offset1:10
	v_fma_f32 v2, -v21, v8, v2
	v_fma_f32 v5, -v19, v5, v1
	s_waitcnt lgkmcnt(0)
	v_fma_f32 v1, -v23, v17, v2
	v_fma_f32 v17, -v19, v6, v1
	ds_read2_b32 v[1:2], v14 offset0:85 offset1:86
	v_fma_f32 v6, -v24, v4, v5
	s_waitcnt lgkmcnt(0)
	v_mul_f32_e32 v20, v28, v1
	v_fma_f32 v28, -v20, v2, v29
	v_mov_b32_e32 v29, s17
	ds_read2_b32 v[4:5], v29 offset0:7 offset1:8
	v_mov_b32_e32 v1, s14
	s_waitcnt lgkmcnt(0)
	v_fma_f32 v30, -v20, v4, v3
	ds_read_b128 v[1:4], v1 offset:32
	s_waitcnt lgkmcnt(0)
	v_fma_f32 v1, -v27, v1, v6
	v_fma_f32 v1, -v20, v5, v1
	ds_read2_b64 v[5:8], v14 offset0:51 offset1:52
	s_waitcnt lgkmcnt(0)
	v_mul_f32_e32 v28, v28, v5
	v_fma_f32 v30, -v28, v6, v30
	ds_read2_b32 v[5:6], v25 offset0:9 offset1:10
	v_fma_f32 v31, -v28, v7, v1
	v_add_u32_e32 v7, s12, v11
	ds_write_b32 v7, v23
	ds_read_b32 v7, v22 offset:44
	s_waitcnt lgkmcnt(2)
	v_fma_f32 v1, -v24, v5, v17
	v_fma_f32 v5, -v27, v2, v1
	ds_read2_b32 v[1:2], v29 offset0:9 offset1:10
	s_waitcnt lgkmcnt(0)
	v_fma_f32 v1, -v20, v1, v5
	v_fma_f32 v5, -v21, v10, v15
	;; [unrolled: 1-line block ×4, first 2 shown]
	ds_read_b64 v[7:8], v26 offset:40
	v_fma_f32 v1, -v21, v9, v16
	v_fma_f32 v1, -v23, v18, v1
	s_waitcnt lgkmcnt(0)
	v_fma_f32 v1, -v19, v7, v1
	v_fma_f32 v1, -v24, v6, v1
	v_add_u32_e32 v6, s5, v11
	ds_write_b32 v6, v24
	v_add_u32_e32 v6, s13, v11
	ds_write_b32 v6, v27
	v_add_u32_e32 v6, s15, v11
	s_or_b32 s5, s10, 0x180
	ds_write_b32 v6, v20
	v_add_u32_e32 v6, s5, v11
	ds_write_b32 v6, v28
	ds_read_b32 v6, v25 offset:44
	v_fma_f32 v5, -v19, v8, v5
	v_add_u32_e32 v7, s11, v11
	ds_write_b32 v7, v19
	s_add_i32 s5, s4, s5
	s_waitcnt lgkmcnt(1)
	v_fma_f32 v7, -v24, v6, v5
	ds_read2_b32 v[5:6], v14 offset0:119 offset1:120
	s_or_b32 s11, s10, 0x1c0
	v_fma_f32 v1, -v27, v3, v1
	v_mov_b32_e32 v3, s5
	ds_read_b64 v[9:10], v3 offset:40
	s_waitcnt lgkmcnt(1)
	v_mul_f32_e32 v15, v30, v5
	v_add_u32_e32 v5, s11, v11
	s_add_i32 s11, s4, s11
	v_mov_b32_e32 v18, s11
	v_fma_f32 v16, -v27, v4, v7
	ds_read2_b32 v[7:8], v18 offset0:9 offset1:10
	ds_write_b32 v5, v15
	v_fma_f32 v5, -v20, v2, v1
	ds_read_b128 v[1:4], v14 offset:544
	s_waitcnt lgkmcnt(3)
	v_fma_f32 v5, -v28, v9, v5
	v_fma_f32 v19, -v15, v6, v31
	s_waitcnt lgkmcnt(2)
	v_fma_f32 v8, -v15, v8, v5
	ds_read2_b32 v[5:6], v14 offset0:153 offset1:154
	v_fma_f32 v7, -v15, v7, v17
	s_waitcnt lgkmcnt(1)
	v_mul_f32_e32 v9, v19, v1
	v_fma_f32 v1, -v9, v2, v7
	s_or_b32 s5, s10, 0x240
	s_waitcnt lgkmcnt(0)
	v_mul_f32_e32 v5, v1, v5
	v_add_u32_e32 v1, s5, v11
	ds_write_b32 v1, v5
	v_fma_f32 v1, -v9, v3, v8
	v_fma_f32 v3, -v5, v6, v1
	ds_read_b64 v[1:2], v14 offset:680
	ds_read_b32 v6, v29 offset:44
	s_add_i32 s4, s4, s5
	v_mov_b32_e32 v7, s4
	ds_read_b32 v7, v7 offset:44
	s_waitcnt lgkmcnt(2)
	v_mul_f32_e32 v1, v3, v1
	s_waitcnt lgkmcnt(1)
	v_fma_f32 v3, -v20, v6, v16
	ds_read_b32 v6, v18 offset:44
	v_fma_f32 v3, -v28, v10, v3
	ds_read_b32 v8, v14 offset:748
	ds_write2_b32 v13, v9, v1 offset0:128 offset1:160
	s_waitcnt lgkmcnt(2)
	v_fma_f32 v3, -v15, v6, v3
	v_fma_f32 v3, -v9, v4, v3
	;; [unrolled: 1-line block ×4, first 2 shown]
	s_waitcnt lgkmcnt(1)
	v_mul_f32_e32 v1, v1, v8
	ds_write_b32 v12, v1
.LBB18_45:
	s_cmp_ge_i32 s8, s16
	s_cbranch_scc1 .LBB18_50
; %bb.46:
	v_mov_b32_e32 v1, 0x400
	s_lshl_b32 s4, s8, 2
	v_lshl_or_b32 v1, v0, 2, v1
	s_branch .LBB18_48
.LBB18_47:                              ;   in Loop: Header=BB18_48 Depth=1
	s_lshl_b32 s10, s8, 2
	s_add_i32 s5, s10, s5
	v_mov_b32_e32 v4, s5
	ds_read_b32 v4, v4
	s_add_i32 s8, s8, 1
	s_add_i32 s4, s4, 4
	s_cmp_ge_i32 s8, s16
	s_waitcnt lgkmcnt(0)
	v_mul_f32_e32 v3, v3, v4
	ds_write_b32 v2, v3
	s_cbranch_scc1 .LBB18_50
.LBB18_48:                              ; =>This Loop Header: Depth=1
                                        ;     Child Loop BB18_49 Depth 2
	s_lshl_b32 s5, s8, 6
	v_add_u32_e32 v2, s5, v11
	ds_read_b32 v3, v2
	s_cmp_eq_u32 s8, 0
	v_mov_b32_e32 v4, v1
	s_mov_b32 s10, s4
	s_mov_b32 s11, s8
	s_cbranch_scc1 .LBB18_47
.LBB18_49:                              ;   Parent Loop BB18_48 Depth=1
                                        ; =>  This Inner Loop Header: Depth=2
	v_mov_b32_e32 v6, s10
	ds_read_b32 v5, v4
	ds_read_b32 v6, v6
	s_add_i32 s11, s11, -1
	s_add_i32 s10, s10, 64
	v_add_u32_e32 v4, 64, v4
	s_cmp_lg_u32 s11, 0
	s_waitcnt lgkmcnt(0)
	v_fma_f32 v3, -v5, v6, v3
	s_cbranch_scc1 .LBB18_49
	s_branch .LBB18_47
.LBB18_50:
	s_waitcnt lgkmcnt(0)
	; wave barrier
	s_and_saveexec_b64 s[4:5], s[0:1]
	s_cbranch_execz .LBB18_54
; %bb.51:
	s_andn2_b64 vcc, exec, s[2:3]
	s_cbranch_vccnz .LBB18_54
; %bb.52:
	v_mad_i64_i32 v[1:2], s[0:1], s9, v0, 0
	v_mov_b32_e32 v3, s7
	v_lshlrev_b64 v[1:2], 2, v[1:2]
	v_add_co_u32_e32 v1, vcc, s6, v1
	v_addc_co_u32_e32 v2, vcc, v3, v2, vcc
	v_mov_b32_e32 v3, 0x400
	v_lshl_or_b32 v0, v0, 2, v3
.LBB18_53:                              ; =>This Inner Loop Header: Depth=1
	ds_read_b32 v3, v0
	s_add_i32 s16, s16, -1
	v_add_u32_e32 v0, 64, v0
	s_cmp_lg_u32 s16, 0
	s_waitcnt lgkmcnt(0)
	global_store_dword v[1:2], v3, off
	v_add_co_u32_e32 v1, vcc, 4, v1
	v_addc_co_u32_e32 v2, vcc, 0, v2, vcc
	s_cbranch_scc1 .LBB18_53
.LBB18_54:
	s_endpgm
	.section	.rodata,"a",@progbits
	.p2align	6, 0x0
	.amdhsa_kernel _ZL38rocblas_trsm_small_left_device_sharedBILi16ELi16ELb1EffPKfPfEv13rocblas_fill_18rocblas_operation_17rocblas_diagonal_iiT3_T4_lilT5_lili
		.amdhsa_group_segment_fixed_size 2048
		.amdhsa_private_segment_fixed_size 0
		.amdhsa_kernarg_size 352
		.amdhsa_user_sgpr_count 6
		.amdhsa_user_sgpr_private_segment_buffer 1
		.amdhsa_user_sgpr_dispatch_ptr 0
		.amdhsa_user_sgpr_queue_ptr 0
		.amdhsa_user_sgpr_kernarg_segment_ptr 1
		.amdhsa_user_sgpr_dispatch_id 0
		.amdhsa_user_sgpr_flat_scratch_init 0
		.amdhsa_user_sgpr_private_segment_size 0
		.amdhsa_uses_dynamic_stack 0
		.amdhsa_system_sgpr_private_segment_wavefront_offset 0
		.amdhsa_system_sgpr_workgroup_id_x 1
		.amdhsa_system_sgpr_workgroup_id_y 0
		.amdhsa_system_sgpr_workgroup_id_z 1
		.amdhsa_system_sgpr_workgroup_info 0
		.amdhsa_system_vgpr_workitem_id 0
		.amdhsa_next_free_vgpr 35
		.amdhsa_next_free_sgpr 61
		.amdhsa_reserve_vcc 1
		.amdhsa_reserve_flat_scratch 0
		.amdhsa_float_round_mode_32 0
		.amdhsa_float_round_mode_16_64 0
		.amdhsa_float_denorm_mode_32 3
		.amdhsa_float_denorm_mode_16_64 3
		.amdhsa_dx10_clamp 1
		.amdhsa_ieee_mode 1
		.amdhsa_fp16_overflow 0
		.amdhsa_exception_fp_ieee_invalid_op 0
		.amdhsa_exception_fp_denorm_src 0
		.amdhsa_exception_fp_ieee_div_zero 0
		.amdhsa_exception_fp_ieee_overflow 0
		.amdhsa_exception_fp_ieee_underflow 0
		.amdhsa_exception_fp_ieee_inexact 0
		.amdhsa_exception_int_div_zero 0
	.end_amdhsa_kernel
	.section	.text._ZL38rocblas_trsm_small_left_device_sharedBILi16ELi16ELb1EffPKfPfEv13rocblas_fill_18rocblas_operation_17rocblas_diagonal_iiT3_T4_lilT5_lili,"axG",@progbits,_ZL38rocblas_trsm_small_left_device_sharedBILi16ELi16ELb1EffPKfPfEv13rocblas_fill_18rocblas_operation_17rocblas_diagonal_iiT3_T4_lilT5_lili,comdat
.Lfunc_end18:
	.size	_ZL38rocblas_trsm_small_left_device_sharedBILi16ELi16ELb1EffPKfPfEv13rocblas_fill_18rocblas_operation_17rocblas_diagonal_iiT3_T4_lilT5_lili, .Lfunc_end18-_ZL38rocblas_trsm_small_left_device_sharedBILi16ELi16ELb1EffPKfPfEv13rocblas_fill_18rocblas_operation_17rocblas_diagonal_iiT3_T4_lilT5_lili
                                        ; -- End function
	.set _ZL38rocblas_trsm_small_left_device_sharedBILi16ELi16ELb1EffPKfPfEv13rocblas_fill_18rocblas_operation_17rocblas_diagonal_iiT3_T4_lilT5_lili.num_vgpr, 35
	.set _ZL38rocblas_trsm_small_left_device_sharedBILi16ELi16ELb1EffPKfPfEv13rocblas_fill_18rocblas_operation_17rocblas_diagonal_iiT3_T4_lilT5_lili.num_agpr, 0
	.set _ZL38rocblas_trsm_small_left_device_sharedBILi16ELi16ELb1EffPKfPfEv13rocblas_fill_18rocblas_operation_17rocblas_diagonal_iiT3_T4_lilT5_lili.numbered_sgpr, 24
	.set _ZL38rocblas_trsm_small_left_device_sharedBILi16ELi16ELb1EffPKfPfEv13rocblas_fill_18rocblas_operation_17rocblas_diagonal_iiT3_T4_lilT5_lili.num_named_barrier, 0
	.set _ZL38rocblas_trsm_small_left_device_sharedBILi16ELi16ELb1EffPKfPfEv13rocblas_fill_18rocblas_operation_17rocblas_diagonal_iiT3_T4_lilT5_lili.private_seg_size, 0
	.set _ZL38rocblas_trsm_small_left_device_sharedBILi16ELi16ELb1EffPKfPfEv13rocblas_fill_18rocblas_operation_17rocblas_diagonal_iiT3_T4_lilT5_lili.uses_vcc, 1
	.set _ZL38rocblas_trsm_small_left_device_sharedBILi16ELi16ELb1EffPKfPfEv13rocblas_fill_18rocblas_operation_17rocblas_diagonal_iiT3_T4_lilT5_lili.uses_flat_scratch, 0
	.set _ZL38rocblas_trsm_small_left_device_sharedBILi16ELi16ELb1EffPKfPfEv13rocblas_fill_18rocblas_operation_17rocblas_diagonal_iiT3_T4_lilT5_lili.has_dyn_sized_stack, 0
	.set _ZL38rocblas_trsm_small_left_device_sharedBILi16ELi16ELb1EffPKfPfEv13rocblas_fill_18rocblas_operation_17rocblas_diagonal_iiT3_T4_lilT5_lili.has_recursion, 0
	.set _ZL38rocblas_trsm_small_left_device_sharedBILi16ELi16ELb1EffPKfPfEv13rocblas_fill_18rocblas_operation_17rocblas_diagonal_iiT3_T4_lilT5_lili.has_indirect_call, 0
	.section	.AMDGPU.csdata,"",@progbits
; Kernel info:
; codeLenInByte = 8988
; TotalNumSgprs: 28
; NumVgprs: 35
; ScratchSize: 0
; MemoryBound: 0
; FloatMode: 240
; IeeeMode: 1
; LDSByteSize: 2048 bytes/workgroup (compile time only)
; SGPRBlocks: 8
; VGPRBlocks: 8
; NumSGPRsForWavesPerEU: 65
; NumVGPRsForWavesPerEU: 35
; Occupancy: 7
; WaveLimiterHint : 0
; COMPUTE_PGM_RSRC2:SCRATCH_EN: 0
; COMPUTE_PGM_RSRC2:USER_SGPR: 6
; COMPUTE_PGM_RSRC2:TRAP_HANDLER: 0
; COMPUTE_PGM_RSRC2:TGID_X_EN: 1
; COMPUTE_PGM_RSRC2:TGID_Y_EN: 0
; COMPUTE_PGM_RSRC2:TGID_Z_EN: 1
; COMPUTE_PGM_RSRC2:TIDIG_COMP_CNT: 0
	.section	.text._ZL30rocblas_trsm_small_left_deviceILi16ELi16ELb1EffPKfPfEv13rocblas_fill_18rocblas_operation_17rocblas_diagonal_iiT3_T4_lilT5_lili,"axG",@progbits,_ZL30rocblas_trsm_small_left_deviceILi16ELi16ELb1EffPKfPfEv13rocblas_fill_18rocblas_operation_17rocblas_diagonal_iiT3_T4_lilT5_lili,comdat
	.globl	_ZL30rocblas_trsm_small_left_deviceILi16ELi16ELb1EffPKfPfEv13rocblas_fill_18rocblas_operation_17rocblas_diagonal_iiT3_T4_lilT5_lili ; -- Begin function _ZL30rocblas_trsm_small_left_deviceILi16ELi16ELb1EffPKfPfEv13rocblas_fill_18rocblas_operation_17rocblas_diagonal_iiT3_T4_lilT5_lili
	.p2align	8
	.type	_ZL30rocblas_trsm_small_left_deviceILi16ELi16ELb1EffPKfPfEv13rocblas_fill_18rocblas_operation_17rocblas_diagonal_iiT3_T4_lilT5_lili,@function
_ZL30rocblas_trsm_small_left_deviceILi16ELi16ELb1EffPKfPfEv13rocblas_fill_18rocblas_operation_17rocblas_diagonal_iiT3_T4_lilT5_lili: ; @_ZL30rocblas_trsm_small_left_deviceILi16ELi16ELb1EffPKfPfEv13rocblas_fill_18rocblas_operation_17rocblas_diagonal_iiT3_T4_lilT5_lili
; %bb.0:
	s_load_dwordx4 s[0:3], s[4:5], 0x4
	s_load_dword s16, s[4:5], 0x14
	s_load_dwordx4 s[8:11], s[4:5], 0x30
	s_load_dwordx2 s[12:13], s[4:5], 0x40
	s_waitcnt lgkmcnt(0)
	s_min_i32 s17, s2, 16
	v_cmp_gt_i32_e32 vcc, s17, v0
	s_and_saveexec_b64 s[14:15], vcc
	s_cbranch_execz .LBB19_6
; %bb.1:
	s_load_dword s18, s[4:5], 0x28
	s_load_dwordx4 s[20:23], s[4:5], 0x18
	s_mul_i32 s9, s9, s7
	s_mul_hi_u32 s19, s8, s7
	s_add_i32 s9, s19, s9
	s_mul_i32 s8, s8, s7
	s_waitcnt lgkmcnt(0)
	s_ashr_i32 s19, s18, 31
	s_lshl_b64 s[8:9], s[8:9], 2
	s_add_u32 s20, s20, s8
	s_addc_u32 s21, s21, s9
	s_lshl_b64 s[8:9], s[22:23], 2
	s_add_u32 s8, s20, s8
	s_addc_u32 s9, s21, s9
	v_lshlrev_b32_e32 v3, 2, v0
	v_mov_b32_e32 v2, s9
	v_add_co_u32_e32 v1, vcc, s8, v3
	s_lshl_b64 s[8:9], s[18:19], 2
	v_addc_co_u32_e32 v2, vcc, 0, v2, vcc
	v_mov_b32_e32 v4, s9
	v_mov_b32_e32 v5, v3
	s_mov_b32 s9, s17
.LBB19_2:                               ; =>This Inner Loop Header: Depth=1
	global_load_dword v6, v[1:2], off
	v_add_co_u32_e32 v1, vcc, s8, v1
	s_add_i32 s9, s9, -1
	v_addc_co_u32_e32 v2, vcc, v2, v4, vcc
	s_cmp_eq_u32 s9, 0
	s_waitcnt vmcnt(0)
	ds_write_b32 v5, v6
	v_add_u32_e32 v5, 64, v5
	s_cbranch_scc0 .LBB19_2
; %bb.3:
	v_lshlrev_b32_e32 v1, 6, v0
	s_cmpk_lg_i32 s1, 0x84
	v_mov_b32_e32 v2, 1.0
	v_add_u32_e32 v1, v3, v1
	s_cbranch_scc0 .LBB19_5
; %bb.4:
	ds_read_b32 v2, v1
	s_waitcnt lgkmcnt(0)
	v_div_scale_f32 v3, s[8:9], v2, v2, 1.0
	v_div_scale_f32 v4, vcc, 1.0, v2, 1.0
	v_rcp_f32_e32 v5, v3
	v_fma_f32 v6, -v3, v5, 1.0
	v_fmac_f32_e32 v5, v6, v5
	v_mul_f32_e32 v6, v4, v5
	v_fma_f32 v7, -v3, v6, v4
	v_fmac_f32_e32 v6, v7, v5
	v_fma_f32 v3, -v3, v6, v4
	v_div_fmas_f32 v3, v3, v5, v6
	v_div_fixup_f32 v2, v3, v2, 1.0
.LBB19_5:
	ds_write_b32 v1, v2
.LBB19_6:
	s_or_b64 exec, exec, s[14:15]
	s_load_dword s1, s[4:5], 0x60
	s_waitcnt lgkmcnt(0)
	; wave barrier
	s_add_i32 s8, s1, -1
	s_lshl_b32 s1, s6, 4
	s_sub_i32 s3, s3, s1
	s_cmp_ge_u32 s6, s8
	s_cselect_b32 s3, s3, 16
	v_cmp_gt_i32_e32 vcc, s3, v0
	s_and_saveexec_b64 s[8:9], vcc
	s_cbranch_execz .LBB19_48
; %bb.7:
	s_load_dwordx2 s[8:9], s[4:5], 0x50
	s_load_dword s3, s[4:5], 0x48
	v_add_u32_e32 v0, s1, v0
	s_waitcnt lgkmcnt(0)
	s_mul_i32 s1, s9, s7
	s_mul_hi_u32 s5, s8, s7
	s_mul_i32 s4, s8, s7
	s_add_i32 s5, s5, s1
	s_lshl_b64 s[4:5], s[4:5], 2
	s_add_u32 s1, s10, s4
	s_addc_u32 s6, s11, s5
	v_mad_i64_i32 v[0:1], s[4:5], s3, v0, 0
	s_lshl_b64 s[4:5], s[12:13], 2
	s_add_u32 s1, s1, s4
	v_lshlrev_b64 v[0:1], 2, v[0:1]
	s_addc_u32 s3, s6, s5
	v_mov_b32_e32 v2, s3
	v_add_co_u32_e32 v15, vcc, s1, v0
	v_addc_co_u32_e32 v16, vcc, v2, v1, vcc
	s_cmpk_eq_i32 s0, 0x6f
	s_mov_b64 s[0:1], -1
	s_cbranch_scc1 .LBB19_34
; %bb.8:
	s_add_i32 s3, s17, -1
	s_cmp_gt_i32 s2, 15
	s_mov_b32 s0, -1
	s_cbranch_scc0 .LBB19_10
; %bb.9:
	global_load_dwordx4 v[0:3], v[15:16], off offset:48
	global_load_dwordx4 v[4:7], v[15:16], off offset:32
	v_mov_b32_e32 v32, 0
	ds_read_b32 v12, v32 offset:1020
	ds_read_b64 v[21:22], v32 offset:952
	ds_read2_b32 v[17:18], v32 offset0:191 offset1:223
	ds_read_b64 v[23:24], v32 offset:696
	ds_read2_b32 v[29:30], v32 offset0:127 offset1:159
	ds_read_b128 v[8:11], v32 offset:816
	ds_read2_b32 v[25:26], v32 offset0:221 offset1:222
	s_waitcnt vmcnt(1)
	v_mul_f32_e32 v3, s16, v3
	s_waitcnt lgkmcnt(6)
	v_mul_f32_e32 v3, v3, v12
	s_waitcnt lgkmcnt(4)
	v_mul_f32_e32 v17, v3, v17
	v_mul_f32_e32 v12, v3, v22
	v_mul_f32_e32 v13, v3, v18
	s_waitcnt lgkmcnt(1)
	v_mul_f32_e32 v11, v3, v11
	v_mul_f32_e32 v18, v3, v24
	s_waitcnt vmcnt(0)
	v_fma_f32 v7, s16, v7, -v17
	v_mul_f32_e32 v17, v3, v30
	v_fma_f32 v2, s16, v2, -v12
	v_fma_f32 v1, s16, v1, -v13
	v_fma_f32 v0, s16, v0, -v11
	ds_read2_b64 v[11:14], v32 offset0:85 offset1:86
	v_fma_f32 v6, s16, v6, -v18
	v_fma_f32 v24, s16, v5, -v17
	ds_read2_b32 v[27:28], v32 offset0:153 offset1:154
	ds_read_b128 v[17:20], v32 offset:560
	v_mul_f32_e32 v2, v2, v21
	s_waitcnt lgkmcnt(3)
	v_fma_f32 v1, -v2, v26, v1
	v_mul_f32_e32 v1, v1, v25
	ds_read2_b32 v[21:22], v32 offset0:187 offset1:188
	s_waitcnt lgkmcnt(1)
	v_mul_f32_e32 v5, v3, v20
	v_fma_f32 v20, s16, v4, -v5
	ds_read2_b32 v[4:5], v32 offset0:189 offset1:190
	v_fma_f32 v23, -v2, v23, v6
	v_fma_f32 v0, -v2, v10, v0
	;; [unrolled: 1-line block ×3, first 2 shown]
	v_mul_f32_e32 v0, v0, v8
	s_waitcnt lgkmcnt(0)
	v_fma_f32 v5, -v2, v5, v7
	v_fma_f32 v30, -v1, v4, v5
	ds_read2_b32 v[4:5], v32 offset0:157 offset1:158
	ds_read2_b32 v[25:26], v32 offset0:155 offset1:156
	v_fma_f32 v8, -v2, v19, v20
	v_fma_f32 v8, -v1, v18, v8
	v_fma_f32 v10, -v0, v17, v8
	s_waitcnt lgkmcnt(1)
	v_fma_f32 v5, -v2, v5, v24
	v_fma_f32 v31, -v1, v4, v5
	global_load_dwordx4 v[4:7], v[15:16], off offset:16
	global_load_dwordx4 v[17:20], v[15:16], off
	v_fma_f32 v8, -v1, v14, v23
	v_fma_f32 v9, -v0, v22, v30
	;; [unrolled: 1-line block ×3, first 2 shown]
	v_mul_f32_e32 v13, v9, v21
	v_fma_f32 v8, -v13, v12, v8
	v_mul_f32_e32 v12, v8, v11
	s_waitcnt lgkmcnt(0)
	v_fma_f32 v8, -v0, v26, v31
	ds_read_b128 v[21:24], v32 offset:544
	v_fma_f32 v11, -v13, v25, v8
	ds_read_b64 v[8:9], v32 offset:440
	ds_read2_b32 v[30:31], v32 offset0:119 offset1:120
	v_fma_f32 v11, -v12, v28, v11
	v_mul_f32_e32 v11, v11, v27
	ds_read2_b64 v[25:28], v32 offset0:53 offset1:54
	s_waitcnt lgkmcnt(3)
	v_fma_f32 v10, -v13, v24, v10
	s_waitcnt lgkmcnt(2)
	v_mul_f32_e32 v9, v3, v9
	v_fma_f32 v10, -v12, v23, v10
	v_fma_f32 v10, -v11, v22, v10
	v_mul_f32_e32 v10, v10, v21
	ds_read2_b64 v[21:24], v32 offset0:51 offset1:52
	s_waitcnt vmcnt(1)
	v_fma_f32 v6, s16, v6, -v9
	v_fma_f32 v6, -v2, v8, v6
	s_waitcnt lgkmcnt(1)
	v_fma_f32 v6, -v1, v28, v6
	v_fma_f32 v6, -v0, v27, v6
	;; [unrolled: 1-line block ×4, first 2 shown]
	ds_read2_b32 v[8:9], v32 offset0:125 offset1:126
	ds_read2_b32 v[25:26], v32 offset0:123 offset1:124
	v_mul_f32_e32 v6, v3, v29
	v_fma_f32 v6, s16, v7, -v6
	s_waitcnt lgkmcnt(1)
	v_fma_f32 v6, -v2, v9, v6
	v_fma_f32 v8, -v1, v8, v6
	ds_read2_b32 v[6:7], v32 offset0:121 offset1:122
	s_waitcnt lgkmcnt(1)
	v_fma_f32 v8, -v0, v26, v8
	v_fma_f32 v25, -v13, v25, v8
	ds_read2_b32 v[8:9], v32 offset0:63 offset1:95
	s_waitcnt lgkmcnt(1)
	v_fma_f32 v7, -v12, v7, v25
	v_fma_f32 v6, -v11, v6, v7
	;; [unrolled: 1-line block ×5, first 2 shown]
	v_mul_f32_e32 v7, v6, v30
	v_fma_f32 v6, -v7, v22, v14
	v_mul_f32_e32 v6, v6, v21
	ds_read2_b32 v[21:22], v32 offset0:93 offset1:94
	ds_read2_b32 v[23:24], v32 offset0:91 offset1:92
	;; [unrolled: 1-line block ×3, first 2 shown]
	s_waitcnt lgkmcnt(3)
	v_mul_f32_e32 v9, v3, v9
	v_fma_f32 v5, s16, v5, -v9
	s_waitcnt lgkmcnt(2)
	v_fma_f32 v5, -v2, v22, v5
	v_fma_f32 v5, -v1, v21, v5
	ds_read2_b32 v[21:22], v32 offset0:87 offset1:88
	s_waitcnt lgkmcnt(2)
	v_fma_f32 v5, -v0, v24, v5
	v_fma_f32 v5, -v13, v23, v5
	s_waitcnt lgkmcnt(1)
	v_fma_f32 v5, -v12, v26, v5
	v_fma_f32 v5, -v11, v25, v5
	s_waitcnt lgkmcnt(0)
	v_fma_f32 v5, -v10, v22, v5
	ds_read2_b32 v[25:26], v32 offset0:85 offset1:86
	v_fma_f32 v5, -v7, v21, v5
	ds_read_b128 v[21:24], v32 offset:304
	v_mul_f32_e32 v14, v3, v8
	s_waitcnt vmcnt(0)
	v_fma_f32 v14, s16, v20, -v14
	s_waitcnt lgkmcnt(1)
	v_fma_f32 v5, -v6, v26, v5
	v_mul_f32_e32 v5, v5, v25
	s_waitcnt lgkmcnt(0)
	v_mul_f32_e32 v9, v3, v24
	v_fma_f32 v4, s16, v4, -v9
	v_fma_f32 v4, -v2, v23, v4
	v_fma_f32 v4, -v1, v22, v4
	;; [unrolled: 1-line block ×3, first 2 shown]
	ds_read2_b32 v[21:22], v32 offset0:61 offset1:62
	ds_read2_b32 v[8:9], v32 offset0:59 offset1:60
	ds_read_b128 v[24:27], v32 offset:288
	ds_read_b128 v[28:31], v32 offset:272
	s_waitcnt lgkmcnt(3)
	v_fma_f32 v14, -v2, v22, v14
	ds_read2_b32 v[22:23], v32 offset0:57 offset1:58
	v_fma_f32 v14, -v1, v21, v14
	s_waitcnt lgkmcnt(3)
	v_fma_f32 v9, -v0, v9, v14
	ds_read2_b32 v[20:21], v32 offset0:55 offset1:56
	s_waitcnt lgkmcnt(3)
	v_fma_f32 v4, -v13, v27, v4
	v_fma_f32 v8, -v13, v8, v9
	;; [unrolled: 1-line block ×3, first 2 shown]
	s_waitcnt lgkmcnt(1)
	v_fma_f32 v14, -v12, v23, v8
	ds_read2_b32 v[8:9], v32 offset0:53 offset1:54
	v_fma_f32 v4, -v11, v25, v4
	v_fma_f32 v4, -v10, v24, v4
	;; [unrolled: 1-line block ×3, first 2 shown]
	ds_read2_b32 v[24:25], v32 offset0:51 offset1:52
	v_fma_f32 v4, -v7, v31, v4
	s_waitcnt lgkmcnt(2)
	v_fma_f32 v14, -v10, v21, v14
	ds_read_b64 v[26:27], v32 offset:184
	v_fma_f32 v4, -v6, v30, v4
	v_fma_f32 v14, -v7, v20, v14
	;; [unrolled: 1-line block ×3, first 2 shown]
	s_waitcnt lgkmcnt(2)
	v_fma_f32 v9, -v6, v9, v14
	v_mul_f32_e32 v4, v4, v28
	v_fma_f32 v8, -v5, v8, v9
	ds_read2_b64 v[20:23], v32 offset0:21 offset1:22
	s_waitcnt lgkmcnt(2)
	v_fma_f32 v8, -v4, v25, v8
	v_mul_f32_e32 v24, v8, v24
	s_waitcnt lgkmcnt(1)
	v_mul_f32_e32 v8, v3, v27
	v_fma_f32 v8, s16, v19, -v8
	v_fma_f32 v8, -v2, v26, v8
	ds_read2_b64 v[25:28], v32 offset0:19 offset1:20
	s_waitcnt lgkmcnt(1)
	v_fma_f32 v8, -v1, v23, v8
	v_fma_f32 v8, -v0, v22, v8
	v_fma_f32 v8, -v13, v21, v8
	v_fma_f32 v8, -v12, v20, v8
	ds_read2_b64 v[19:22], v32 offset0:17 offset1:18
	s_waitcnt lgkmcnt(1)
	v_fma_f32 v8, -v11, v28, v8
	v_fma_f32 v8, -v10, v27, v8
	;; [unrolled: 1-line block ×4, first 2 shown]
	s_waitcnt lgkmcnt(0)
	v_fma_f32 v8, -v5, v22, v8
	ds_read_b32 v14, v32 offset:124
	v_fma_f32 v8, -v4, v21, v8
	v_fma_f32 v20, -v24, v20, v8
	ds_read2_b32 v[8:9], v32 offset0:29 offset1:30
	ds_read2_b32 v[21:22], v32 offset0:25 offset1:26
	v_mul_f32_e32 v23, v20, v19
	ds_read2_b32 v[19:20], v32 offset0:27 offset1:28
	s_waitcnt lgkmcnt(3)
	v_mul_f32_e32 v14, v3, v14
	v_fma_f32 v14, s16, v18, -v14
	s_waitcnt lgkmcnt(2)
	v_fma_f32 v9, -v2, v9, v14
	v_fma_f32 v8, -v1, v8, v9
	s_waitcnt lgkmcnt(0)
	v_fma_f32 v14, -v0, v20, v8
	ds_read2_b32 v[8:9], v32 offset0:23 offset1:24
	v_fma_f32 v14, -v13, v19, v14
	ds_read2_b32 v[18:19], v32 offset0:21 offset1:22
	v_fma_f32 v14, -v12, v22, v14
	v_fma_f32 v14, -v11, v21, v14
	ds_read2_b32 v[20:21], v32 offset0:19 offset1:20
	s_waitcnt lgkmcnt(2)
	v_fma_f32 v9, -v10, v9, v14
	v_fma_f32 v14, -v7, v8, v9
	s_waitcnt lgkmcnt(1)
	v_fma_f32 v14, -v6, v19, v14
	v_fma_f32 v14, -v5, v18, v14
	ds_read2_b32 v[8:9], v32 offset0:17 offset1:18
	s_waitcnt lgkmcnt(1)
	v_fma_f32 v14, -v4, v21, v14
	v_fma_f32 v14, -v24, v20, v14
	ds_read_b128 v[18:21], v32 offset:48
	ds_read_b128 v[25:28], v32 offset:32
	global_store_dwordx4 v[15:16], v[0:3], off offset:48
	global_store_dwordx4 v[15:16], v[10:13], off offset:32
	global_store_dwordx4 v[15:16], v[4:7], off offset:16
	s_waitcnt lgkmcnt(2)
	v_fma_f32 v9, -v23, v9, v14
	v_mul_f32_e32 v22, v9, v8
	s_waitcnt lgkmcnt(1)
	v_mul_f32_e32 v3, v3, v21
	v_fma_f32 v3, s16, v17, -v3
	v_fma_f32 v2, -v2, v20, v3
	v_fma_f32 v1, -v1, v19, v2
	;; [unrolled: 1-line block ×3, first 2 shown]
	ds_read_b128 v[0:3], v32
	ds_read_b128 v[17:20], v32 offset:16
	s_waitcnt lgkmcnt(2)
	v_fma_f32 v8, -v13, v28, v8
	v_fma_f32 v8, -v12, v27, v8
	;; [unrolled: 1-line block ×4, first 2 shown]
	s_waitcnt lgkmcnt(0)
	v_fma_f32 v7, -v7, v20, v8
	v_fma_f32 v6, -v6, v19, v7
	;; [unrolled: 1-line block ×7, first 2 shown]
	v_mul_f32_e32 v21, v1, v0
	global_store_dwordx4 v[15:16], v[21:24], off
	s_cmp_gt_i32 s0, -1
	s_cbranch_scc1 .LBB19_11
	s_branch .LBB19_33
.LBB19_10:
	s_mov_b32 s0, s3
	s_cmp_gt_i32 s0, -1
	s_cbranch_scc0 .LBB19_33
.LBB19_11:
	s_cmp_lt_u32 s0, 11
	s_cbranch_scc1 .LBB19_16
; %bb.12:
	s_mov_b32 s5, 0
	s_mov_b32 s1, s5
	s_lshl_b64 s[6:7], s[0:1], 2
	v_mov_b32_e32 v1, s7
	v_add_co_u32_e32 v0, vcc, s6, v15
	v_addc_co_u32_e32 v1, vcc, v16, v1, vcc
	global_load_dwordx4 v[2:5], v[0:1], off offset:-12
	global_load_dwordx4 v[6:9], v[0:1], off offset:-28
	;; [unrolled: 1-line block ×3, first 2 shown]
	s_cmp_le_i32 s3, s0
	s_waitcnt vmcnt(2)
	v_mul_f32_e32 v13, s16, v5
	v_mul_f32_e32 v12, s16, v4
	v_mul_f32_e32 v11, s16, v3
	v_mul_f32_e32 v10, s16, v2
	s_waitcnt vmcnt(1)
	v_mul_f32_e32 v9, s16, v9
	v_mul_f32_e32 v8, s16, v8
	v_mul_f32_e32 v7, s16, v7
	v_mul_f32_e32 v6, s16, v6
	s_waitcnt vmcnt(0)
	v_mul_f32_e32 v5, s16, v20
	v_mul_f32_e32 v4, s16, v19
	v_mul_f32_e32 v3, s16, v18
	v_mul_f32_e32 v2, s16, v17
	s_cbranch_scc1 .LBB19_15
; %bb.13:
	s_lshl_b32 s1, s0, 6
	s_lshl_b32 s4, s17, 2
	s_add_i32 s1, s1, s4
	s_addk_i32 s1, 0xfd3c
	s_mov_b32 s4, s3
.LBB19_14:                              ; =>This Inner Loop Header: Depth=1
	s_lshl_b64 s[6:7], s[4:5], 2
	v_mov_b32_e32 v14, s7
	v_add_co_u32_e32 v17, vcc, s6, v15
	v_addc_co_u32_e32 v18, vcc, v16, v14, vcc
	global_load_dword v14, v[17:18], off
	v_mov_b32_e32 v27, s1
	ds_read2_b32 v[17:18], v27 offset0:160 offset1:176
	ds_read2_b32 v[19:20], v27 offset0:128 offset1:144
	;; [unrolled: 1-line block ×5, first 2 shown]
	ds_read2_b32 v[27:28], v27 offset1:16
	s_add_i32 s4, s4, -1
	s_add_i32 s1, s1, -4
	s_cmp_gt_i32 s4, s0
	s_waitcnt vmcnt(0) lgkmcnt(5)
	v_fma_f32 v13, -v14, v18, v13
	v_fma_f32 v12, -v14, v17, v12
	s_waitcnt lgkmcnt(4)
	v_fma_f32 v11, -v14, v20, v11
	v_fma_f32 v10, -v14, v19, v10
	s_waitcnt lgkmcnt(3)
	v_fma_f32 v9, -v14, v22, v9
	v_fma_f32 v8, -v14, v21, v8
	s_waitcnt lgkmcnt(2)
	v_fma_f32 v7, -v14, v24, v7
	v_fma_f32 v6, -v14, v23, v6
	s_waitcnt lgkmcnt(1)
	v_fma_f32 v5, -v14, v26, v5
	v_fma_f32 v4, -v14, v25, v4
	s_waitcnt lgkmcnt(0)
	v_fma_f32 v3, -v14, v28, v3
	v_fma_f32 v2, -v14, v27, v2
	s_cbranch_scc1 .LBB19_14
.LBB19_15:
	s_mul_i32 s1, s0, 0x44
	s_add_i32 s4, s0, -1
	v_mov_b32_e32 v14, s1
	s_lshl_b32 s1, s4, 6
	s_lshl_b32 s5, s4, 2
	s_add_i32 s1, s1, s5
	s_mov_b32 s5, 0
	s_lshl_b64 s[6:7], s[4:5], 2
	s_add_i32 s4, s0, -2
	v_mov_b32_e32 v17, s1
	s_lshl_b32 s8, s4, 6
	s_lshl_b32 s1, s0, 2
	s_add_i32 s9, s8, s1
	ds_read_b32 v14, v14
	v_mov_b32_e32 v19, s9
	s_lshl_b32 s9, s4, 2
	s_add_i32 s8, s8, s9
	v_mov_b32_e32 v20, s8
	ds_read2_b32 v[17:18], v17 offset1:1
	ds_read_b32 v21, v19
	ds_read2_b32 v[19:20], v20 offset1:1
	s_waitcnt lgkmcnt(3)
	v_mul_f32_e32 v22, v13, v14
	global_store_dword v[0:1], v22, off
	s_waitcnt lgkmcnt(2)
	v_fma_f32 v0, -v22, v18, v12
	v_mul_f32_e32 v17, v0, v17
	v_mov_b32_e32 v1, s7
	v_add_co_u32_e32 v0, vcc, s6, v15
	v_addc_co_u32_e32 v1, vcc, v16, v1, vcc
	global_store_dword v[0:1], v17, off
	s_waitcnt lgkmcnt(1)
	v_fma_f32 v0, -v22, v21, v11
	s_waitcnt lgkmcnt(0)
	v_fma_f32 v0, -v17, v20, v0
	s_lshl_b64 s[6:7], s[4:5], 2
	s_add_i32 s4, s0, -3
	v_mul_f32_e32 v18, v0, v19
	v_add_co_u32_e32 v0, vcc, s6, v15
	s_lshl_b32 s6, s4, 6
	v_mov_b32_e32 v1, s7
	s_add_i32 s7, s6, s1
	v_addc_co_u32_e32 v1, vcc, v16, v1, vcc
	s_add_i32 s7, s7, -4
	global_store_dword v[0:1], v18, off
	v_mov_b32_e32 v0, s7
	s_lshl_b32 s7, s4, 2
	s_add_i32 s6, s6, s7
	v_mov_b32_e32 v11, s6
	s_lshl_b64 s[6:7], s[4:5], 2
	s_add_i32 s4, s0, -4
	ds_read2_b32 v[0:1], v0 offset1:1
	s_lshl_b32 s8, s4, 6
	s_add_i32 s9, s8, s1
	v_mov_b32_e32 v13, s9
	s_add_i32 s9, s9, -8
	v_mov_b32_e32 v14, s9
	ds_read2_b32 v[11:12], v11 offset1:1
	ds_read_b32 v19, v13
	ds_read2_b32 v[13:14], v14 offset1:1
	s_waitcnt lgkmcnt(3)
	v_fma_f32 v1, -v22, v1, v10
	v_fma_f32 v0, -v17, v0, v1
	s_waitcnt lgkmcnt(2)
	v_fma_f32 v0, -v18, v12, v0
	v_mul_f32_e32 v20, v0, v11
	v_mov_b32_e32 v1, s7
	v_add_co_u32_e32 v0, vcc, s6, v15
	v_addc_co_u32_e32 v1, vcc, v16, v1, vcc
	global_store_dword v[0:1], v20, off
	s_waitcnt lgkmcnt(1)
	v_fma_f32 v0, -v22, v19, v9
	s_lshl_b32 s6, s4, 2
	s_waitcnt lgkmcnt(0)
	v_fma_f32 v0, -v17, v14, v0
	s_add_i32 s6, s8, s6
	v_fma_f32 v19, -v18, v13, v0
	v_mov_b32_e32 v0, s6
	s_lshl_b64 s[6:7], s[4:5], 2
	s_add_i32 s4, s0, -5
	s_lshl_b32 s8, s4, 6
	ds_read2_b32 v[0:1], v0 offset1:1
	s_add_i32 s9, s8, s1
	s_add_i32 s10, s9, -4
	s_add_i32 s9, s9, -12
	v_mov_b32_e32 v11, s9
	s_lshl_b32 s9, s4, 2
	s_add_i32 s8, s8, s9
	v_mov_b32_e32 v9, s10
	v_mov_b32_e32 v13, s8
	ds_read2_b32 v[9:10], v9 offset1:1
	ds_read2_b32 v[11:12], v11 offset1:1
	;; [unrolled: 1-line block ×3, first 2 shown]
	s_waitcnt lgkmcnt(3)
	v_fma_f32 v1, -v20, v1, v19
	v_mul_f32_e32 v19, v1, v0
	v_mov_b32_e32 v1, s7
	v_add_co_u32_e32 v0, vcc, s6, v15
	v_addc_co_u32_e32 v1, vcc, v16, v1, vcc
	global_store_dword v[0:1], v19, off
	s_waitcnt lgkmcnt(2)
	v_fma_f32 v0, -v22, v10, v8
	v_fma_f32 v0, -v17, v9, v0
	s_waitcnt lgkmcnt(1)
	v_fma_f32 v0, -v18, v12, v0
	v_fma_f32 v0, -v20, v11, v0
	s_waitcnt lgkmcnt(0)
	v_fma_f32 v0, -v19, v14, v0
	s_lshl_b64 s[6:7], s[4:5], 2
	s_add_i32 s4, s0, -6
	v_mul_f32_e32 v13, v0, v13
	v_add_co_u32_e32 v0, vcc, s6, v15
	s_lshl_b32 s6, s4, 6
	v_mov_b32_e32 v1, s7
	s_add_i32 s7, s6, s1
	v_addc_co_u32_e32 v1, vcc, v16, v1, vcc
	s_add_i32 s8, s7, -8
	global_store_dword v[0:1], v13, off
	v_mov_b32_e32 v0, s7
	v_mov_b32_e32 v1, s8
	s_add_i32 s7, s7, -16
	ds_read_b32 v12, v0
	ds_read2_b32 v[0:1], v1 offset1:1
	v_mov_b32_e32 v8, s7
	s_lshl_b32 s7, s4, 2
	s_add_i32 s6, s6, s7
	v_mov_b32_e32 v10, s6
	ds_read2_b32 v[8:9], v8 offset1:1
	ds_read2_b32 v[10:11], v10 offset1:1
	s_waitcnt lgkmcnt(3)
	v_fma_f32 v7, -v22, v12, v7
	s_waitcnt lgkmcnt(2)
	v_fma_f32 v1, -v17, v1, v7
	v_fma_f32 v0, -v18, v0, v1
	s_waitcnt lgkmcnt(1)
	v_fma_f32 v0, -v20, v9, v0
	;; [unrolled: 3-line block ×3, first 2 shown]
	s_lshl_b64 s[6:7], s[4:5], 2
	s_add_i32 s4, s0, -7
	v_mul_f32_e32 v14, v0, v10
	v_add_co_u32_e32 v0, vcc, s6, v15
	s_lshl_b32 s6, s4, 6
	v_mov_b32_e32 v1, s7
	s_add_i32 s7, s6, s1
	v_addc_co_u32_e32 v1, vcc, v16, v1, vcc
	s_add_i32 s8, s7, -4
	global_store_dword v[0:1], v14, off
	v_mov_b32_e32 v0, s8
	ds_read2_b32 v[0:1], v0 offset1:1
	s_add_i32 s8, s7, -12
	s_sub_i32 s7, s7, 20
	v_mov_b32_e32 v9, s7
	s_lshl_b32 s7, s4, 2
	s_add_i32 s6, s6, s7
	v_mov_b32_e32 v7, s8
	v_mov_b32_e32 v11, s6
	ds_read2_b32 v[7:8], v7 offset1:1
	ds_read2_b32 v[9:10], v9 offset1:1
	;; [unrolled: 1-line block ×3, first 2 shown]
	s_waitcnt lgkmcnt(3)
	v_fma_f32 v1, -v22, v1, v6
	v_fma_f32 v0, -v17, v0, v1
	s_waitcnt lgkmcnt(2)
	v_fma_f32 v0, -v18, v8, v0
	v_fma_f32 v0, -v20, v7, v0
	;; [unrolled: 3-line block ×3, first 2 shown]
	s_waitcnt lgkmcnt(0)
	v_fma_f32 v0, -v14, v12, v0
	s_lshl_b64 s[6:7], s[4:5], 2
	s_add_i32 s4, s0, -8
	v_mul_f32_e32 v11, v0, v11
	v_add_co_u32_e32 v0, vcc, s6, v15
	s_lshl_b32 s6, s4, 6
	v_mov_b32_e32 v1, s7
	s_add_i32 s7, s6, s1
	v_addc_co_u32_e32 v1, vcc, v16, v1, vcc
	s_add_i32 s8, s7, -8
	global_store_dword v[0:1], v11, off
	v_mov_b32_e32 v0, s7
	v_mov_b32_e32 v1, s8
	ds_read_b32 v10, v0
	ds_read2_b32 v[0:1], v1 offset1:1
	s_add_i32 s8, s7, -16
	s_sub_i32 s7, s7, 24
	v_mov_b32_e32 v6, s8
	v_mov_b32_e32 v8, s7
	ds_read2_b32 v[6:7], v6 offset1:1
	ds_read2_b32 v[8:9], v8 offset1:1
	s_waitcnt lgkmcnt(3)
	v_fma_f32 v5, -v22, v10, v5
	s_waitcnt lgkmcnt(2)
	v_fma_f32 v1, -v17, v1, v5
	v_fma_f32 v0, -v18, v0, v1
	s_waitcnt lgkmcnt(1)
	v_fma_f32 v0, -v20, v7, v0
	v_fma_f32 v0, -v19, v6, v0
	s_lshl_b32 s7, s4, 2
	s_waitcnt lgkmcnt(0)
	v_fma_f32 v0, -v13, v9, v0
	s_add_i32 s6, s6, s7
	v_fma_f32 v12, -v14, v8, v0
	v_mov_b32_e32 v0, s6
	s_lshl_b64 s[6:7], s[4:5], 2
	s_add_i32 s4, s0, -9
	s_lshl_b32 s8, s4, 6
	ds_read2_b32 v[0:1], v0 offset1:1
	s_add_i32 s9, s8, s1
	s_add_i32 s10, s9, -4
	v_mov_b32_e32 v5, s10
	s_add_i32 s10, s9, -12
	v_mov_b32_e32 v7, s10
	s_sub_i32 s10, s9, 20
	v_mov_b32_e32 v9, s10
	ds_read2_b32 v[5:6], v5 offset1:1
	ds_read2_b32 v[7:8], v7 offset1:1
	;; [unrolled: 1-line block ×3, first 2 shown]
	s_waitcnt lgkmcnt(3)
	v_fma_f32 v1, -v11, v1, v12
	v_mul_f32_e32 v12, v1, v0
	v_mov_b32_e32 v1, s7
	v_add_co_u32_e32 v0, vcc, s6, v15
	v_addc_co_u32_e32 v1, vcc, v16, v1, vcc
	global_store_dword v[0:1], v12, off
	s_waitcnt lgkmcnt(2)
	v_fma_f32 v0, -v22, v6, v4
	v_fma_f32 v0, -v17, v5, v0
	s_waitcnt lgkmcnt(1)
	v_fma_f32 v0, -v18, v8, v0
	v_fma_f32 v0, -v20, v7, v0
	s_waitcnt lgkmcnt(0)
	v_fma_f32 v0, -v19, v10, v0
	s_sub_i32 s6, s9, 28
	v_fma_f32 v8, -v13, v9, v0
	v_mov_b32_e32 v0, s6
	s_lshl_b32 s6, s4, 2
	s_add_i32 s6, s8, s6
	v_mov_b32_e32 v4, s6
	s_lshl_b64 s[6:7], s[4:5], 2
	s_add_i32 s4, s0, -10
	ds_read2_b32 v[0:1], v0 offset1:1
	s_lshl_b32 s8, s4, 6
	s_add_i32 s9, s8, s1
	s_add_i32 s10, s9, -8
	v_mov_b32_e32 v6, s9
	v_mov_b32_e32 v7, s10
	ds_read2_b32 v[4:5], v4 offset1:1
	ds_read_b32 v9, v6
	ds_read2_b32 v[6:7], v7 offset1:1
	s_waitcnt lgkmcnt(3)
	v_fma_f32 v1, -v14, v1, v8
	v_fma_f32 v0, -v11, v0, v1
	s_waitcnt lgkmcnt(2)
	v_fma_f32 v0, -v12, v5, v0
	v_mul_f32_e32 v10, v0, v4
	v_mov_b32_e32 v1, s7
	v_add_co_u32_e32 v0, vcc, s6, v15
	v_addc_co_u32_e32 v1, vcc, v16, v1, vcc
	global_store_dword v[0:1], v10, off
	s_waitcnt lgkmcnt(1)
	v_fma_f32 v0, -v22, v9, v3
	s_waitcnt lgkmcnt(0)
	v_fma_f32 v0, -v17, v7, v0
	s_add_i32 s6, s9, -16
	v_fma_f32 v9, -v18, v6, v0
	v_mov_b32_e32 v0, s6
	s_sub_i32 s6, s9, 24
	ds_read2_b32 v[0:1], v0 offset1:1
	v_mov_b32_e32 v3, s6
	s_sub_i32 s6, s9, 32
	v_mov_b32_e32 v5, s6
	s_lshl_b32 s6, s4, 2
	s_add_i32 s6, s8, s6
	v_mov_b32_e32 v7, s6
	ds_read2_b32 v[3:4], v3 offset1:1
	ds_read2_b32 v[5:6], v5 offset1:1
	;; [unrolled: 1-line block ×3, first 2 shown]
	s_waitcnt lgkmcnt(3)
	v_fma_f32 v1, -v20, v1, v9
	v_fma_f32 v0, -v19, v0, v1
	s_waitcnt lgkmcnt(2)
	v_fma_f32 v0, -v13, v4, v0
	v_fma_f32 v0, -v14, v3, v0
	;; [unrolled: 3-line block ×3, first 2 shown]
	s_waitcnt lgkmcnt(0)
	v_fma_f32 v0, -v10, v8, v0
	s_lshl_b64 s[6:7], s[4:5], 2
	s_add_i32 s4, s0, -11
	v_mul_f32_e32 v9, v0, v7
	v_add_co_u32_e32 v0, vcc, s6, v15
	s_lshl_b32 s6, s4, 6
	v_mov_b32_e32 v1, s7
	s_add_i32 s1, s6, s1
	v_addc_co_u32_e32 v1, vcc, v16, v1, vcc
	s_add_i32 s7, s1, -4
	global_store_dword v[0:1], v9, off
	v_mov_b32_e32 v0, s7
	ds_read2_b32 v[0:1], v0 offset1:1
	s_add_i32 s7, s1, -12
	v_mov_b32_e32 v3, s7
	s_sub_i32 s7, s1, 20
	v_mov_b32_e32 v5, s7
	s_sub_i32 s7, s1, 28
	v_mov_b32_e32 v7, s7
	ds_read2_b32 v[3:4], v3 offset1:1
	ds_read2_b32 v[5:6], v5 offset1:1
	ds_read2_b32 v[7:8], v7 offset1:1
	s_waitcnt lgkmcnt(3)
	v_fma_f32 v1, -v22, v1, v2
	v_fma_f32 v0, -v17, v0, v1
	s_waitcnt lgkmcnt(2)
	v_fma_f32 v0, -v18, v4, v0
	v_fma_f32 v0, -v20, v3, v0
	s_waitcnt lgkmcnt(1)
	v_fma_f32 v0, -v19, v6, v0
	s_sub_i32 s1, s1, 36
	v_fma_f32 v4, -v13, v5, v0
	v_mov_b32_e32 v0, s1
	s_lshl_b32 s1, s4, 2
	ds_read2_b32 v[0:1], v0 offset1:1
	s_add_i32 s1, s6, s1
	v_mov_b32_e32 v2, s1
	ds_read2_b32 v[2:3], v2 offset1:1
	s_waitcnt lgkmcnt(2)
	v_fma_f32 v4, -v14, v8, v4
	v_fma_f32 v4, -v11, v7, v4
	s_waitcnt lgkmcnt(1)
	v_fma_f32 v1, -v12, v1, v4
	v_fma_f32 v0, -v10, v0, v1
	s_waitcnt lgkmcnt(0)
	v_fma_f32 v0, -v9, v3, v0
	s_lshl_b64 s[4:5], s[4:5], 2
	v_mul_f32_e32 v2, v0, v2
	v_mov_b32_e32 v1, s5
	v_add_co_u32_e32 v0, vcc, s4, v15
	v_addc_co_u32_e32 v1, vcc, v16, v1, vcc
	s_add_i32 s0, s0, -12
	global_store_dword v[0:1], v2, off
.LBB19_16:
	s_cmp_lt_i32 s0, 0
	s_cbranch_scc1 .LBB19_33
; %bb.17:
	s_and_b32 s1, s0, 3
	s_cmp_eq_u32 s1, 3
	s_mov_b32 s4, s0
	s_cbranch_scc1 .LBB19_22
; %bb.18:
	s_lshl_b32 s4, s0, 6
	s_lshl_b32 s5, s17, 2
	s_add_i32 s1, s0, 1
	s_add_i32 s4, s4, s5
	s_and_b32 s1, s1, 3
	s_add_i32 s8, s4, -4
	s_mov_b32 s7, 0
	s_mov_b32 s4, s0
	;; [unrolled: 1-line block ×3, first 2 shown]
	s_branch .LBB19_20
.LBB19_19:                              ;   in Loop: Header=BB19_20 Depth=1
	s_mul_i32 s5, s4, 0x44
	v_mov_b32_e32 v3, s5
	ds_read_b32 v3, v3
	s_add_i32 s4, s4, -1
	s_add_i32 s9, s9, 1
	s_sub_i32 s8, s8, 64
	s_cmp_lg_u32 s9, s1
	s_waitcnt lgkmcnt(0)
	v_mul_f32_e32 v2, v2, v3
	global_store_dword v[0:1], v2, off
	s_cbranch_scc0 .LBB19_22
.LBB19_20:                              ; =>This Loop Header: Depth=1
                                        ;     Child Loop BB19_21 Depth 2
	s_mov_b32 s5, s7
	s_lshl_b64 s[10:11], s[4:5], 2
	v_mov_b32_e32 v1, s11
	v_add_co_u32_e32 v0, vcc, s10, v15
	v_addc_co_u32_e32 v1, vcc, v16, v1, vcc
	global_load_dword v2, v[0:1], off
	s_mov_b32 s5, s8
	s_cmp_le_i32 s3, s4
	s_mov_b32 s6, s3
	s_waitcnt vmcnt(0)
	v_mul_f32_e32 v2, s16, v2
	s_cbranch_scc1 .LBB19_19
.LBB19_21:                              ;   Parent Loop BB19_20 Depth=1
                                        ; =>  This Inner Loop Header: Depth=2
	s_lshl_b64 s[10:11], s[6:7], 2
	v_mov_b32_e32 v4, s11
	v_add_co_u32_e32 v3, vcc, s10, v15
	v_addc_co_u32_e32 v4, vcc, v16, v4, vcc
	global_load_dword v3, v[3:4], off
	v_mov_b32_e32 v4, s5
	ds_read_b32 v4, v4
	s_add_i32 s6, s6, -1
	s_add_i32 s5, s5, -4
	s_cmp_gt_i32 s6, s4
	s_waitcnt vmcnt(0) lgkmcnt(0)
	v_fma_f32 v2, -v3, v4, v2
	s_cbranch_scc1 .LBB19_21
	s_branch .LBB19_19
.LBB19_22:
	s_cmp_lt_u32 s0, 3
	s_cbranch_scc1 .LBB19_33
; %bb.23:
	s_lshl_b32 s0, s4, 6
	s_lshl_b32 s1, s17, 2
	s_add_i32 s0, s0, s1
	s_add_i32 s8, s0, -4
	s_add_i32 s9, s0, 0xffffffbc
	s_add_i32 s10, s0, 0xffffff7c
	;; [unrolled: 1-line block ×3, first 2 shown]
	s_mov_b32 s1, 0
	s_branch .LBB19_25
.LBB19_24:                              ;   in Loop: Header=BB19_25 Depth=1
	s_add_i32 s0, s5, 0xffffffbc
	v_mov_b32_e32 v3, s0
	ds_read_b32 v3, v3
	s_add_i32 s0, s4, -4
	s_addk_i32 s8, 0xff00
	s_addk_i32 s9, 0xff00
	;; [unrolled: 1-line block ×4, first 2 shown]
	s_waitcnt lgkmcnt(0)
	v_mul_f32_e32 v2, v2, v3
	s_cmp_lt_i32 s4, 4
	s_mov_b32 s4, s0
	global_store_dword v[0:1], v2, off
	s_cbranch_scc1 .LBB19_33
.LBB19_25:                              ; =>This Loop Header: Depth=1
                                        ;     Child Loop BB19_26 Depth 2
                                        ;     Child Loop BB19_28 Depth 2
	;; [unrolled: 1-line block ×4, first 2 shown]
	s_mov_b32 s5, s1
	s_lshl_b64 s[6:7], s[4:5], 2
	v_mov_b32_e32 v0, s7
	v_add_co_u32_e32 v2, vcc, s6, v15
	v_addc_co_u32_e32 v3, vcc, v16, v0, vcc
	global_load_dword v0, v[2:3], off
	s_mov_b32 s5, s8
	s_cmp_le_i32 s3, s4
	s_mov_b32 s0, s3
	s_waitcnt vmcnt(0)
	v_mul_f32_e32 v4, s16, v0
	s_cbranch_scc1 .LBB19_27
.LBB19_26:                              ;   Parent Loop BB19_25 Depth=1
                                        ; =>  This Inner Loop Header: Depth=2
	s_lshl_b64 s[6:7], s[0:1], 2
	v_mov_b32_e32 v1, s7
	v_add_co_u32_e32 v0, vcc, s6, v15
	v_addc_co_u32_e32 v1, vcc, v16, v1, vcc
	global_load_dword v0, v[0:1], off
	v_mov_b32_e32 v1, s5
	ds_read_b32 v1, v1
	s_add_i32 s0, s0, -1
	s_add_i32 s5, s5, -4
	s_cmp_gt_i32 s0, s4
	s_waitcnt vmcnt(0) lgkmcnt(0)
	v_fma_f32 v4, -v0, v1, v4
	s_cbranch_scc1 .LBB19_26
.LBB19_27:                              ;   in Loop: Header=BB19_25 Depth=1
	s_add_i32 s0, s4, -1
	s_lshl_b64 s[6:7], s[0:1], 2
	v_mov_b32_e32 v1, s7
	v_add_co_u32_e32 v0, vcc, s6, v15
	v_addc_co_u32_e32 v1, vcc, v16, v1, vcc
	global_load_dword v5, v[0:1], off
	s_mul_i32 s5, s4, 0x44
	v_mov_b32_e32 v6, s5
	ds_read_b32 v6, v6
	s_mov_b32 s6, s9
	s_cmp_le_i32 s17, s4
	s_mov_b32 s0, s17
	s_waitcnt lgkmcnt(0)
	v_mul_f32_e32 v4, v4, v6
	global_store_dword v[2:3], v4, off
	s_waitcnt vmcnt(1)
	v_mul_f32_e32 v4, s16, v5
	s_cbranch_scc1 .LBB19_29
.LBB19_28:                              ;   Parent Loop BB19_25 Depth=1
                                        ; =>  This Inner Loop Header: Depth=2
	s_add_i32 s0, s0, -1
	s_lshl_b64 s[12:13], s[0:1], 2
	v_mov_b32_e32 v3, s13
	v_add_co_u32_e32 v2, vcc, s12, v15
	v_addc_co_u32_e32 v3, vcc, v16, v3, vcc
	global_load_dword v2, v[2:3], off
	v_mov_b32_e32 v3, s6
	ds_read_b32 v3, v3
	s_add_i32 s6, s6, -4
	s_cmp_gt_i32 s0, s4
	s_waitcnt vmcnt(0) lgkmcnt(0)
	v_fma_f32 v4, -v2, v3, v4
	s_cbranch_scc1 .LBB19_28
.LBB19_29:                              ;   in Loop: Header=BB19_25 Depth=1
	s_add_i32 s6, s4, -2
	s_mov_b32 s7, s1
	s_lshl_b64 s[12:13], s[6:7], 2
	v_mov_b32_e32 v3, s13
	v_add_co_u32_e32 v2, vcc, s12, v15
	v_addc_co_u32_e32 v3, vcc, v16, v3, vcc
	global_load_dword v5, v[2:3], off
	s_addk_i32 s5, 0xffbc
	v_mov_b32_e32 v6, s5
	ds_read_b32 v6, v6
	s_mov_b32 s7, s10
	s_cmp_le_i32 s3, s6
	s_mov_b32 s0, s3
	s_waitcnt lgkmcnt(0)
	v_mul_f32_e32 v4, v4, v6
	global_store_dword v[0:1], v4, off
	s_waitcnt vmcnt(1)
	v_mul_f32_e32 v4, s16, v5
	s_cbranch_scc1 .LBB19_31
.LBB19_30:                              ;   Parent Loop BB19_25 Depth=1
                                        ; =>  This Inner Loop Header: Depth=2
	s_lshl_b64 s[12:13], s[0:1], 2
	v_mov_b32_e32 v1, s13
	v_add_co_u32_e32 v0, vcc, s12, v15
	v_addc_co_u32_e32 v1, vcc, v16, v1, vcc
	global_load_dword v0, v[0:1], off
	v_mov_b32_e32 v1, s7
	ds_read_b32 v1, v1
	s_add_i32 s0, s0, -1
	s_add_i32 s7, s7, -4
	s_cmp_gt_i32 s0, s6
	s_waitcnt vmcnt(0) lgkmcnt(0)
	v_fma_f32 v4, -v0, v1, v4
	s_cbranch_scc1 .LBB19_30
.LBB19_31:                              ;   in Loop: Header=BB19_25 Depth=1
	s_add_i32 s6, s4, -3
	s_mov_b32 s7, s1
	s_lshl_b64 s[12:13], s[6:7], 2
	v_mov_b32_e32 v1, s13
	v_add_co_u32_e32 v0, vcc, s12, v15
	v_addc_co_u32_e32 v1, vcc, v16, v1, vcc
	global_load_dword v5, v[0:1], off
	s_addk_i32 s5, 0xffbc
	v_mov_b32_e32 v6, s5
	ds_read_b32 v6, v6
	s_mov_b32 s7, s11
	s_cmp_le_i32 s3, s6
	s_mov_b32 s0, s3
	s_waitcnt lgkmcnt(0)
	v_mul_f32_e32 v4, v4, v6
	global_store_dword v[2:3], v4, off
	s_waitcnt vmcnt(1)
	v_mul_f32_e32 v2, s16, v5
	s_cbranch_scc1 .LBB19_24
.LBB19_32:                              ;   Parent Loop BB19_25 Depth=1
                                        ; =>  This Inner Loop Header: Depth=2
	s_lshl_b64 s[12:13], s[0:1], 2
	v_mov_b32_e32 v4, s13
	v_add_co_u32_e32 v3, vcc, s12, v15
	v_addc_co_u32_e32 v4, vcc, v16, v4, vcc
	global_load_dword v3, v[3:4], off
	v_mov_b32_e32 v4, s7
	ds_read_b32 v4, v4
	s_add_i32 s0, s0, -1
	s_add_i32 s7, s7, -4
	s_cmp_gt_i32 s0, s6
	s_waitcnt vmcnt(0) lgkmcnt(0)
	v_fma_f32 v2, -v3, v4, v2
	s_cbranch_scc1 .LBB19_32
	s_branch .LBB19_24
.LBB19_33:
	s_mov_b64 s[0:1], 0
.LBB19_34:
	s_and_b64 vcc, exec, s[0:1]
	s_cbranch_vccz .LBB19_48
; %bb.35:
	s_cmp_gt_i32 s2, 15
	s_cselect_b64 s[0:1], -1, 0
	s_and_b64 vcc, exec, s[0:1]
	s_cbranch_vccz .LBB19_37
; %bb.36:
	global_load_dwordx4 v[0:3], v[15:16], off
	global_load_dwordx4 v[8:11], v[15:16], off offset:16
	v_mov_b32_e32 v17, 0
	ds_read_b128 v[18:21], v17
	ds_read2_b32 v[29:30], v17 offset0:91 offset1:92
	s_mov_b32 s2, 16
	s_waitcnt vmcnt(1)
	v_mul_f32_e32 v0, s16, v0
	s_waitcnt lgkmcnt(1)
	v_mul_f32_e32 v7, v0, v18
	v_mul_f32_e32 v0, v7, v19
	;; [unrolled: 1-line block ×4, first 2 shown]
	v_fma_f32 v6, s16, v1, -v0
	v_fma_f32 v4, s16, v2, -v4
	;; [unrolled: 1-line block ×3, first 2 shown]
	ds_read_b128 v[0:3], v17 offset:16
	ds_read2_b32 v[21:22], v17 offset0:25 offset1:26
	s_waitcnt lgkmcnt(1)
	v_mul_f32_e32 v0, v7, v0
	v_mul_f32_e32 v1, v7, v1
	;; [unrolled: 1-line block ×4, first 2 shown]
	s_waitcnt vmcnt(0)
	v_fma_f32 v12, s16, v8, -v0
	v_fma_f32 v13, s16, v9, -v1
	v_fma_f32 v10, s16, v10, -v2
	v_fma_f32 v11, s16, v11, -v3
	ds_read_b128 v[0:3], v17 offset:32
	s_waitcnt lgkmcnt(0)
	v_mul_f32_e32 v8, v7, v0
	v_mul_f32_e32 v9, v7, v1
	;; [unrolled: 1-line block ×4, first 2 shown]
	global_load_dwordx4 v[0:3], v[15:16], off offset:32
	s_waitcnt vmcnt(0)
	v_fma_f32 v19, s16, v0, -v8
	v_fma_f32 v20, s16, v1, -v9
	ds_read2_b32 v[0:1], v17 offset0:17 offset1:18
	v_fma_f32 v23, s16, v2, -v14
	v_fma_f32 v24, s16, v3, -v18
	ds_read2_b32 v[2:3], v17 offset0:19 offset1:20
	s_waitcnt lgkmcnt(1)
	v_mul_f32_e32 v8, v6, v0
	v_fma_f32 v4, -v8, v1, v4
	s_waitcnt lgkmcnt(0)
	v_fma_f32 v6, -v8, v2, v5
	v_fma_f32 v12, -v8, v3, v12
	ds_read2_b64 v[0:3], v17 offset0:17 offset1:18
	s_waitcnt lgkmcnt(0)
	v_mul_f32_e32 v9, v4, v0
	ds_read2_b32 v[4:5], v17 offset0:21 offset1:22
	s_waitcnt lgkmcnt(0)
	v_fma_f32 v0, -v8, v4, v13
	v_fma_f32 v4, -v9, v1, v6
	;; [unrolled: 1-line block ×4, first 2 shown]
	ds_read2_b32 v[0:1], v17 offset0:23 offset1:24
	v_fma_f32 v5, -v8, v5, v10
	v_fma_f32 v13, -v8, v21, v20
	s_waitcnt lgkmcnt(0)
	v_fma_f32 v10, -v8, v0, v11
	v_fma_f32 v11, -v8, v1, v19
	ds_read2_b64 v[0:3], v17 offset0:19 offset1:20
	s_waitcnt lgkmcnt(0)
	v_fma_f32 v5, -v9, v0, v5
	v_fma_f32 v14, -v9, v1, v10
	ds_read2_b32 v[0:1], v17 offset0:51 offset1:52
	v_fma_f32 v11, -v9, v2, v11
	v_fma_f32 v25, -v9, v3, v13
	ds_read2_b32 v[2:3], v17 offset0:53 offset1:54
	s_waitcnt lgkmcnt(1)
	v_mul_f32_e32 v10, v4, v0
	v_fma_f32 v13, -v10, v1, v6
	ds_read2_b32 v[0:1], v17 offset0:55 offset1:56
	s_waitcnt lgkmcnt(1)
	v_fma_f32 v2, -v10, v2, v12
	v_fma_f32 v12, -v10, v3, v5
	ds_read_b128 v[3:6], v17 offset:272
	global_store_dwordx4 v[15:16], v[7:10], off
	s_waitcnt lgkmcnt(1)
	v_fma_f32 v0, -v10, v0, v14
	v_fma_f32 v18, -v10, v1, v11
	s_waitcnt lgkmcnt(0)
	v_mul_f32_e32 v3, v13, v3
	v_fma_f32 v6, -v3, v6, v0
	ds_read2_b32 v[0:1], v17 offset0:85 offset1:86
	v_fma_f32 v2, -v3, v4, v2
	v_fma_f32 v5, -v3, v5, v12
	ds_read_b128 v[11:14], v17 offset:288
	s_waitcnt lgkmcnt(1)
	v_mul_f32_e32 v4, v2, v0
	v_fma_f32 v2, -v4, v1, v5
	ds_read2_b32 v[0:1], v17 offset0:87 offset1:88
	s_waitcnt lgkmcnt(1)
	v_fma_f32 v5, -v3, v11, v18
	ds_read2_b64 v[18:21], v17 offset0:51 offset1:52
	s_waitcnt lgkmcnt(1)
	v_fma_f32 v6, -v4, v0, v6
	v_fma_f32 v26, -v4, v1, v5
	ds_read2_b32 v[0:1], v17 offset0:57 offset1:58
	s_waitcnt lgkmcnt(1)
	v_mul_f32_e32 v5, v2, v18
	v_fma_f32 v2, -v5, v19, v6
	s_waitcnt lgkmcnt(0)
	v_fma_f32 v0, -v10, v0, v25
	v_fma_f32 v0, -v3, v12, v0
	ds_read2_b32 v[11:12], v17 offset0:89 offset1:90
	s_waitcnt lgkmcnt(0)
	v_fma_f32 v0, -v4, v11, v0
	v_fma_f32 v11, -v5, v20, v26
	;; [unrolled: 1-line block ×3, first 2 shown]
	ds_read2_b64 v[18:21], v17 offset0:21 offset1:22
	v_fma_f32 v0, -v8, v22, v23
	s_waitcnt lgkmcnt(0)
	v_fma_f32 v0, -v9, v18, v0
	v_fma_f32 v6, -v10, v1, v0
	ds_read2_b32 v[0:1], v17 offset0:27 offset1:28
	v_fma_f32 v22, -v3, v13, v6
	s_waitcnt lgkmcnt(0)
	v_fma_f32 v0, -v8, v0, v24
	v_fma_f32 v0, -v9, v19, v0
	ds_read2_b32 v[18:19], v17 offset0:59 offset1:60
	s_waitcnt lgkmcnt(0)
	v_fma_f32 v0, -v10, v18, v0
	v_fma_f32 v18, -v3, v14, v0
	ds_read2_b32 v[13:14], v17 offset0:119 offset1:120
	s_waitcnt lgkmcnt(0)
	v_mul_f32_e32 v6, v2, v13
	v_fma_f32 v0, -v6, v14, v11
	v_fma_f32 v2, -v4, v12, v22
	ds_read2_b32 v[22:23], v17 offset0:121 offset1:122
	ds_read2_b64 v[11:14], v17 offset0:53 offset1:54
	global_store_dwordx4 v[15:16], v[3:6], off offset:16
	s_waitcnt lgkmcnt(1)
	v_fma_f32 v26, -v6, v22, v25
	s_waitcnt lgkmcnt(0)
	v_fma_f32 v2, -v5, v11, v2
	v_fma_f32 v2, -v6, v23, v2
	ds_read_b128 v[22:25], v17 offset:544
	s_waitcnt lgkmcnt(0)
	v_mul_f32_e32 v0, v0, v22
	v_fma_f32 v31, -v0, v23, v26
	v_fma_f32 v32, -v0, v24, v2
	;; [unrolled: 1-line block ×3, first 2 shown]
	global_load_dwordx4 v[26:29], v[15:16], off offset:48
	v_fma_f32 v2, -v5, v12, v2
	ds_read2_b32 v[11:12], v17 offset0:123 offset1:124
	s_waitcnt lgkmcnt(0)
	v_fma_f32 v2, -v6, v11, v2
	v_fma_f32 v11, -v0, v25, v2
	ds_read_b128 v[22:25], v17 offset:48
	s_waitcnt lgkmcnt(0)
	v_mul_f32_e32 v2, v7, v22
	s_waitcnt vmcnt(0)
	v_fma_f32 v2, s16, v26, -v2
	v_fma_f32 v1, -v8, v1, v2
	v_mul_f32_e32 v2, v7, v23
	ds_read2_b32 v[22:23], v17 offset0:29 offset1:30
	v_fma_f32 v2, s16, v27, -v2
	v_fma_f32 v1, -v9, v20, v1
	ds_read2_b32 v[26:27], v17 offset0:61 offset1:62
	v_fma_f32 v1, -v10, v19, v1
	s_waitcnt lgkmcnt(1)
	v_fma_f32 v2, -v8, v22, v2
	v_fma_f32 v2, -v9, v21, v2
	ds_read_b128 v[18:21], v17 offset:304
	s_waitcnt lgkmcnt(0)
	v_fma_f32 v1, -v3, v18, v1
	v_fma_f32 v1, -v4, v30, v1
	;; [unrolled: 1-line block ×5, first 2 shown]
	ds_read2_b32 v[18:19], v17 offset0:93 offset1:94
	v_fma_f32 v22, -v6, v12, v13
	s_waitcnt lgkmcnt(0)
	v_fma_f32 v1, -v4, v18, v1
	v_fma_f32 v18, -v5, v14, v1
	ds_read2_b32 v[1:2], v17 offset0:153 offset1:154
	s_waitcnt lgkmcnt(0)
	v_mul_f32_e32 v1, v31, v1
	ds_read2_b32 v[30:31], v17 offset0:155 offset1:156
	v_fma_f32 v2, -v1, v2, v32
	s_waitcnt lgkmcnt(0)
	v_fma_f32 v26, -v1, v30, v11
	ds_read_b128 v[11:14], v17 offset:560
	s_waitcnt lgkmcnt(0)
	v_fma_f32 v11, -v0, v11, v22
	v_fma_f32 v11, -v1, v31, v11
	ds_read2_b64 v[30:33], v17 offset0:85 offset1:86
	v_mul_f32_e32 v22, v7, v25
	s_waitcnt lgkmcnt(0)
	v_mul_f32_e32 v2, v2, v30
	v_fma_f32 v26, -v2, v31, v26
	ds_read2_b32 v[30:31], v17 offset0:125 offset1:126
	v_fma_f32 v32, -v2, v32, v11
	s_waitcnt lgkmcnt(0)
	v_fma_f32 v11, -v6, v30, v18
	v_fma_f32 v18, -v0, v12, v11
	ds_read2_b32 v[11:12], v17 offset0:157 offset1:158
	s_waitcnt lgkmcnt(0)
	v_fma_f32 v11, -v1, v11, v18
	v_mul_f32_e32 v18, v7, v24
	v_fma_f32 v18, s16, v28, -v18
	v_fma_f32 v24, s16, v29, -v22
	v_fma_f32 v18, -v8, v23, v18
	ds_read_b64 v[22:23], v17 offset:184
	v_fma_f32 v11, -v2, v33, v11
	s_waitcnt lgkmcnt(0)
	v_fma_f32 v18, -v9, v22, v18
	ds_read_b32 v22, v17 offset:124
	v_fma_f32 v18, -v10, v27, v18
	s_waitcnt lgkmcnt(0)
	v_fma_f32 v22, -v8, v22, v24
	ds_read2_b32 v[7:8], v17 offset0:63 offset1:95
	v_fma_f32 v22, -v9, v23, v22
	v_fma_f32 v9, -v3, v20, v18
	;; [unrolled: 1-line block ×3, first 2 shown]
	s_waitcnt lgkmcnt(0)
	v_fma_f32 v7, -v10, v7, v22
	ds_read_b64 v[9:10], v17 offset:440
	v_fma_f32 v7, -v3, v21, v7
	v_fma_f32 v7, -v4, v8, v7
	ds_read2_b32 v[3:4], v17 offset0:187 offset1:188
	s_waitcnt lgkmcnt(1)
	v_fma_f32 v9, -v5, v9, v18
	v_fma_f32 v18, -v6, v31, v9
	;; [unrolled: 1-line block ×3, first 2 shown]
	ds_read2_b32 v[7:8], v17 offset0:127 offset1:159
	s_waitcnt lgkmcnt(1)
	v_mul_f32_e32 v3, v26, v3
	v_fma_f32 v19, -v3, v4, v32
	v_fma_f32 v4, -v0, v13, v18
	;; [unrolled: 1-line block ×3, first 2 shown]
	s_waitcnt lgkmcnt(0)
	v_fma_f32 v5, -v6, v7, v9
	ds_read2_b32 v[9:10], v17 offset0:189 offset1:190
	ds_read_b64 v[12:13], v17 offset:696
	v_fma_f32 v14, -v0, v14, v5
	ds_read_b128 v[4:7], v17 offset:816
	global_store_dwordx4 v[15:16], v[0:3], off offset:32
	s_waitcnt lgkmcnt(2)
	v_fma_f32 v9, -v3, v9, v11
	s_waitcnt lgkmcnt(1)
	v_fma_f32 v11, -v2, v12, v18
	ds_read_b32 v0, v17 offset:1020
	s_waitcnt lgkmcnt(1)
	v_mul_f32_e32 v4, v19, v4
	v_fma_f32 v11, -v3, v10, v11
	v_fma_f32 v5, -v4, v5, v9
	ds_read2_b32 v[9:10], v17 offset0:221 offset1:222
	v_fma_f32 v6, -v4, v6, v11
	s_waitcnt lgkmcnt(0)
	v_mul_f32_e32 v5, v5, v9
	v_fma_f32 v6, -v5, v10, v6
	v_fma_f32 v10, -v1, v8, v14
	;; [unrolled: 1-line block ×3, first 2 shown]
	ds_read2_b32 v[10:11], v17 offset0:191 offset1:223
	ds_read_b64 v[8:9], v17 offset:952
	s_waitcnt lgkmcnt(1)
	v_fma_f32 v1, -v3, v10, v12
	v_fma_f32 v1, -v4, v7, v1
	s_waitcnt lgkmcnt(0)
	v_mul_f32_e32 v6, v6, v8
	v_fma_f32 v1, -v5, v11, v1
	v_fma_f32 v1, -v6, v9, v1
	v_mul_f32_e32 v7, v1, v0
	global_store_dwordx4 v[15:16], v[4:7], off offset:48
	s_cmp_lt_i32 s2, s17
	s_cbranch_scc1 .LBB19_38
	s_branch .LBB19_48
.LBB19_37:
	s_mov_b32 s2, 0
	s_cmp_lt_i32 s2, s17
	s_cbranch_scc0 .LBB19_48
.LBB19_38:
	s_or_b32 s3, s2, 11
	s_cmp_ge_u32 s3, s17
	s_cbranch_scc1 .LBB19_43
; %bb.39:
	s_lshl_b32 s3, s2, 2
	v_add_co_u32_e32 v0, vcc, s3, v15
	v_addc_co_u32_e32 v1, vcc, 0, v16, vcc
	global_load_dwordx4 v[2:5], v[0:1], off
	global_load_dwordx4 v[18:21], v[0:1], off offset:16
	global_load_dwordx4 v[22:25], v[0:1], off offset:32
	s_andn2_b64 vcc, exec, s[0:1]
	s_waitcnt vmcnt(2)
	v_mul_f32_e32 v17, s16, v2
	v_mul_f32_e32 v14, s16, v3
	v_mul_f32_e32 v13, s16, v4
	v_mul_f32_e32 v12, s16, v5
	s_waitcnt vmcnt(1)
	v_mul_f32_e32 v11, s16, v18
	v_mul_f32_e32 v10, s16, v19
	v_mul_f32_e32 v9, s16, v20
	v_mul_f32_e32 v8, s16, v21
	;; [unrolled: 5-line block ×3, first 2 shown]
	s_cbranch_vccnz .LBB19_42
; %bb.40:
	v_mov_b32_e32 v2, v15
	v_mov_b32_e32 v3, v16
	s_mov_b32 s0, s2
.LBB19_41:                              ; =>This Inner Loop Header: Depth=1
	global_load_dword v30, v[2:3], off
	v_mov_b32_e32 v26, s3
	ds_read_b128 v[18:21], v26
	ds_read_b128 v[22:25], v26 offset:16
	ds_read_b128 v[26:29], v26 offset:32
	s_add_i32 s0, s0, -1
	s_add_i32 s3, s3, 64
	v_add_co_u32_e32 v2, vcc, 4, v2
	v_addc_co_u32_e32 v3, vcc, 0, v3, vcc
	s_cmp_lg_u32 s0, 0
	s_waitcnt vmcnt(0) lgkmcnt(2)
	v_fma_f32 v17, -v30, v18, v17
	v_fma_f32 v14, -v30, v19, v14
	;; [unrolled: 1-line block ×4, first 2 shown]
	s_waitcnt lgkmcnt(1)
	v_fma_f32 v11, -v30, v22, v11
	v_fma_f32 v10, -v30, v23, v10
	;; [unrolled: 1-line block ×4, first 2 shown]
	s_waitcnt lgkmcnt(0)
	v_fma_f32 v7, -v30, v26, v7
	v_fma_f32 v6, -v30, v27, v6
	;; [unrolled: 1-line block ×4, first 2 shown]
	s_cbranch_scc1 .LBB19_41
.LBB19_42:
	s_lshl_b32 s0, s2, 2
	s_lshl_b32 s1, s2, 6
	s_add_i32 s0, s0, s1
	v_mov_b32_e32 v34, s0
	ds_read_b128 v[18:21], v34
	ds_read_b128 v[22:25], v34 offset:16
	ds_read2_b32 v[2:3], v34 offset0:17 offset1:18
	ds_read_b128 v[30:33], v34 offset:32
	ds_read2_b64 v[26:29], v34 offset0:17 offset1:18
	s_waitcnt lgkmcnt(4)
	v_mul_f32_e32 v17, v17, v18
	v_fma_f32 v14, -v17, v19, v14
	s_waitcnt lgkmcnt(2)
	v_mul_f32_e32 v18, v14, v2
	v_fma_f32 v2, -v17, v20, v13
	v_fma_f32 v2, -v18, v3, v2
	s_waitcnt lgkmcnt(0)
	v_mul_f32_e32 v19, v2, v26
	ds_read2_b32 v[2:3], v34 offset0:19 offset1:20
	v_fma_f32 v12, -v17, v21, v12
	v_fma_f32 v10, -v17, v23, v10
	;; [unrolled: 1-line block ×4, first 2 shown]
	s_waitcnt lgkmcnt(0)
	v_fma_f32 v2, -v18, v2, v12
	ds_read2_b32 v[12:13], v34 offset0:51 offset1:52
	v_fma_f32 v2, -v19, v27, v2
	s_or_b32 s2, s2, 12
	ds_read2_b32 v[26:27], v34 offset0:53 offset1:54
	s_waitcnt lgkmcnt(1)
	v_mul_f32_e32 v20, v2, v12
	v_fma_f32 v2, -v17, v22, v11
	v_fma_f32 v2, -v18, v3, v2
	;; [unrolled: 1-line block ×4, first 2 shown]
	ds_read_b128 v[11:14], v34 offset:272
	global_store_dwordx4 v[0:1], v[17:20], off
	s_waitcnt lgkmcnt(0)
	v_mul_f32_e32 v11, v2, v11
	ds_read2_b32 v[2:3], v34 offset0:21 offset1:22
	s_waitcnt lgkmcnt(0)
	v_fma_f32 v2, -v18, v2, v10
	v_fma_f32 v2, -v19, v29, v2
	ds_read2_b32 v[28:29], v34 offset0:85 offset1:86
	v_fma_f32 v2, -v20, v26, v2
	v_fma_f32 v2, -v11, v12, v2
	s_waitcnt lgkmcnt(0)
	v_mul_f32_e32 v12, v2, v28
	v_fma_f32 v2, -v17, v24, v9
	ds_read2_b64 v[21:24], v34 offset0:19 offset1:20
	v_fma_f32 v2, -v18, v3, v2
	s_waitcnt lgkmcnt(0)
	v_fma_f32 v2, -v19, v21, v2
	v_fma_f32 v2, -v20, v27, v2
	;; [unrolled: 1-line block ×4, first 2 shown]
	ds_read2_b64 v[26:29], v34 offset0:51 offset1:52
	s_waitcnt lgkmcnt(0)
	v_mul_f32_e32 v13, v2, v26
	ds_read2_b32 v[2:3], v34 offset0:23 offset1:24
	ds_read2_b32 v[25:26], v34 offset0:119 offset1:120
	s_waitcnt lgkmcnt(1)
	v_fma_f32 v2, -v18, v2, v8
	ds_read2_b32 v[8:9], v34 offset0:55 offset1:56
	v_fma_f32 v2, -v19, v22, v2
	ds_read2_b32 v[21:22], v34 offset0:87 offset1:88
	s_waitcnt lgkmcnt(1)
	v_fma_f32 v2, -v20, v8, v2
	v_fma_f32 v2, -v11, v14, v2
	s_waitcnt lgkmcnt(0)
	v_fma_f32 v2, -v12, v21, v2
	v_fma_f32 v2, -v13, v27, v2
	v_mul_f32_e32 v14, v2, v25
	v_fma_f32 v2, -v17, v30, v7
	v_fma_f32 v2, -v18, v3, v2
	;; [unrolled: 1-line block ×4, first 2 shown]
	ds_read_b128 v[7:10], v34 offset:288
	global_store_dwordx4 v[0:1], v[11:14], off offset:16
	s_waitcnt lgkmcnt(0)
	v_fma_f32 v2, -v11, v7, v2
	v_fma_f32 v2, -v12, v22, v2
	v_fma_f32 v2, -v13, v28, v2
	v_fma_f32 v2, -v14, v26, v2
	ds_read_b128 v[25:28], v34 offset:544
	ds_read2_b32 v[21:22], v34 offset0:57 offset1:58
	s_waitcnt lgkmcnt(1)
	v_mul_f32_e32 v7, v2, v25
	ds_read2_b32 v[2:3], v34 offset0:25 offset1:26
	s_waitcnt lgkmcnt(0)
	v_fma_f32 v2, -v18, v2, v6
	v_fma_f32 v2, -v19, v24, v2
	ds_read2_b32 v[23:24], v34 offset0:89 offset1:90
	v_fma_f32 v2, -v20, v21, v2
	v_fma_f32 v2, -v11, v8, v2
	s_waitcnt lgkmcnt(0)
	v_fma_f32 v2, -v12, v23, v2
	v_fma_f32 v2, -v13, v29, v2
	ds_read2_b32 v[29:30], v34 offset0:121 offset1:122
	s_waitcnt lgkmcnt(0)
	v_fma_f32 v2, -v14, v29, v2
	v_fma_f32 v2, -v7, v26, v2
	ds_read2_b32 v[25:26], v34 offset0:153 offset1:154
	s_waitcnt lgkmcnt(0)
	v_mul_f32_e32 v8, v2, v25
	v_fma_f32 v2, -v17, v32, v5
	v_fma_f32 v5, -v18, v3, v2
	ds_read_b64 v[2:3], v34 offset:168
	s_waitcnt lgkmcnt(0)
	v_fma_f32 v2, -v19, v2, v5
	ds_read_b64 v[5:6], v34 offset:424
	v_fma_f32 v2, -v20, v22, v2
	v_fma_f32 v2, -v11, v9, v2
	;; [unrolled: 1-line block ×3, first 2 shown]
	ds_read_b64 v[21:22], v34 offset:680
	s_waitcnt lgkmcnt(1)
	v_fma_f32 v2, -v13, v5, v2
	v_fma_f32 v2, -v14, v30, v2
	;; [unrolled: 1-line block ×4, first 2 shown]
	s_waitcnt lgkmcnt(0)
	v_mul_f32_e32 v9, v2, v21
	v_fma_f32 v2, -v17, v33, v4
	ds_read_b32 v4, v34 offset:108
	s_waitcnt lgkmcnt(0)
	v_fma_f32 v2, -v18, v4, v2
	v_fma_f32 v4, -v19, v3, v2
	ds_read2_b32 v[2:3], v34 offset0:59 offset1:91
	s_waitcnt lgkmcnt(0)
	v_fma_f32 v2, -v20, v2, v4
	v_fma_f32 v2, -v11, v10, v2
	;; [unrolled: 1-line block ×4, first 2 shown]
	ds_read2_b32 v[2:3], v34 offset0:123 offset1:155
	s_waitcnt lgkmcnt(0)
	v_fma_f32 v2, -v14, v2, v4
	v_fma_f32 v2, -v7, v28, v2
	;; [unrolled: 1-line block ×3, first 2 shown]
	ds_read_b32 v3, v34 offset:748
	v_fma_f32 v2, -v9, v22, v2
	s_waitcnt lgkmcnt(0)
	v_mul_f32_e32 v10, v2, v3
	global_store_dwordx4 v[0:1], v[7:10], off offset:32
.LBB19_43:
	s_cmp_ge_i32 s2, s17
	s_cbranch_scc1 .LBB19_48
; %bb.44:
	s_lshl_b32 s0, s2, 2
	s_mov_b32 s3, 0
	s_branch .LBB19_46
.LBB19_45:                              ;   in Loop: Header=BB19_46 Depth=1
	s_mul_i32 s1, s2, 0x44
	v_mov_b32_e32 v2, s1
	ds_read_b32 v2, v2
	s_add_i32 s2, s2, 1
	s_add_i32 s0, s0, 4
	s_cmp_ge_i32 s2, s17
	s_waitcnt lgkmcnt(0)
	v_mul_f32_e32 v2, v4, v2
	global_store_dword v[0:1], v2, off
	s_cbranch_scc1 .LBB19_48
.LBB19_46:                              ; =>This Loop Header: Depth=1
                                        ;     Child Loop BB19_47 Depth 2
	s_lshl_b64 s[4:5], s[2:3], 2
	v_mov_b32_e32 v1, s5
	v_add_co_u32_e32 v0, vcc, s4, v15
	v_addc_co_u32_e32 v1, vcc, v16, v1, vcc
	global_load_dword v4, v[0:1], off
	v_mov_b32_e32 v2, v15
	v_mov_b32_e32 v3, v16
	s_mov_b32 s1, s0
	s_cmp_eq_u32 s2, 0
	s_mov_b32 s4, s2
	s_waitcnt vmcnt(0)
	v_mul_f32_e32 v4, s16, v4
	s_cbranch_scc1 .LBB19_45
.LBB19_47:                              ;   Parent Loop BB19_46 Depth=1
                                        ; =>  This Inner Loop Header: Depth=2
	global_load_dword v5, v[2:3], off
	v_mov_b32_e32 v6, s1
	ds_read_b32 v6, v6
	s_add_i32 s4, s4, -1
	s_add_i32 s1, s1, 64
	v_add_co_u32_e32 v2, vcc, 4, v2
	v_addc_co_u32_e32 v3, vcc, 0, v3, vcc
	s_cmp_lg_u32 s4, 0
	s_waitcnt vmcnt(0) lgkmcnt(0)
	v_fma_f32 v4, -v5, v6, v4
	s_cbranch_scc1 .LBB19_47
	s_branch .LBB19_45
.LBB19_48:
	s_endpgm
	.section	.rodata,"a",@progbits
	.p2align	6, 0x0
	.amdhsa_kernel _ZL30rocblas_trsm_small_left_deviceILi16ELi16ELb1EffPKfPfEv13rocblas_fill_18rocblas_operation_17rocblas_diagonal_iiT3_T4_lilT5_lili
		.amdhsa_group_segment_fixed_size 1024
		.amdhsa_private_segment_fixed_size 0
		.amdhsa_kernarg_size 352
		.amdhsa_user_sgpr_count 6
		.amdhsa_user_sgpr_private_segment_buffer 1
		.amdhsa_user_sgpr_dispatch_ptr 0
		.amdhsa_user_sgpr_queue_ptr 0
		.amdhsa_user_sgpr_kernarg_segment_ptr 1
		.amdhsa_user_sgpr_dispatch_id 0
		.amdhsa_user_sgpr_flat_scratch_init 0
		.amdhsa_user_sgpr_private_segment_size 0
		.amdhsa_uses_dynamic_stack 0
		.amdhsa_system_sgpr_private_segment_wavefront_offset 0
		.amdhsa_system_sgpr_workgroup_id_x 1
		.amdhsa_system_sgpr_workgroup_id_y 0
		.amdhsa_system_sgpr_workgroup_id_z 1
		.amdhsa_system_sgpr_workgroup_info 0
		.amdhsa_system_vgpr_workitem_id 0
		.amdhsa_next_free_vgpr 35
		.amdhsa_next_free_sgpr 24
		.amdhsa_reserve_vcc 1
		.amdhsa_reserve_flat_scratch 0
		.amdhsa_float_round_mode_32 0
		.amdhsa_float_round_mode_16_64 0
		.amdhsa_float_denorm_mode_32 3
		.amdhsa_float_denorm_mode_16_64 3
		.amdhsa_dx10_clamp 1
		.amdhsa_ieee_mode 1
		.amdhsa_fp16_overflow 0
		.amdhsa_exception_fp_ieee_invalid_op 0
		.amdhsa_exception_fp_denorm_src 0
		.amdhsa_exception_fp_ieee_div_zero 0
		.amdhsa_exception_fp_ieee_overflow 0
		.amdhsa_exception_fp_ieee_underflow 0
		.amdhsa_exception_fp_ieee_inexact 0
		.amdhsa_exception_int_div_zero 0
	.end_amdhsa_kernel
	.section	.text._ZL30rocblas_trsm_small_left_deviceILi16ELi16ELb1EffPKfPfEv13rocblas_fill_18rocblas_operation_17rocblas_diagonal_iiT3_T4_lilT5_lili,"axG",@progbits,_ZL30rocblas_trsm_small_left_deviceILi16ELi16ELb1EffPKfPfEv13rocblas_fill_18rocblas_operation_17rocblas_diagonal_iiT3_T4_lilT5_lili,comdat
.Lfunc_end19:
	.size	_ZL30rocblas_trsm_small_left_deviceILi16ELi16ELb1EffPKfPfEv13rocblas_fill_18rocblas_operation_17rocblas_diagonal_iiT3_T4_lilT5_lili, .Lfunc_end19-_ZL30rocblas_trsm_small_left_deviceILi16ELi16ELb1EffPKfPfEv13rocblas_fill_18rocblas_operation_17rocblas_diagonal_iiT3_T4_lilT5_lili
                                        ; -- End function
	.set _ZL30rocblas_trsm_small_left_deviceILi16ELi16ELb1EffPKfPfEv13rocblas_fill_18rocblas_operation_17rocblas_diagonal_iiT3_T4_lilT5_lili.num_vgpr, 35
	.set _ZL30rocblas_trsm_small_left_deviceILi16ELi16ELb1EffPKfPfEv13rocblas_fill_18rocblas_operation_17rocblas_diagonal_iiT3_T4_lilT5_lili.num_agpr, 0
	.set _ZL30rocblas_trsm_small_left_deviceILi16ELi16ELb1EffPKfPfEv13rocblas_fill_18rocblas_operation_17rocblas_diagonal_iiT3_T4_lilT5_lili.numbered_sgpr, 24
	.set _ZL30rocblas_trsm_small_left_deviceILi16ELi16ELb1EffPKfPfEv13rocblas_fill_18rocblas_operation_17rocblas_diagonal_iiT3_T4_lilT5_lili.num_named_barrier, 0
	.set _ZL30rocblas_trsm_small_left_deviceILi16ELi16ELb1EffPKfPfEv13rocblas_fill_18rocblas_operation_17rocblas_diagonal_iiT3_T4_lilT5_lili.private_seg_size, 0
	.set _ZL30rocblas_trsm_small_left_deviceILi16ELi16ELb1EffPKfPfEv13rocblas_fill_18rocblas_operation_17rocblas_diagonal_iiT3_T4_lilT5_lili.uses_vcc, 1
	.set _ZL30rocblas_trsm_small_left_deviceILi16ELi16ELb1EffPKfPfEv13rocblas_fill_18rocblas_operation_17rocblas_diagonal_iiT3_T4_lilT5_lili.uses_flat_scratch, 0
	.set _ZL30rocblas_trsm_small_left_deviceILi16ELi16ELb1EffPKfPfEv13rocblas_fill_18rocblas_operation_17rocblas_diagonal_iiT3_T4_lilT5_lili.has_dyn_sized_stack, 0
	.set _ZL30rocblas_trsm_small_left_deviceILi16ELi16ELb1EffPKfPfEv13rocblas_fill_18rocblas_operation_17rocblas_diagonal_iiT3_T4_lilT5_lili.has_recursion, 0
	.set _ZL30rocblas_trsm_small_left_deviceILi16ELi16ELb1EffPKfPfEv13rocblas_fill_18rocblas_operation_17rocblas_diagonal_iiT3_T4_lilT5_lili.has_indirect_call, 0
	.section	.AMDGPU.csdata,"",@progbits
; Kernel info:
; codeLenInByte = 8720
; TotalNumSgprs: 28
; NumVgprs: 35
; ScratchSize: 0
; MemoryBound: 0
; FloatMode: 240
; IeeeMode: 1
; LDSByteSize: 1024 bytes/workgroup (compile time only)
; SGPRBlocks: 3
; VGPRBlocks: 8
; NumSGPRsForWavesPerEU: 28
; NumVGPRsForWavesPerEU: 35
; Occupancy: 7
; WaveLimiterHint : 0
; COMPUTE_PGM_RSRC2:SCRATCH_EN: 0
; COMPUTE_PGM_RSRC2:USER_SGPR: 6
; COMPUTE_PGM_RSRC2:TRAP_HANDLER: 0
; COMPUTE_PGM_RSRC2:TGID_X_EN: 1
; COMPUTE_PGM_RSRC2:TGID_Y_EN: 0
; COMPUTE_PGM_RSRC2:TGID_Z_EN: 1
; COMPUTE_PGM_RSRC2:TIDIG_COMP_CNT: 0
	.section	.text._ZL31rocblas_trsm_small_right_deviceIffPKfPfLi16EEv13rocblas_fill_18rocblas_operation_17rocblas_diagonal_iiT0_T1_lilT2_lili,"axG",@progbits,_ZL31rocblas_trsm_small_right_deviceIffPKfPfLi16EEv13rocblas_fill_18rocblas_operation_17rocblas_diagonal_iiT0_T1_lilT2_lili,comdat
	.globl	_ZL31rocblas_trsm_small_right_deviceIffPKfPfLi16EEv13rocblas_fill_18rocblas_operation_17rocblas_diagonal_iiT0_T1_lilT2_lili ; -- Begin function _ZL31rocblas_trsm_small_right_deviceIffPKfPfLi16EEv13rocblas_fill_18rocblas_operation_17rocblas_diagonal_iiT0_T1_lilT2_lili
	.p2align	8
	.type	_ZL31rocblas_trsm_small_right_deviceIffPKfPfLi16EEv13rocblas_fill_18rocblas_operation_17rocblas_diagonal_iiT0_T1_lilT2_lili,@function
_ZL31rocblas_trsm_small_right_deviceIffPKfPfLi16EEv13rocblas_fill_18rocblas_operation_17rocblas_diagonal_iiT0_T1_lilT2_lili: ; @_ZL31rocblas_trsm_small_right_deviceIffPKfPfLi16EEv13rocblas_fill_18rocblas_operation_17rocblas_diagonal_iiT0_T1_lilT2_lili
; %bb.0:
	s_load_dwordx4 s[8:11], s[4:5], 0x0
	s_load_dwordx2 s[12:13], s[4:5], 0x10
	s_load_dwordx4 s[0:3], s[4:5], 0x30
	s_load_dwordx2 s[14:15], s[4:5], 0x40
	s_waitcnt lgkmcnt(0)
	s_min_i32 s18, s12, 16
	v_cmp_gt_i32_e32 vcc, s18, v0
	s_and_saveexec_b64 s[16:17], vcc
	s_cbranch_execz .LBB20_5
; %bb.1:
	s_load_dword s24, s[4:5], 0x28
	s_load_dwordx4 s[20:23], s[4:5], 0x18
	s_mul_i32 s1, s1, s7
	s_mul_hi_u32 s19, s0, s7
	s_add_i32 s1, s19, s1
	s_mul_i32 s0, s0, s7
	s_waitcnt lgkmcnt(0)
	s_ashr_i32 s25, s24, 31
	s_lshl_b64 s[0:1], s[0:1], 2
	s_add_u32 s19, s20, s0
	s_addc_u32 s20, s21, s1
	s_lshl_b64 s[0:1], s[22:23], 2
	s_add_u32 s0, s19, s0
	s_addc_u32 s1, s20, s1
	v_lshlrev_b32_e32 v3, 2, v0
	v_mov_b32_e32 v2, s1
	v_add_co_u32_e32 v1, vcc, s0, v3
	s_lshl_b64 s[0:1], s[24:25], 2
	v_addc_co_u32_e32 v2, vcc, 0, v2, vcc
	v_mov_b32_e32 v4, s1
	v_mov_b32_e32 v5, v3
	s_mov_b32 s1, s18
.LBB20_2:                               ; =>This Inner Loop Header: Depth=1
	global_load_dword v6, v[1:2], off
	v_add_co_u32_e32 v1, vcc, s0, v1
	s_add_i32 s1, s1, -1
	v_addc_co_u32_e32 v2, vcc, v2, v4, vcc
	s_cmp_eq_u32 s1, 0
	s_waitcnt vmcnt(0)
	ds_write_b32 v5, v6
	v_add_u32_e32 v5, 64, v5
	s_cbranch_scc0 .LBB20_2
; %bb.3:
	s_cmpk_eq_i32 s10, 0x84
	s_cbranch_scc0 .LBB20_5
; %bb.4:
	v_lshl_or_b32 v1, v0, 6, v3
	v_mov_b32_e32 v2, 1.0
	ds_write_b32 v1, v2
.LBB20_5:
	s_or_b64 exec, exec, s[16:17]
	s_load_dword s0, s[4:5], 0x60
	s_load_dwordx2 s[16:17], s[4:5], 0x50
	s_load_dword s10, s[4:5], 0x48
	s_waitcnt lgkmcnt(0)
	s_mul_i32 s1, s17, s7
	s_mul_hi_u32 s5, s16, s7
	s_mul_i32 s4, s16, s7
	s_add_i32 s5, s5, s1
	s_lshl_b64 s[4:5], s[4:5], 2
	s_add_u32 s1, s2, s4
	s_addc_u32 s4, s3, s5
	s_lshl_b64 s[2:3], s[14:15], 2
	s_add_u32 s2, s1, s2
	s_addc_u32 s3, s4, s3
	s_lshl_b32 s1, s6, 4
	s_add_i32 s0, s0, -1
	s_sub_i32 s1, s11, s1
	s_cmp_ge_u32 s6, s0
	s_cselect_b32 s4, s1, 16
	s_ashr_i32 s7, s6, 31
	s_lshl_b64 s[0:1], s[6:7], 6
	s_add_u32 s14, s2, s0
	s_addc_u32 s15, s3, s1
	v_cmp_gt_i32_e64 s[0:1], s4, v0
	s_and_saveexec_b64 s[2:3], s[0:1]
	s_cbranch_execz .LBB20_9
; %bb.6:
	s_cmp_lt_i32 s12, 1
	s_cbranch_scc1 .LBB20_9
; %bb.7:
	s_ashr_i32 s11, s10, 31
	v_lshlrev_b32_e32 v3, 2, v0
	v_mov_b32_e32 v2, s15
	v_add_co_u32_e32 v1, vcc, s14, v3
	s_lshl_b64 s[4:5], s[10:11], 2
	v_addc_co_u32_e32 v2, vcc, 0, v2, vcc
	v_or_b32_e32 v3, 0x400, v3
	v_mov_b32_e32 v4, s5
	s_mov_b32 s5, s12
.LBB20_8:                               ; =>This Inner Loop Header: Depth=1
	global_load_dword v5, v[1:2], off
	s_add_i32 s5, s5, -1
	v_add_co_u32_e32 v1, vcc, s4, v1
	v_addc_co_u32_e32 v2, vcc, v2, v4, vcc
	s_cmp_lg_u32 s5, 0
	s_waitcnt vmcnt(0)
	v_mul_f32_e32 v5, s13, v5
	ds_write_b32 v3, v5
	v_add_u32_e32 v3, 64, v3
	s_cbranch_scc1 .LBB20_8
.LBB20_9:
	s_or_b64 exec, exec, s[2:3]
	s_cmpk_eq_i32 s9, 0x6f
	s_cselect_b64 s[2:3], -1, 0
	s_cmpk_lg_i32 s8, 0x79
	s_cselect_b64 s[4:5], -1, 0
	s_cmpk_eq_i32 s8, 0x79
	s_cselect_b64 s[6:7], -1, 0
	s_and_b64 s[6:7], s[6:7], s[2:3]
	s_andn2_b64 vcc, exec, s[6:7]
	s_mov_b64 s[6:7], -1
	s_waitcnt lgkmcnt(0)
	; wave barrier
	s_cbranch_vccz .LBB20_66
; %bb.10:
	s_cmpk_lg_i32 s8, 0x7a
	s_cselect_b64 s[16:17], -1, 0
	s_xor_b64 s[2:3], s[2:3], -1
	s_add_i32 s8, s18, -1
	s_or_b64 s[16:17], s[16:17], s[2:3]
	v_mov_b32_e32 v1, 0x400
	s_cmp_gt_i32 s12, 3
	v_lshl_or_b32 v3, v0, 2, v1
	s_cselect_b64 s[2:3], -1, 0
	s_and_b64 vcc, exec, s[16:17]
	s_cbranch_vccz .LBB20_45
; %bb.11:
	s_andn2_b64 vcc, exec, s[4:5]
	s_mov_b64 s[4:5], -1
	s_cbranch_vccnz .LBB20_24
; %bb.12:
	s_andn2_b64 vcc, exec, s[2:3]
	s_mov_b32 s6, 0
	s_cbranch_vccnz .LBB20_18
; %bb.13:
	v_mov_b32_e32 v1, 0x400
	v_lshl_or_b32 v4, v0, 2, v1
	s_mov_b32 s4, 0
	s_mov_b32 s5, 0
.LBB20_14:                              ; =>This Loop Header: Depth=1
                                        ;     Child Loop BB20_15 Depth 2
	s_lshl_b32 s7, s5, 6
	s_or_b32 s6, s5, 1
	v_add_u32_e32 v5, s7, v3
	v_lshl_add_u32 v7, s6, 6, v3
	s_or_b32 s9, s7, 0xc0
	ds_read2_b32 v[1:2], v5 offset1:32
	v_add_u32_e32 v6, s9, v3
	ds_read_b32 v10, v7
	ds_read_b32 v8, v6
	s_cmp_eq_u32 s5, 0
	v_mov_b32_e32 v9, v4
	s_mov_b32 s9, s4
	s_mov_b32 s11, s5
	s_cbranch_scc1 .LBB20_16
.LBB20_15:                              ;   Parent Loop BB20_14 Depth=1
                                        ; =>  This Inner Loop Header: Depth=2
	v_mov_b32_e32 v11, s9
	ds_read_b32 v15, v9
	ds_read_b128 v[11:14], v11
	s_add_i32 s11, s11, -1
	s_add_i32 s9, s9, 64
	v_add_u32_e32 v9, 64, v9
	s_cmp_eq_u32 s11, 0
	s_waitcnt lgkmcnt(0)
	v_fma_f32 v1, -v15, v11, v1
	v_fma_f32 v10, -v15, v12, v10
	;; [unrolled: 1-line block ×4, first 2 shown]
	s_cbranch_scc0 .LBB20_15
.LBB20_16:                              ;   in Loop: Header=BB20_14 Depth=1
	s_lshl_b32 s9, s5, 2
	s_add_i32 s7, s9, s7
	v_mov_b32_e32 v17, s7
	ds_read_b128 v[11:14], v17
	ds_read2_b32 v[15:16], v17 offset0:17 offset1:18
	s_lshl_b32 s6, s6, 2
	s_addk_i32 s7, 0x44
	s_sub_i32 s6, s7, s6
	s_waitcnt lgkmcnt(1)
	v_div_scale_f32 v18, s[16:17], v11, v11, v1
	v_div_scale_f32 v19, vcc, v1, v11, v1
	s_add_i32 s6, s6, s9
	s_add_i32 s4, s4, 16
	v_add_u32_e32 v9, 0x80, v5
	v_rcp_f32_e32 v20, v18
	v_fma_f32 v21, -v18, v20, 1.0
	v_fmac_f32_e32 v20, v21, v20
	v_mul_f32_e32 v21, v19, v20
	v_fma_f32 v22, -v18, v21, v19
	v_fmac_f32_e32 v21, v22, v20
	v_fma_f32 v18, -v18, v21, v19
	v_div_fmas_f32 v18, v18, v20, v21
	v_div_fixup_f32 v1, v18, v11, v1
	v_fma_f32 v12, -v1, v12, v10
	s_waitcnt lgkmcnt(0)
	v_div_scale_f32 v10, s[16:17], v15, v15, v12
	v_div_scale_f32 v11, vcc, v12, v15, v12
	v_fma_f32 v2, -v1, v13, v2
	v_fma_f32 v8, -v1, v14, v8
	v_rcp_f32_e32 v18, v10
	v_fma_f32 v19, -v10, v18, 1.0
	v_fmac_f32_e32 v18, v19, v18
	v_mul_f32_e32 v19, v11, v18
	v_fma_f32 v20, -v10, v19, v11
	v_fmac_f32_e32 v19, v20, v18
	v_fma_f32 v10, -v10, v19, v11
	v_div_fmas_f32 v18, v10, v18, v19
	ds_read_b64 v[10:11], v17 offset:136
	ds_read_b32 v17, v17 offset:204
	v_div_fixup_f32 v12, v18, v15, v12
	v_fma_f32 v2, -v12, v16, v2
	s_waitcnt lgkmcnt(1)
	v_div_scale_f32 v13, s[16:17], v10, v10, v2
	v_div_scale_f32 v15, vcc, v2, v10, v2
	v_rcp_f32_e32 v16, v13
	v_fma_f32 v18, -v13, v16, 1.0
	v_fmac_f32_e32 v16, v18, v16
	v_mul_f32_e32 v18, v15, v16
	v_fma_f32 v19, -v13, v18, v15
	v_fmac_f32_e32 v18, v19, v16
	v_fma_f32 v13, -v13, v18, v15
	v_div_fmas_f32 v13, v13, v16, v18
	v_mov_b32_e32 v15, s6
	ds_read_b32 v15, v15 offset:12
	s_waitcnt lgkmcnt(0)
	v_fma_f32 v8, -v12, v15, v8
	v_div_fixup_f32 v2, v13, v10, v2
	v_fma_f32 v8, -v2, v11, v8
	v_div_scale_f32 v10, s[6:7], v17, v17, v8
	v_div_scale_f32 v11, vcc, v8, v17, v8
	s_add_i32 s6, s5, 4
	s_add_i32 s5, s5, 7
	ds_write_b32 v5, v1
	ds_write_b32 v7, v12
	;; [unrolled: 1-line block ×3, first 2 shown]
	s_cmp_ge_i32 s5, s18
	v_rcp_f32_e32 v13, v10
	v_fma_f32 v14, -v10, v13, 1.0
	v_fmac_f32_e32 v13, v14, v13
	v_mul_f32_e32 v14, v11, v13
	v_fma_f32 v15, -v10, v14, v11
	v_fmac_f32_e32 v14, v15, v13
	v_fma_f32 v10, -v10, v14, v11
	v_div_fmas_f32 v10, v10, v13, v14
	v_div_fixup_f32 v1, v10, v17, v8
	ds_write_b32 v6, v1
	s_cbranch_scc1 .LBB20_18
; %bb.17:                               ;   in Loop: Header=BB20_14 Depth=1
	s_mov_b32 s5, s6
	s_branch .LBB20_14
.LBB20_18:
	s_cmp_ge_i32 s6, s18
	s_cbranch_scc1 .LBB20_23
; %bb.19:
	v_mov_b32_e32 v1, 0x400
	s_lshl_b32 s4, s6, 2
	v_lshl_or_b32 v1, v0, 2, v1
	s_branch .LBB20_21
.LBB20_20:                              ;   in Loop: Header=BB20_21 Depth=1
	s_lshl_b32 s7, s6, 2
	s_add_i32 s5, s7, s5
	v_mov_b32_e32 v5, s5
	ds_read_b32 v5, v5
	s_add_i32 s6, s6, 1
	s_add_i32 s4, s4, 4
	s_cmp_ge_i32 s6, s18
	s_waitcnt lgkmcnt(0)
	v_div_scale_f32 v6, s[16:17], v5, v5, v4
	v_div_scale_f32 v7, vcc, v4, v5, v4
	v_rcp_f32_e32 v8, v6
	v_fma_f32 v9, -v6, v8, 1.0
	v_fmac_f32_e32 v8, v9, v8
	v_mul_f32_e32 v9, v7, v8
	v_fma_f32 v10, -v6, v9, v7
	v_fmac_f32_e32 v9, v10, v8
	v_fma_f32 v6, -v6, v9, v7
	v_div_fmas_f32 v6, v6, v8, v9
	v_div_fixup_f32 v4, v6, v5, v4
	ds_write_b32 v2, v4
	s_cbranch_scc1 .LBB20_23
.LBB20_21:                              ; =>This Loop Header: Depth=1
                                        ;     Child Loop BB20_22 Depth 2
	s_lshl_b32 s5, s6, 6
	v_add_u32_e32 v2, s5, v3
	ds_read_b32 v4, v2
	s_cmp_eq_u32 s6, 0
	v_mov_b32_e32 v5, v1
	s_mov_b32 s7, s4
	s_mov_b32 s9, s6
	s_cbranch_scc1 .LBB20_20
.LBB20_22:                              ;   Parent Loop BB20_21 Depth=1
                                        ; =>  This Inner Loop Header: Depth=2
	v_mov_b32_e32 v7, s7
	ds_read_b32 v6, v5
	ds_read_b32 v7, v7
	s_add_i32 s9, s9, -1
	s_add_i32 s7, s7, 64
	v_add_u32_e32 v5, 64, v5
	s_cmp_eq_u32 s9, 0
	s_waitcnt lgkmcnt(0)
	v_fma_f32 v4, -v6, v7, v4
	s_cbranch_scc0 .LBB20_22
	s_branch .LBB20_20
.LBB20_23:
	s_mov_b64 s[4:5], 0
.LBB20_24:
	s_and_b64 vcc, exec, s[4:5]
	s_cbranch_vccz .LBB20_44
; %bb.25:
	s_andn2_b64 vcc, exec, s[2:3]
	s_mov_b32 s6, s8
	s_cbranch_vccnz .LBB20_31
; %bb.26:
	v_lshlrev_b32_e32 v1, 2, v0
	s_mul_i32 s4, s18, 0x44
	v_lshl_or_b32 v1, s18, 6, v1
	s_addk_i32 s4, 0xffb0
	v_add_u32_e32 v1, 0x3c0, v1
	s_mov_b32 s5, s8
.LBB20_27:                              ; =>This Loop Header: Depth=1
                                        ;     Child Loop BB20_28 Depth 2
	s_add_i32 s11, s5, -3
	v_lshl_add_u32 v2, s5, 6, v3
	s_add_i32 s9, s5, -1
	s_add_i32 s6, s5, -2
	s_lshl_b32 s7, s11, 6
	v_lshl_add_u32 v4, s9, 6, v3
	v_lshl_add_u32 v5, s6, 6, v3
	v_add_u32_e32 v6, s7, v3
	ds_read_b32 v10, v2
	ds_read_b32 v9, v4
	;; [unrolled: 1-line block ×4, first 2 shown]
	s_cmp_le_i32 s8, s5
	v_mov_b32_e32 v11, v1
	s_mov_b32 s13, s4
	s_mov_b32 s16, s8
	s_cbranch_scc1 .LBB20_29
.LBB20_28:                              ;   Parent Loop BB20_27 Depth=1
                                        ; =>  This Inner Loop Header: Depth=2
	v_mov_b32_e32 v14, s13
	ds_read_b32 v16, v11
	ds_read2_b32 v[12:13], v14 offset0:2 offset1:3
	ds_read2_b32 v[14:15], v14 offset1:1
	s_add_i32 s16, s16, -1
	s_sub_i32 s13, s13, 64
	v_subrev_u32_e32 v11, 64, v11
	s_cmp_le_i32 s16, s5
	s_waitcnt lgkmcnt(1)
	v_fma_f32 v10, -v16, v13, v10
	v_fma_f32 v9, -v16, v12, v9
	s_waitcnt lgkmcnt(0)
	v_fma_f32 v8, -v16, v15, v8
	v_fma_f32 v7, -v16, v14, v7
	s_cbranch_scc0 .LBB20_28
.LBB20_29:                              ;   in Loop: Header=BB20_27 Depth=1
	s_lshl_b32 s13, s5, 2
	s_lshl_b32 s16, s9, 6
	s_add_i32 s16, s13, s16
	s_lshl_b32 s17, s5, 6
	s_add_i32 s16, s16, -4
	s_lshl_b32 s9, s9, 2
	s_add_i32 s17, s13, s17
	s_sub_i32 s9, s16, s9
	s_lshl_b32 s11, s11, 2
	s_add_i32 s19, s17, -4
	s_add_i32 s17, s17, -12
	s_add_i32 s9, s9, s11
	v_mov_b32_e32 v11, s19
	v_mov_b32_e32 v13, s16
	;; [unrolled: 1-line block ×4, first 2 shown]
	ds_read2_b32 v[11:12], v11 offset1:1
	ds_read_b32 v17, v13
	ds_read2_b32 v[13:14], v14 offset1:1
	ds_read2_b32 v[15:16], v15 offset1:1
	s_lshl_b32 s9, s6, 6
	s_waitcnt lgkmcnt(3)
	v_div_scale_f32 v18, s[16:17], v12, v12, v10
	v_div_scale_f32 v19, vcc, v10, v12, v10
	s_lshl_b32 s6, s6, 2
	s_add_i32 s9, s13, s9
	s_sub_i32 s6, s9, s6
	s_add_i32 s7, s13, s7
	s_add_i32 s6, s6, s11
	s_add_i32 s7, s7, -12
	s_add_i32 s6, s6, -8
	;; [unrolled: 1-line block ×3, first 2 shown]
	v_rcp_f32_e32 v20, v18
	v_fma_f32 v21, -v18, v20, 1.0
	v_fmac_f32_e32 v20, v21, v20
	v_mul_f32_e32 v21, v19, v20
	v_fma_f32 v22, -v18, v21, v19
	v_fmac_f32_e32 v21, v22, v20
	v_fma_f32 v18, -v18, v21, v19
	v_div_fmas_f32 v18, v18, v20, v21
	v_div_fixup_f32 v12, v18, v12, v10
	v_fma_f32 v11, -v12, v11, v9
	s_waitcnt lgkmcnt(2)
	v_div_scale_f32 v9, s[16:17], v17, v17, v11
	v_div_scale_f32 v10, vcc, v11, v17, v11
	s_waitcnt lgkmcnt(1)
	v_fma_f32 v8, -v12, v14, v8
	v_fma_f32 v7, -v12, v13, v7
	v_rcp_f32_e32 v18, v9
	v_fma_f32 v19, -v9, v18, 1.0
	v_fmac_f32_e32 v18, v19, v18
	v_mul_f32_e32 v19, v10, v18
	v_fma_f32 v20, -v9, v19, v10
	v_fmac_f32_e32 v19, v20, v18
	v_fma_f32 v9, -v9, v19, v10
	v_div_fmas_f32 v18, v9, v18, v19
	v_mov_b32_e32 v19, s7
	v_mov_b32_e32 v9, s6
	ds_read2_b32 v[9:10], v9 offset1:1
	ds_read_b32 v19, v19
	v_div_fixup_f32 v11, v18, v17, v11
	s_waitcnt lgkmcnt(2)
	v_fma_f32 v8, -v11, v16, v8
	s_waitcnt lgkmcnt(1)
	v_div_scale_f32 v14, s[6:7], v10, v10, v8
	v_div_scale_f32 v16, vcc, v8, v10, v8
	v_fma_f32 v7, -v11, v15, v7
	v_rcp_f32_e32 v17, v14
	v_fma_f32 v18, -v14, v17, 1.0
	v_fmac_f32_e32 v17, v18, v17
	v_mul_f32_e32 v18, v16, v17
	v_fma_f32 v20, -v14, v18, v16
	v_fmac_f32_e32 v18, v20, v17
	v_fma_f32 v14, -v14, v18, v16
	v_div_fmas_f32 v14, v14, v17, v18
	v_div_fixup_f32 v8, v14, v10, v8
	v_fma_f32 v7, -v8, v9, v7
	s_waitcnt lgkmcnt(0)
	v_div_scale_f32 v9, s[6:7], v19, v19, v7
	v_div_scale_f32 v10, vcc, v7, v19, v7
	s_add_i32 s6, s5, -4
	ds_write_b32 v2, v12
	ds_write_b32 v4, v11
	;; [unrolled: 1-line block ×3, first 2 shown]
	s_cmp_lt_i32 s5, 7
	v_rcp_f32_e32 v13, v9
	v_fma_f32 v14, -v9, v13, 1.0
	v_fmac_f32_e32 v13, v14, v13
	v_mul_f32_e32 v14, v10, v13
	v_fma_f32 v15, -v9, v14, v10
	v_fmac_f32_e32 v14, v15, v13
	v_fma_f32 v9, -v9, v14, v10
	v_div_fmas_f32 v9, v9, v13, v14
	v_div_fixup_f32 v2, v9, v19, v7
	ds_write_b32 v6, v2
	s_cbranch_scc1 .LBB20_31
; %bb.30:                               ;   in Loop: Header=BB20_27 Depth=1
	s_mov_b32 s5, s6
	s_branch .LBB20_27
.LBB20_31:
	s_cmp_lt_i32 s6, 0
	s_cbranch_scc1 .LBB20_44
; %bb.32:
	s_bitcmp1_b32 s6, 0
	s_cselect_b64 s[4:5], -1, 0
	s_and_b64 vcc, exec, s[4:5]
	s_mov_b32 s4, s6
	s_cbranch_vccnz .LBB20_37
; %bb.33:
	s_lshl_b32 s4, s6, 6
	v_add_u32_e32 v1, s4, v3
	ds_read_b32 v2, v1
	s_cmp_le_i32 s8, s6
	s_cbranch_scc1 .LBB20_36
; %bb.34:
	s_lshl_b32 s7, s18, 6
	s_lshl_b32 s5, s6, 2
	s_add_i32 s5, s7, s5
	v_lshl_or_b32 v4, v0, 2, s7
	s_sub_i32 s5, s5, 64
	v_add_u32_e32 v4, 0x3c0, v4
	s_mov_b32 s7, s8
.LBB20_35:                              ; =>This Inner Loop Header: Depth=1
	v_mov_b32_e32 v6, s5
	ds_read_b32 v5, v4
	ds_read_b32 v6, v6
	s_add_i32 s7, s7, -1
	s_sub_i32 s5, s5, 64
	v_subrev_u32_e32 v4, 64, v4
	s_cmp_gt_u32 s7, s6
	s_waitcnt lgkmcnt(0)
	v_fma_f32 v2, -v5, v6, v2
	s_cbranch_scc1 .LBB20_35
.LBB20_36:
	s_lshl_b32 s5, s6, 2
	s_add_i32 s4, s5, s4
	v_mov_b32_e32 v4, s4
	ds_read_b32 v4, v4
	s_waitcnt lgkmcnt(0)
	v_div_scale_f32 v5, s[4:5], v4, v4, v2
	v_div_scale_f32 v6, vcc, v2, v4, v2
	s_add_i32 s4, s6, -1
	v_rcp_f32_e32 v7, v5
	v_fma_f32 v8, -v5, v7, 1.0
	v_fmac_f32_e32 v7, v8, v7
	v_mul_f32_e32 v8, v6, v7
	v_fma_f32 v9, -v5, v8, v6
	v_fmac_f32_e32 v8, v9, v7
	v_fma_f32 v5, -v5, v8, v6
	v_div_fmas_f32 v5, v5, v7, v8
	v_div_fixup_f32 v2, v5, v4, v2
	ds_write_b32 v1, v2
.LBB20_37:
	s_cmp_eq_u32 s6, 0
	s_cbranch_scc1 .LBB20_44
; %bb.38:
	s_lshl_b32 s6, s18, 6
	s_lshl_b32 s5, s4, 2
	s_add_i32 s7, s6, s5
	v_lshl_or_b32 v1, v0, 2, s6
	s_sub_i32 s5, s7, 64
	v_add_u32_e32 v1, 0x3c0, v1
	s_add_i32 s6, s7, 0xffffffbc
	s_branch .LBB20_40
.LBB20_39:                              ;   in Loop: Header=BB20_40 Depth=1
	s_add_i32 s9, s9, s11
	s_add_i32 s9, s9, -4
	v_mov_b32_e32 v4, s9
	ds_read_b32 v4, v4
	s_add_i32 s4, s4, -2
	s_add_i32 s5, s5, -8
	;; [unrolled: 1-line block ×3, first 2 shown]
	s_cmp_eq_u32 s7, 0
	s_waitcnt lgkmcnt(0)
	v_div_scale_f32 v6, s[16:17], v4, v4, v5
	v_div_scale_f32 v7, vcc, v5, v4, v5
	v_rcp_f32_e32 v8, v6
	v_fma_f32 v9, -v6, v8, 1.0
	v_fmac_f32_e32 v8, v9, v8
	v_mul_f32_e32 v9, v7, v8
	v_fma_f32 v10, -v6, v9, v7
	v_fmac_f32_e32 v9, v10, v8
	v_fma_f32 v6, -v6, v9, v7
	v_div_fmas_f32 v6, v6, v8, v9
	v_div_fixup_f32 v4, v6, v4, v5
	ds_write_b32 v2, v4
	s_cbranch_scc1 .LBB20_44
.LBB20_40:                              ; =>This Loop Header: Depth=1
                                        ;     Child Loop BB20_41 Depth 2
                                        ;     Child Loop BB20_43 Depth 2
	s_lshl_b32 s7, s4, 6
	v_add_u32_e32 v4, s7, v3
	ds_read_b32 v6, v4
	s_cmp_le_i32 s8, s4
	v_mov_b32_e32 v2, v1
	s_mov_b32 s9, s5
	s_mov_b32 s11, s8
	s_cbranch_scc1 .LBB20_42
.LBB20_41:                              ;   Parent Loop BB20_40 Depth=1
                                        ; =>  This Inner Loop Header: Depth=2
	v_mov_b32_e32 v7, s9
	ds_read_b32 v5, v2
	ds_read_b32 v7, v7
	s_add_i32 s11, s11, -1
	s_sub_i32 s9, s9, 64
	v_subrev_u32_e32 v2, 64, v2
	s_cmp_le_u32 s11, s4
	s_waitcnt lgkmcnt(0)
	v_fma_f32 v6, -v5, v7, v6
	s_cbranch_scc0 .LBB20_41
.LBB20_42:                              ;   in Loop: Header=BB20_40 Depth=1
	s_lshl_b32 s9, s4, 2
	s_add_i32 s7, s9, s7
	v_mov_b32_e32 v2, s7
	ds_read_b32 v8, v2
	s_add_i32 s7, s4, -1
	s_lshl_b32 s11, s7, 6
	v_add_u32_e32 v2, s11, v3
	ds_read_b32 v5, v2
	s_waitcnt lgkmcnt(1)
	v_div_scale_f32 v7, s[16:17], v8, v8, v6
	v_div_scale_f32 v9, vcc, v6, v8, v6
	s_mov_b32 s13, s6
	s_cmp_le_i32 s18, s4
	s_mov_b32 s16, s8
	v_rcp_f32_e32 v10, v7
	v_fma_f32 v11, -v7, v10, 1.0
	v_fmac_f32_e32 v10, v11, v10
	v_mul_f32_e32 v11, v9, v10
	v_fma_f32 v12, -v7, v11, v9
	v_fmac_f32_e32 v11, v12, v10
	v_fma_f32 v7, -v7, v11, v9
	v_div_fmas_f32 v9, v7, v10, v11
	v_mov_b32_e32 v7, v1
	v_div_fixup_f32 v6, v9, v8, v6
	ds_write_b32 v4, v6
	s_cbranch_scc1 .LBB20_39
.LBB20_43:                              ;   Parent Loop BB20_40 Depth=1
                                        ; =>  This Inner Loop Header: Depth=2
	v_mov_b32_e32 v6, s13
	ds_read_b32 v4, v7
	ds_read_b32 v6, v6
	s_add_i32 s16, s16, -1
	s_sub_i32 s13, s13, 64
	v_subrev_u32_e32 v7, 64, v7
	s_cmp_gt_u32 s16, s7
	s_waitcnt lgkmcnt(0)
	v_fma_f32 v5, -v4, v6, v5
	s_cbranch_scc1 .LBB20_43
	s_branch .LBB20_39
.LBB20_44:
	s_mov_b64 s[6:7], 0
.LBB20_45:
	s_andn2_b64 vcc, exec, s[6:7]
	s_cbranch_vccnz .LBB20_65
; %bb.46:
	s_andn2_b64 vcc, exec, s[2:3]
	s_mov_b32 s4, s8
	s_cbranch_vccnz .LBB20_52
; %bb.47:
	v_lshlrev_b32_e32 v1, 2, v0
	v_lshl_or_b32 v1, s18, 6, v1
	s_mul_i32 s2, s18, 0x44
	v_add_u32_e32 v1, 0x3c0, v1
	s_addk_i32 s2, 0xfefc
	s_mov_b32 s3, s8
.LBB20_48:                              ; =>This Loop Header: Depth=1
                                        ;     Child Loop BB20_49 Depth 2
	v_lshl_add_u32 v2, s3, 6, v3
	s_add_i32 s7, s3, -1
	s_add_i32 s5, s3, -2
	;; [unrolled: 1-line block ×3, first 2 shown]
	v_lshl_add_u32 v4, s7, 6, v3
	v_lshl_add_u32 v5, s5, 6, v3
	;; [unrolled: 1-line block ×3, first 2 shown]
	ds_read_b32 v10, v2
	ds_read_b32 v9, v4
	;; [unrolled: 1-line block ×4, first 2 shown]
	s_cmp_le_i32 s8, s3
	s_mov_b32 s6, s2
	v_mov_b32_e32 v11, v1
	s_mov_b32 s9, s8
	s_cbranch_scc1 .LBB20_50
.LBB20_49:                              ;   Parent Loop BB20_48 Depth=1
                                        ; =>  This Inner Loop Header: Depth=2
	v_mov_b32_e32 v14, s6
	ds_read_b32 v16, v11
	ds_read2_b32 v[12:13], v14 offset0:32 offset1:48
	ds_read2_b32 v[14:15], v14 offset1:16
	s_add_i32 s9, s9, -1
	s_add_i32 s6, s6, -4
	v_subrev_u32_e32 v11, 64, v11
	s_cmp_le_i32 s9, s3
	s_waitcnt lgkmcnt(1)
	v_fma_f32 v10, -v16, v13, v10
	v_fma_f32 v9, -v16, v12, v9
	s_waitcnt lgkmcnt(0)
	v_fma_f32 v8, -v16, v15, v8
	v_fma_f32 v7, -v16, v14, v7
	s_cbranch_scc0 .LBB20_49
.LBB20_50:                              ;   in Loop: Header=BB20_48 Depth=1
	s_lshl_b32 s11, s7, 4
	s_lshl_b32 s11, s11, 2
	;; [unrolled: 1-line block ×4, first 2 shown]
	s_add_i32 s7, s11, s7
	v_mov_b32_e32 v12, s7
	s_lshl_b32 s7, s9, 2
	s_lshl_b32 s9, s3, 2
	;; [unrolled: 1-line block ×3, first 2 shown]
	s_mul_i32 s13, s3, 0x44
	s_add_i32 s11, s7, s9
	s_add_i32 s5, s7, s5
	v_mov_b32_e32 v11, s13
	v_mov_b32_e32 v13, s11
	;; [unrolled: 1-line block ×3, first 2 shown]
	ds_read_b32 v15, v11
	ds_read2_b32 v[11:12], v12 offset1:1
	ds_read_b32 v16, v13
	ds_read2_b32 v[13:14], v14 offset1:1
	s_lshl_b32 s6, s4, 4
	s_waitcnt lgkmcnt(3)
	v_div_scale_f32 v17, s[16:17], v15, v15, v10
	v_div_scale_f32 v18, vcc, v10, v15, v10
	s_lshl_b32 s5, s6, 2
	s_add_i32 s6, s5, s9
	s_add_i32 s6, s6, -4
	s_lshl_b32 s4, s4, 2
	s_add_i32 s4, s5, s4
	s_addk_i32 s2, 0xff00
	v_rcp_f32_e32 v19, v17
	v_fma_f32 v20, -v17, v19, 1.0
	v_fmac_f32_e32 v19, v20, v19
	v_mul_f32_e32 v20, v18, v19
	v_fma_f32 v21, -v17, v20, v18
	v_fmac_f32_e32 v20, v21, v19
	v_fma_f32 v17, -v17, v20, v18
	v_div_fmas_f32 v17, v17, v19, v20
	v_div_fixup_f32 v15, v17, v15, v10
	s_waitcnt lgkmcnt(2)
	v_fma_f32 v9, -v15, v12, v9
	v_div_scale_f32 v10, s[16:17], v11, v11, v9
	v_div_scale_f32 v12, vcc, v9, v11, v9
	s_waitcnt lgkmcnt(1)
	v_fma_f32 v8, -v15, v16, v8
	v_rcp_f32_e32 v17, v10
	v_fma_f32 v18, -v10, v17, 1.0
	v_fmac_f32_e32 v17, v18, v17
	v_mul_f32_e32 v18, v12, v17
	v_fma_f32 v19, -v10, v18, v12
	v_fmac_f32_e32 v18, v19, v17
	v_fma_f32 v10, -v10, v18, v12
	v_div_fmas_f32 v10, v10, v17, v18
	v_div_fixup_f32 v12, v10, v11, v9
	s_waitcnt lgkmcnt(0)
	v_fma_f32 v14, -v12, v14, v8
	v_div_scale_f32 v8, s[16:17], v13, v13, v14
	v_div_scale_f32 v9, vcc, v14, v13, v14
	v_rcp_f32_e32 v10, v8
	v_fma_f32 v11, -v8, v10, 1.0
	v_fmac_f32_e32 v10, v11, v10
	v_mul_f32_e32 v11, v9, v10
	v_fma_f32 v16, -v8, v11, v9
	v_fmac_f32_e32 v11, v16, v10
	v_fma_f32 v8, -v8, v11, v9
	v_div_fmas_f32 v16, v8, v10, v11
	v_mov_b32_e32 v8, s6
	ds_read2_b32 v[8:9], v8 offset1:1
	v_mov_b32_e32 v10, s4
	ds_read2_b32 v[10:11], v10 offset1:1
	s_waitcnt lgkmcnt(1)
	v_fma_f32 v7, -v15, v9, v7
	v_fma_f32 v7, -v12, v8, v7
	v_div_fixup_f32 v8, v16, v13, v14
	s_waitcnt lgkmcnt(0)
	v_fma_f32 v7, -v8, v11, v7
	v_div_scale_f32 v9, s[4:5], v10, v10, v7
	v_div_scale_f32 v11, vcc, v7, v10, v7
	s_add_i32 s4, s3, -4
	ds_write_b32 v2, v15
	ds_write_b32 v4, v12
	;; [unrolled: 1-line block ×3, first 2 shown]
	s_cmp_lt_i32 s3, 7
	v_rcp_f32_e32 v13, v9
	v_fma_f32 v14, -v9, v13, 1.0
	v_fmac_f32_e32 v13, v14, v13
	v_mul_f32_e32 v14, v11, v13
	v_fma_f32 v16, -v9, v14, v11
	v_fmac_f32_e32 v14, v16, v13
	v_fma_f32 v9, -v9, v14, v11
	v_div_fmas_f32 v9, v9, v13, v14
	v_div_fixup_f32 v2, v9, v10, v7
	ds_write_b32 v6, v2
	s_cbranch_scc1 .LBB20_52
; %bb.51:                               ;   in Loop: Header=BB20_48 Depth=1
	s_mov_b32 s3, s4
	s_branch .LBB20_48
.LBB20_52:
	s_cmp_lt_i32 s4, 0
	s_cbranch_scc1 .LBB20_65
; %bb.53:
	s_bitcmp1_b32 s4, 0
	s_cselect_b64 s[2:3], -1, 0
	s_and_b64 vcc, exec, s[2:3]
	s_mov_b32 s2, s4
	s_cbranch_vccnz .LBB20_58
; %bb.54:
	v_lshl_add_u32 v1, s4, 6, v3
	ds_read_b32 v2, v1
	s_cmp_le_i32 s8, s4
	s_cbranch_scc1 .LBB20_57
; %bb.55:
	s_lshl_b32 s2, s4, 6
	s_lshl_b32 s3, s18, 2
	v_lshlrev_b32_e32 v4, 2, v0
	s_add_i32 s2, s2, s3
	v_lshl_or_b32 v4, s18, 6, v4
	s_add_i32 s2, s2, -4
	v_add_u32_e32 v4, 0x3c0, v4
	s_mov_b32 s3, s8
.LBB20_56:                              ; =>This Inner Loop Header: Depth=1
	v_mov_b32_e32 v6, s2
	ds_read_b32 v5, v4
	ds_read_b32 v6, v6
	s_add_i32 s3, s3, -1
	s_add_i32 s2, s2, -4
	v_subrev_u32_e32 v4, 64, v4
	s_cmp_gt_u32 s3, s4
	s_waitcnt lgkmcnt(0)
	v_fma_f32 v2, -v5, v6, v2
	s_cbranch_scc1 .LBB20_56
.LBB20_57:
	s_mul_i32 s2, s4, 0x44
	v_mov_b32_e32 v4, s2
	ds_read_b32 v4, v4
	s_waitcnt lgkmcnt(0)
	v_div_scale_f32 v5, s[2:3], v4, v4, v2
	v_div_scale_f32 v6, vcc, v2, v4, v2
	s_add_i32 s2, s4, -1
	v_rcp_f32_e32 v7, v5
	v_fma_f32 v8, -v5, v7, 1.0
	v_fmac_f32_e32 v7, v8, v7
	v_mul_f32_e32 v8, v6, v7
	v_fma_f32 v9, -v5, v8, v6
	v_fmac_f32_e32 v8, v9, v7
	v_fma_f32 v5, -v5, v8, v6
	v_div_fmas_f32 v5, v5, v7, v8
	v_div_fixup_f32 v2, v5, v4, v2
	ds_write_b32 v1, v2
.LBB20_58:
	s_cmp_eq_u32 s4, 0
	s_cbranch_scc1 .LBB20_65
; %bb.59:
	v_lshlrev_b32_e32 v1, 2, v0
	s_lshl_b32 s3, s2, 6
	s_lshl_b32 s4, s18, 2
	v_lshl_or_b32 v1, s18, 6, v1
	s_add_i32 s4, s3, s4
	v_add_u32_e32 v1, 0x3c0, v1
	s_add_i32 s3, s4, -4
	s_addk_i32 s4, 0xffbc
	s_branch .LBB20_61
.LBB20_60:                              ;   in Loop: Header=BB20_61 Depth=1
	s_addk_i32 s6, 0xffbc
	v_mov_b32_e32 v4, s6
	ds_read_b32 v4, v4
	s_add_i32 s2, s2, -2
	s_addk_i32 s3, 0xff80
	s_addk_i32 s4, 0xff80
	s_cmp_eq_u32 s5, 0
	s_waitcnt lgkmcnt(0)
	v_div_scale_f32 v6, s[6:7], v4, v4, v5
	v_div_scale_f32 v7, vcc, v5, v4, v5
	v_rcp_f32_e32 v8, v6
	v_fma_f32 v9, -v6, v8, 1.0
	v_fmac_f32_e32 v8, v9, v8
	v_mul_f32_e32 v9, v7, v8
	v_fma_f32 v10, -v6, v9, v7
	v_fmac_f32_e32 v9, v10, v8
	v_fma_f32 v6, -v6, v9, v7
	v_div_fmas_f32 v6, v6, v8, v9
	v_div_fixup_f32 v4, v6, v4, v5
	ds_write_b32 v2, v4
	s_cbranch_scc1 .LBB20_65
.LBB20_61:                              ; =>This Loop Header: Depth=1
                                        ;     Child Loop BB20_62 Depth 2
                                        ;     Child Loop BB20_64 Depth 2
	v_lshl_add_u32 v4, s2, 6, v3
	ds_read_b32 v6, v4
	s_cmp_le_i32 s8, s2
	s_mov_b32 s5, s3
	v_mov_b32_e32 v2, v1
	s_mov_b32 s6, s8
	s_cbranch_scc1 .LBB20_63
.LBB20_62:                              ;   Parent Loop BB20_61 Depth=1
                                        ; =>  This Inner Loop Header: Depth=2
	v_mov_b32_e32 v7, s5
	ds_read_b32 v5, v2
	ds_read_b32 v7, v7
	s_add_i32 s6, s6, -1
	s_add_i32 s5, s5, -4
	v_subrev_u32_e32 v2, 64, v2
	s_cmp_le_u32 s6, s2
	s_waitcnt lgkmcnt(0)
	v_fma_f32 v6, -v5, v7, v6
	s_cbranch_scc0 .LBB20_62
.LBB20_63:                              ;   in Loop: Header=BB20_61 Depth=1
	s_mul_i32 s6, s2, 0x44
	v_mov_b32_e32 v2, s6
	ds_read_b32 v8, v2
	s_add_i32 s5, s2, -1
	v_lshl_add_u32 v2, s5, 6, v3
	ds_read_b32 v5, v2
	s_mov_b32 s7, s4
	s_waitcnt lgkmcnt(1)
	v_div_scale_f32 v7, s[16:17], v8, v8, v6
	v_div_scale_f32 v9, vcc, v6, v8, v6
	s_cmp_le_i32 s18, s2
	s_mov_b32 s9, s8
	v_rcp_f32_e32 v10, v7
	v_fma_f32 v11, -v7, v10, 1.0
	v_fmac_f32_e32 v10, v11, v10
	v_mul_f32_e32 v11, v9, v10
	v_fma_f32 v12, -v7, v11, v9
	v_fmac_f32_e32 v11, v12, v10
	v_fma_f32 v7, -v7, v11, v9
	v_div_fmas_f32 v9, v7, v10, v11
	v_mov_b32_e32 v7, v1
	v_div_fixup_f32 v6, v9, v8, v6
	ds_write_b32 v4, v6
	s_cbranch_scc1 .LBB20_60
.LBB20_64:                              ;   Parent Loop BB20_61 Depth=1
                                        ; =>  This Inner Loop Header: Depth=2
	v_mov_b32_e32 v6, s7
	ds_read_b32 v4, v7
	ds_read_b32 v6, v6
	s_add_i32 s9, s9, -1
	s_add_i32 s7, s7, -4
	v_subrev_u32_e32 v7, 64, v7
	s_cmp_gt_u32 s9, s5
	s_waitcnt lgkmcnt(0)
	v_fma_f32 v5, -v4, v6, v5
	s_cbranch_scc1 .LBB20_64
	s_branch .LBB20_60
.LBB20_65:
	s_mov_b64 s[6:7], 0
.LBB20_66:
	s_andn2_b64 vcc, exec, s[6:7]
	s_cbranch_vccnz .LBB20_78
; %bb.67:
	v_mov_b32_e32 v1, 0x400
	v_lshl_or_b32 v1, v0, 2, v1
	s_cmp_lt_i32 s12, 4
	s_mov_b32 s4, 0
	s_cbranch_scc1 .LBB20_73
; %bb.68:
	s_mov_b32 s2, 0
	s_mov_b32 s3, 0
.LBB20_69:                              ; =>This Loop Header: Depth=1
                                        ;     Child Loop BB20_70 Depth 2
	s_or_b32 s4, s3, 3
	v_lshl_add_u32 v2, s3, 6, v1
	s_or_b32 s5, s3, 1
	s_or_b32 s6, s3, 2
	v_lshl_add_u32 v3, s5, 6, v1
	v_lshl_add_u32 v5, s6, 6, v1
	;; [unrolled: 1-line block ×3, first 2 shown]
	ds_read_b32 v9, v2
	ds_read_b32 v8, v3
	;; [unrolled: 1-line block ×4, first 2 shown]
	s_cmp_eq_u32 s3, 0
	s_mov_b32 s7, s2
	v_mov_b32_e32 v10, v1
	s_mov_b32 s8, s3
	s_cbranch_scc1 .LBB20_71
.LBB20_70:                              ;   Parent Loop BB20_69 Depth=1
                                        ; =>  This Inner Loop Header: Depth=2
	v_mov_b32_e32 v13, s7
	ds_read_b32 v15, v10
	ds_read2_b32 v[11:12], v13 offset1:16
	ds_read2_b32 v[13:14], v13 offset0:32 offset1:48
	s_add_i32 s8, s8, -1
	s_add_i32 s7, s7, 4
	v_add_u32_e32 v10, 64, v10
	s_cmp_eq_u32 s8, 0
	s_waitcnt lgkmcnt(1)
	v_fma_f32 v9, -v15, v11, v9
	v_fma_f32 v8, -v15, v12, v8
	s_waitcnt lgkmcnt(0)
	v_fma_f32 v7, -v15, v13, v7
	v_fma_f32 v6, -v15, v14, v6
	s_cbranch_scc0 .LBB20_70
.LBB20_71:                              ;   in Loop: Header=BB20_69 Depth=1
	s_lshl_b32 s7, s5, 4
	s_lshl_b32 s5, s6, 4
	s_mul_i32 s6, s3, 0x44
	v_mov_b32_e32 v10, s6
	ds_read_b32 v15, v10
	s_lshl_b32 s6, s7, 2
	s_lshl_b32 s8, s3, 2
	s_add_i32 s6, s6, s8
	v_mov_b32_e32 v10, s6
	s_waitcnt lgkmcnt(0)
	v_div_scale_f32 v16, s[6:7], v15, v15, v9
	v_div_scale_f32 v17, vcc, v9, v15, v9
	s_lshl_b32 s5, s5, 2
	s_add_i32 s5, s5, s8
	v_mov_b32_e32 v11, s5
	ds_read_b64 v[13:14], v10
	ds_read_b96 v[10:12], v11
	s_lshl_b32 s4, s4, 4
	s_lshl_b32 s4, s4, 2
	s_add_i32 s4, s4, s8
	s_addk_i32 s2, 0x100
	v_rcp_f32_e32 v18, v16
	v_fma_f32 v19, -v16, v18, 1.0
	v_fmac_f32_e32 v18, v19, v18
	v_mul_f32_e32 v19, v17, v18
	v_fma_f32 v20, -v16, v19, v17
	v_fmac_f32_e32 v19, v20, v18
	v_fma_f32 v16, -v16, v19, v17
	v_div_fmas_f32 v16, v16, v18, v19
	v_div_fixup_f32 v15, v16, v15, v9
	s_waitcnt lgkmcnt(1)
	v_fma_f32 v8, -v15, v13, v8
	v_div_scale_f32 v9, s[6:7], v14, v14, v8
	v_div_scale_f32 v13, vcc, v8, v14, v8
	s_waitcnt lgkmcnt(0)
	v_fma_f32 v7, -v15, v10, v7
	v_rcp_f32_e32 v16, v9
	v_fma_f32 v17, -v9, v16, 1.0
	v_fmac_f32_e32 v16, v17, v16
	v_mul_f32_e32 v17, v13, v16
	v_fma_f32 v18, -v9, v17, v13
	v_fmac_f32_e32 v17, v18, v16
	v_fma_f32 v9, -v9, v17, v13
	v_div_fmas_f32 v9, v9, v16, v17
	v_div_fixup_f32 v13, v9, v14, v8
	v_fma_f32 v11, -v13, v11, v7
	v_div_scale_f32 v7, s[6:7], v12, v12, v11
	v_div_scale_f32 v8, vcc, v11, v12, v11
	v_rcp_f32_e32 v9, v7
	v_fma_f32 v10, -v7, v9, 1.0
	v_fmac_f32_e32 v9, v10, v9
	v_mul_f32_e32 v10, v8, v9
	v_fma_f32 v14, -v7, v10, v8
	v_fmac_f32_e32 v10, v14, v9
	v_fma_f32 v7, -v7, v10, v8
	v_div_fmas_f32 v14, v7, v9, v10
	v_mov_b32_e32 v7, s4
	ds_read_b128 v[7:10], v7
	s_waitcnt lgkmcnt(0)
	v_fma_f32 v6, -v15, v7, v6
	v_fma_f32 v6, -v13, v8, v6
	v_div_fixup_f32 v7, v14, v12, v11
	v_fma_f32 v6, -v7, v9, v6
	v_div_scale_f32 v8, s[4:5], v10, v10, v6
	v_div_scale_f32 v9, vcc, v6, v10, v6
	s_add_i32 s4, s3, 4
	s_add_i32 s3, s3, 7
	ds_write_b32 v2, v15
	ds_write_b32 v3, v13
	;; [unrolled: 1-line block ×3, first 2 shown]
	s_cmp_ge_i32 s3, s18
	v_rcp_f32_e32 v11, v8
	v_fma_f32 v12, -v8, v11, 1.0
	v_fmac_f32_e32 v11, v12, v11
	v_mul_f32_e32 v12, v9, v11
	v_fma_f32 v14, -v8, v12, v9
	v_fmac_f32_e32 v12, v14, v11
	v_fma_f32 v8, -v8, v12, v9
	v_div_fmas_f32 v8, v8, v11, v12
	v_div_fixup_f32 v2, v8, v10, v6
	ds_write_b32 v4, v2
	s_cbranch_scc1 .LBB20_73
; %bb.72:                               ;   in Loop: Header=BB20_69 Depth=1
	s_mov_b32 s3, s4
	s_branch .LBB20_69
.LBB20_73:
	s_cmp_ge_i32 s4, s18
	s_cbranch_scc1 .LBB20_78
; %bb.74:
	v_mov_b32_e32 v2, 0x400
	v_lshl_or_b32 v2, v0, 2, v2
	s_lshl_b32 s2, s4, 6
	s_branch .LBB20_76
.LBB20_75:                              ;   in Loop: Header=BB20_76 Depth=1
	s_mul_i32 s3, s4, 0x44
	v_mov_b32_e32 v5, s3
	ds_read_b32 v5, v5
	s_add_i32 s4, s4, 1
	s_add_i32 s2, s2, 64
	s_cmp_ge_i32 s4, s18
	s_waitcnt lgkmcnt(0)
	v_div_scale_f32 v6, s[6:7], v5, v5, v4
	v_div_scale_f32 v7, vcc, v4, v5, v4
	v_rcp_f32_e32 v8, v6
	v_fma_f32 v9, -v6, v8, 1.0
	v_fmac_f32_e32 v8, v9, v8
	v_mul_f32_e32 v9, v7, v8
	v_fma_f32 v10, -v6, v9, v7
	v_fmac_f32_e32 v9, v10, v8
	v_fma_f32 v6, -v6, v9, v7
	v_div_fmas_f32 v6, v6, v8, v9
	v_div_fixup_f32 v4, v6, v5, v4
	ds_write_b32 v3, v4
	s_cbranch_scc1 .LBB20_78
.LBB20_76:                              ; =>This Loop Header: Depth=1
                                        ;     Child Loop BB20_77 Depth 2
	v_lshl_add_u32 v3, s4, 6, v1
	ds_read_b32 v4, v3
	s_cmp_eq_u32 s4, 0
	s_mov_b32 s3, s2
	v_mov_b32_e32 v5, v2
	s_mov_b32 s5, s4
	s_cbranch_scc1 .LBB20_75
.LBB20_77:                              ;   Parent Loop BB20_76 Depth=1
                                        ; =>  This Inner Loop Header: Depth=2
	v_mov_b32_e32 v7, s3
	ds_read_b32 v6, v5
	ds_read_b32 v7, v7
	s_add_i32 s5, s5, -1
	s_add_i32 s3, s3, 4
	v_add_u32_e32 v5, 64, v5
	s_cmp_eq_u32 s5, 0
	s_waitcnt lgkmcnt(0)
	v_fma_f32 v4, -v6, v7, v4
	s_cbranch_scc0 .LBB20_77
	s_branch .LBB20_75
.LBB20_78:
	s_and_saveexec_b64 s[2:3], s[0:1]
	s_cbranch_execz .LBB20_82
; %bb.79:
	s_cmp_lt_i32 s12, 1
	s_cbranch_scc1 .LBB20_82
; %bb.80:
	s_ashr_i32 s11, s10, 31
	v_lshlrev_b32_e32 v2, 2, v0
	v_mov_b32_e32 v1, s15
	v_add_co_u32_e32 v0, vcc, s14, v2
	s_lshl_b64 s[0:1], s[10:11], 2
	v_addc_co_u32_e32 v1, vcc, 0, v1, vcc
	v_or_b32_e32 v2, 0x400, v2
	v_mov_b32_e32 v3, s1
.LBB20_81:                              ; =>This Inner Loop Header: Depth=1
	ds_read_b32 v4, v2
	s_add_i32 s12, s12, -1
	v_add_u32_e32 v2, 64, v2
	s_cmp_lg_u32 s12, 0
	s_waitcnt lgkmcnt(0)
	global_store_dword v[0:1], v4, off
	v_add_co_u32_e32 v0, vcc, s0, v0
	v_addc_co_u32_e32 v1, vcc, v1, v3, vcc
	s_cbranch_scc1 .LBB20_81
.LBB20_82:
	s_endpgm
	.section	.rodata,"a",@progbits
	.p2align	6, 0x0
	.amdhsa_kernel _ZL31rocblas_trsm_small_right_deviceIffPKfPfLi16EEv13rocblas_fill_18rocblas_operation_17rocblas_diagonal_iiT0_T1_lilT2_lili
		.amdhsa_group_segment_fixed_size 2048
		.amdhsa_private_segment_fixed_size 0
		.amdhsa_kernarg_size 352
		.amdhsa_user_sgpr_count 6
		.amdhsa_user_sgpr_private_segment_buffer 1
		.amdhsa_user_sgpr_dispatch_ptr 0
		.amdhsa_user_sgpr_queue_ptr 0
		.amdhsa_user_sgpr_kernarg_segment_ptr 1
		.amdhsa_user_sgpr_dispatch_id 0
		.amdhsa_user_sgpr_flat_scratch_init 0
		.amdhsa_user_sgpr_private_segment_size 0
		.amdhsa_uses_dynamic_stack 0
		.amdhsa_system_sgpr_private_segment_wavefront_offset 0
		.amdhsa_system_sgpr_workgroup_id_x 1
		.amdhsa_system_sgpr_workgroup_id_y 0
		.amdhsa_system_sgpr_workgroup_id_z 1
		.amdhsa_system_sgpr_workgroup_info 0
		.amdhsa_system_vgpr_workitem_id 0
		.amdhsa_next_free_vgpr 29
		.amdhsa_next_free_sgpr 61
		.amdhsa_reserve_vcc 1
		.amdhsa_reserve_flat_scratch 0
		.amdhsa_float_round_mode_32 0
		.amdhsa_float_round_mode_16_64 0
		.amdhsa_float_denorm_mode_32 3
		.amdhsa_float_denorm_mode_16_64 3
		.amdhsa_dx10_clamp 1
		.amdhsa_ieee_mode 1
		.amdhsa_fp16_overflow 0
		.amdhsa_exception_fp_ieee_invalid_op 0
		.amdhsa_exception_fp_denorm_src 0
		.amdhsa_exception_fp_ieee_div_zero 0
		.amdhsa_exception_fp_ieee_overflow 0
		.amdhsa_exception_fp_ieee_underflow 0
		.amdhsa_exception_fp_ieee_inexact 0
		.amdhsa_exception_int_div_zero 0
	.end_amdhsa_kernel
	.section	.text._ZL31rocblas_trsm_small_right_deviceIffPKfPfLi16EEv13rocblas_fill_18rocblas_operation_17rocblas_diagonal_iiT0_T1_lilT2_lili,"axG",@progbits,_ZL31rocblas_trsm_small_right_deviceIffPKfPfLi16EEv13rocblas_fill_18rocblas_operation_17rocblas_diagonal_iiT0_T1_lilT2_lili,comdat
.Lfunc_end20:
	.size	_ZL31rocblas_trsm_small_right_deviceIffPKfPfLi16EEv13rocblas_fill_18rocblas_operation_17rocblas_diagonal_iiT0_T1_lilT2_lili, .Lfunc_end20-_ZL31rocblas_trsm_small_right_deviceIffPKfPfLi16EEv13rocblas_fill_18rocblas_operation_17rocblas_diagonal_iiT0_T1_lilT2_lili
                                        ; -- End function
	.set _ZL31rocblas_trsm_small_right_deviceIffPKfPfLi16EEv13rocblas_fill_18rocblas_operation_17rocblas_diagonal_iiT0_T1_lilT2_lili.num_vgpr, 23
	.set _ZL31rocblas_trsm_small_right_deviceIffPKfPfLi16EEv13rocblas_fill_18rocblas_operation_17rocblas_diagonal_iiT0_T1_lilT2_lili.num_agpr, 0
	.set _ZL31rocblas_trsm_small_right_deviceIffPKfPfLi16EEv13rocblas_fill_18rocblas_operation_17rocblas_diagonal_iiT0_T1_lilT2_lili.numbered_sgpr, 26
	.set _ZL31rocblas_trsm_small_right_deviceIffPKfPfLi16EEv13rocblas_fill_18rocblas_operation_17rocblas_diagonal_iiT0_T1_lilT2_lili.num_named_barrier, 0
	.set _ZL31rocblas_trsm_small_right_deviceIffPKfPfLi16EEv13rocblas_fill_18rocblas_operation_17rocblas_diagonal_iiT0_T1_lilT2_lili.private_seg_size, 0
	.set _ZL31rocblas_trsm_small_right_deviceIffPKfPfLi16EEv13rocblas_fill_18rocblas_operation_17rocblas_diagonal_iiT0_T1_lilT2_lili.uses_vcc, 1
	.set _ZL31rocblas_trsm_small_right_deviceIffPKfPfLi16EEv13rocblas_fill_18rocblas_operation_17rocblas_diagonal_iiT0_T1_lilT2_lili.uses_flat_scratch, 0
	.set _ZL31rocblas_trsm_small_right_deviceIffPKfPfLi16EEv13rocblas_fill_18rocblas_operation_17rocblas_diagonal_iiT0_T1_lilT2_lili.has_dyn_sized_stack, 0
	.set _ZL31rocblas_trsm_small_right_deviceIffPKfPfLi16EEv13rocblas_fill_18rocblas_operation_17rocblas_diagonal_iiT0_T1_lilT2_lili.has_recursion, 0
	.set _ZL31rocblas_trsm_small_right_deviceIffPKfPfLi16EEv13rocblas_fill_18rocblas_operation_17rocblas_diagonal_iiT0_T1_lilT2_lili.has_indirect_call, 0
	.section	.AMDGPU.csdata,"",@progbits
; Kernel info:
; codeLenInByte = 5600
; TotalNumSgprs: 30
; NumVgprs: 23
; ScratchSize: 0
; MemoryBound: 0
; FloatMode: 240
; IeeeMode: 1
; LDSByteSize: 2048 bytes/workgroup (compile time only)
; SGPRBlocks: 8
; VGPRBlocks: 7
; NumSGPRsForWavesPerEU: 65
; NumVGPRsForWavesPerEU: 29
; Occupancy: 8
; WaveLimiterHint : 0
; COMPUTE_PGM_RSRC2:SCRATCH_EN: 0
; COMPUTE_PGM_RSRC2:USER_SGPR: 6
; COMPUTE_PGM_RSRC2:TRAP_HANDLER: 0
; COMPUTE_PGM_RSRC2:TGID_X_EN: 1
; COMPUTE_PGM_RSRC2:TGID_Y_EN: 0
; COMPUTE_PGM_RSRC2:TGID_Z_EN: 1
; COMPUTE_PGM_RSRC2:TIDIG_COMP_CNT: 0
	.section	.text._ZL38rocblas_trsm_small_left_device_sharedBILi20ELi20ELb0EffPKfPfEv13rocblas_fill_18rocblas_operation_17rocblas_diagonal_iiT3_T4_lilT5_lili,"axG",@progbits,_ZL38rocblas_trsm_small_left_device_sharedBILi20ELi20ELb0EffPKfPfEv13rocblas_fill_18rocblas_operation_17rocblas_diagonal_iiT3_T4_lilT5_lili,comdat
	.globl	_ZL38rocblas_trsm_small_left_device_sharedBILi20ELi20ELb0EffPKfPfEv13rocblas_fill_18rocblas_operation_17rocblas_diagonal_iiT3_T4_lilT5_lili ; -- Begin function _ZL38rocblas_trsm_small_left_device_sharedBILi20ELi20ELb0EffPKfPfEv13rocblas_fill_18rocblas_operation_17rocblas_diagonal_iiT3_T4_lilT5_lili
	.p2align	8
	.type	_ZL38rocblas_trsm_small_left_device_sharedBILi20ELi20ELb0EffPKfPfEv13rocblas_fill_18rocblas_operation_17rocblas_diagonal_iiT3_T4_lilT5_lili,@function
_ZL38rocblas_trsm_small_left_device_sharedBILi20ELi20ELb0EffPKfPfEv13rocblas_fill_18rocblas_operation_17rocblas_diagonal_iiT3_T4_lilT5_lili: ; @_ZL38rocblas_trsm_small_left_device_sharedBILi20ELi20ELb0EffPKfPfEv13rocblas_fill_18rocblas_operation_17rocblas_diagonal_iiT3_T4_lilT5_lili
; %bb.0:
	s_load_dwordx4 s[8:11], s[4:5], 0x4
	s_load_dword s17, s[4:5], 0x14
	s_load_dwordx4 s[0:3], s[4:5], 0x30
	s_load_dwordx2 s[12:13], s[4:5], 0x40
	s_waitcnt lgkmcnt(0)
	s_min_i32 s16, s10, 20
	v_cmp_gt_i32_e32 vcc, s16, v0
	s_and_saveexec_b64 s[14:15], vcc
	s_cbranch_execz .LBB21_6
; %bb.1:
	s_load_dword s18, s[4:5], 0x28
	s_load_dwordx4 s[20:23], s[4:5], 0x18
	s_mul_i32 s1, s1, s7
	s_mul_hi_u32 s19, s0, s7
	s_add_i32 s1, s19, s1
	s_mul_i32 s0, s0, s7
	s_waitcnt lgkmcnt(0)
	s_ashr_i32 s19, s18, 31
	s_lshl_b64 s[0:1], s[0:1], 2
	s_add_u32 s20, s20, s0
	s_addc_u32 s21, s21, s1
	s_lshl_b64 s[0:1], s[22:23], 2
	s_add_u32 s0, s20, s0
	s_addc_u32 s1, s21, s1
	v_lshlrev_b32_e32 v3, 2, v0
	v_mov_b32_e32 v2, s1
	v_add_co_u32_e32 v1, vcc, s0, v3
	s_lshl_b64 s[0:1], s[18:19], 2
	v_addc_co_u32_e32 v2, vcc, 0, v2, vcc
	v_mov_b32_e32 v4, s1
	v_mov_b32_e32 v5, v3
	s_mov_b32 s1, s16
.LBB21_2:                               ; =>This Inner Loop Header: Depth=1
	global_load_dword v6, v[1:2], off
	v_add_co_u32_e32 v1, vcc, s0, v1
	s_add_i32 s1, s1, -1
	v_addc_co_u32_e32 v2, vcc, v2, v4, vcc
	s_cmp_eq_u32 s1, 0
	s_waitcnt vmcnt(0)
	ds_write_b32 v5, v6
	v_add_u32_e32 v5, 0x50, v5
	s_cbranch_scc0 .LBB21_2
; %bb.3:
	v_mul_u32_u24_e32 v1, 0x50, v0
	s_cmpk_lg_i32 s9, 0x84
	v_mov_b32_e32 v2, 1.0
	v_add_u32_e32 v1, v3, v1
	s_cbranch_scc0 .LBB21_5
; %bb.4:
	ds_read_b32 v2, v1
	s_waitcnt lgkmcnt(0)
	v_div_scale_f32 v3, s[0:1], v2, v2, 1.0
	v_div_scale_f32 v4, vcc, 1.0, v2, 1.0
	v_rcp_f32_e32 v5, v3
	v_fma_f32 v6, -v3, v5, 1.0
	v_fmac_f32_e32 v5, v6, v5
	v_mul_f32_e32 v6, v4, v5
	v_fma_f32 v7, -v3, v6, v4
	v_fmac_f32_e32 v6, v7, v5
	v_fma_f32 v3, -v3, v6, v4
	v_div_fmas_f32 v3, v3, v5, v6
	v_div_fixup_f32 v2, v3, v2, 1.0
.LBB21_5:
	ds_write_b32 v1, v2
.LBB21_6:
	s_or_b64 exec, exec, s[14:15]
	s_load_dword s0, s[4:5], 0x60
	s_load_dwordx2 s[14:15], s[4:5], 0x50
	s_load_dword s9, s[4:5], 0x48
	s_waitcnt lgkmcnt(0)
	s_mul_i32 s1, s15, s7
	s_mul_hi_u32 s5, s14, s7
	s_mul_i32 s4, s14, s7
	s_add_i32 s5, s5, s1
	s_lshl_b64 s[4:5], s[4:5], 2
	s_add_u32 s1, s2, s4
	s_addc_u32 s4, s3, s5
	s_lshl_b64 s[2:3], s[12:13], 2
	s_add_u32 s2, s1, s2
	s_mul_i32 s1, s6, 0xffffffec
	s_addc_u32 s3, s4, s3
	s_add_i32 s0, s0, -1
	s_add_i32 s1, s11, s1
	s_cmp_ge_u32 s6, s0
	s_mul_i32 s6, s6, 20
	s_cselect_b32 s4, s1, 20
	s_mul_hi_i32 s1, s9, s6
	s_mul_i32 s0, s9, s6
	s_lshl_b64 s[0:1], s[0:1], 2
	s_add_u32 s6, s2, s0
	s_addc_u32 s7, s3, s1
	s_cmp_gt_i32 s10, 0
	v_cmp_gt_i32_e64 s[0:1], s4, v0
	s_cselect_b64 s[2:3], -1, 0
	s_and_b64 s[12:13], s[0:1], s[2:3]
	s_and_saveexec_b64 s[4:5], s[12:13]
	s_cbranch_execz .LBB21_9
; %bb.7:
	v_mad_i64_i32 v[1:2], s[12:13], s9, v0, 0
	v_mov_b32_e32 v3, s7
	s_mov_b32 s11, s16
	v_lshlrev_b64 v[1:2], 2, v[1:2]
	v_add_co_u32_e32 v1, vcc, s6, v1
	v_addc_co_u32_e32 v2, vcc, v3, v2, vcc
	v_mov_b32_e32 v3, 0x640
	v_lshl_add_u32 v3, v0, 2, v3
.LBB21_8:                               ; =>This Inner Loop Header: Depth=1
	global_load_dword v4, v[1:2], off
	s_add_i32 s11, s11, -1
	v_add_co_u32_e32 v1, vcc, 4, v1
	v_addc_co_u32_e32 v2, vcc, 0, v2, vcc
	s_cmp_lg_u32 s11, 0
	s_waitcnt vmcnt(0)
	v_mul_f32_e32 v4, s17, v4
	ds_write_b32 v3, v4
	v_add_u32_e32 v3, 0x50, v3
	s_cbranch_scc1 .LBB21_8
.LBB21_9:
	s_or_b64 exec, exec, s[4:5]
	v_mov_b32_e32 v1, 0x640
	s_cmpk_eq_i32 s8, 0x6f
	v_lshl_add_u32 v17, v0, 2, v1
	s_mov_b64 s[4:5], -1
	s_waitcnt lgkmcnt(0)
	; wave barrier
	s_cbranch_scc1 .LBB21_24
; %bb.10:
	s_cmp_gt_i32 s10, 19
	s_cselect_b64 s[4:5], -1, 0
	s_and_b64 vcc, exec, s[4:5]
	s_cbranch_vccz .LBB21_12
; %bb.11:
	v_add_u32_e32 v16, 0x200, v17
	v_add_u32_e32 v28, 0x400, v17
	v_mov_b32_e32 v29, 0
	ds_read2_b32 v[1:2], v17 offset1:20
	ds_read2_b32 v[8:9], v17 offset0:40 offset1:60
	ds_read2_b32 v[10:11], v17 offset0:80 offset1:100
	;; [unrolled: 1-line block ×7, first 2 shown]
	ds_read_b32 v30, v29
	ds_read_b64 v[3:4], v29 offset:80
	ds_read2_b32 v[24:25], v28 offset0:64 offset1:84
	ds_read2_b32 v[26:27], v28 offset0:104 offset1:124
	ds_read_b96 v[5:7], v29 offset:160
	s_waitcnt lgkmcnt(4)
	v_mul_f32_e32 v30, v1, v30
	s_waitcnt lgkmcnt(3)
	v_fma_f32 v1, -v30, v3, v2
	v_mul_f32_e32 v31, v1, v4
	ds_read_b128 v[1:4], v29 offset:240
	s_waitcnt lgkmcnt(1)
	v_fma_f32 v5, -v30, v5, v8
	v_fma_f32 v5, -v31, v6, v5
	v_mul_f32_e32 v32, v5, v7
	ds_read_b128 v[5:8], v29 offset:320
	s_waitcnt lgkmcnt(1)
	v_fma_f32 v1, -v30, v1, v9
	v_fma_f32 v1, -v31, v2, v1
	;; [unrolled: 1-line block ×3, first 2 shown]
	v_mul_f32_e32 v33, v1, v4
	ds_write2_b32 v17, v30, v31 offset1:20
	ds_write2_b32 v17, v32, v33 offset0:40 offset1:60
	s_waitcnt lgkmcnt(2)
	v_fma_f32 v5, -v30, v5, v10
	ds_read_b32 v9, v29 offset:336
	ds_read_b128 v[1:4], v29 offset:400
	v_fma_f32 v5, -v31, v6, v5
	v_fma_f32 v5, -v32, v7, v5
	;; [unrolled: 1-line block ×3, first 2 shown]
	s_waitcnt lgkmcnt(1)
	v_mul_f32_e32 v34, v5, v9
	ds_read_b64 v[9:10], v29 offset:416
	ds_read_b128 v[5:8], v29 offset:480
	s_waitcnt lgkmcnt(2)
	v_fma_f32 v1, -v30, v1, v11
	v_fma_f32 v1, -v31, v2, v1
	;; [unrolled: 1-line block ×4, first 2 shown]
	s_waitcnt lgkmcnt(1)
	v_fma_f32 v1, -v34, v9, v1
	v_mul_f32_e32 v35, v1, v10
	ds_read_b96 v[9:11], v29 offset:496
	s_waitcnt lgkmcnt(1)
	v_fma_f32 v1, -v30, v5, v12
	v_fma_f32 v1, -v31, v6, v1
	;; [unrolled: 1-line block ×3, first 2 shown]
	ds_read_b128 v[1:4], v29 offset:560
	v_fma_f32 v5, -v33, v8, v5
	s_waitcnt lgkmcnt(1)
	v_fma_f32 v5, -v34, v9, v5
	v_fma_f32 v5, -v35, v10, v5
	v_mul_f32_e32 v36, v5, v11
	ds_read_b128 v[5:8], v29 offset:576
	s_waitcnt lgkmcnt(1)
	v_fma_f32 v1, -v30, v1, v13
	v_fma_f32 v1, -v31, v2, v1
	;; [unrolled: 1-line block ×4, first 2 shown]
	ds_read_b128 v[1:4], v29 offset:640
	s_waitcnt lgkmcnt(1)
	v_fma_f32 v5, -v34, v5, v9
	v_fma_f32 v5, -v35, v6, v5
	;; [unrolled: 1-line block ×3, first 2 shown]
	v_mul_f32_e32 v37, v5, v8
	ds_write2_b32 v17, v34, v35 offset0:80 offset1:100
	ds_write2_b32 v17, v36, v37 offset0:120 offset1:140
	ds_read_b128 v[5:8], v29 offset:656
	ds_read_b32 v9, v29 offset:672
	s_waitcnt lgkmcnt(4)
	v_fma_f32 v1, -v30, v1, v14
	v_fma_f32 v1, -v31, v2, v1
	;; [unrolled: 1-line block ×4, first 2 shown]
	s_waitcnt lgkmcnt(1)
	v_fma_f32 v1, -v34, v5, v1
	v_fma_f32 v5, -v35, v6, v1
	ds_read_b128 v[1:4], v29 offset:720
	v_fma_f32 v5, -v36, v7, v5
	v_fma_f32 v5, -v37, v8, v5
	s_waitcnt lgkmcnt(1)
	v_mul_f32_e32 v38, v5, v9
	ds_read_b128 v[5:8], v29 offset:736
	s_waitcnt lgkmcnt(1)
	v_fma_f32 v1, -v30, v1, v15
	v_fma_f32 v1, -v31, v2, v1
	;; [unrolled: 1-line block ×4, first 2 shown]
	s_waitcnt lgkmcnt(0)
	v_fma_f32 v1, -v34, v5, v1
	ds_read_b64 v[9:10], v29 offset:752
	v_fma_f32 v1, -v35, v6, v1
	v_fma_f32 v5, -v36, v7, v1
	ds_read_b128 v[1:4], v29 offset:800
	v_fma_f32 v5, -v37, v8, v5
	s_waitcnt lgkmcnt(1)
	v_fma_f32 v5, -v38, v9, v5
	v_mul_f32_e32 v39, v5, v10
	ds_read_b128 v[5:8], v29 offset:816
	ds_read_b96 v[9:11], v29 offset:832
	s_waitcnt lgkmcnt(2)
	v_fma_f32 v1, -v30, v1, v18
	v_fma_f32 v1, -v31, v2, v1
	;; [unrolled: 1-line block ×4, first 2 shown]
	s_waitcnt lgkmcnt(1)
	v_fma_f32 v1, -v34, v5, v1
	v_fma_f32 v1, -v35, v6, v1
	;; [unrolled: 1-line block ×4, first 2 shown]
	ds_read_b128 v[1:4], v29 offset:880
	s_waitcnt lgkmcnt(1)
	v_fma_f32 v5, -v38, v9, v5
	v_fma_f32 v5, -v39, v10, v5
	v_mul_f32_e32 v18, v5, v11
	ds_read_b128 v[5:8], v29 offset:896
	s_waitcnt lgkmcnt(1)
	v_fma_f32 v1, -v30, v1, v19
	v_fma_f32 v1, -v31, v2, v1
	;; [unrolled: 1-line block ×4, first 2 shown]
	s_waitcnt lgkmcnt(0)
	v_fma_f32 v5, -v34, v5, v1
	ds_read_b128 v[1:4], v29 offset:912
	v_fma_f32 v5, -v35, v6, v5
	v_fma_f32 v5, -v36, v7, v5
	;; [unrolled: 1-line block ×3, first 2 shown]
	ds_read_b128 v[5:8], v29 offset:960
	s_waitcnt lgkmcnt(1)
	v_fma_f32 v1, -v38, v1, v9
	v_fma_f32 v1, -v39, v2, v1
	;; [unrolled: 1-line block ×3, first 2 shown]
	v_mul_f32_e32 v19, v1, v4
	ds_write2_b32 v17, v38, v39 offset0:160 offset1:180
	ds_write2_b32 v17, v18, v19 offset0:200 offset1:220
	ds_read_b128 v[1:4], v29 offset:976
	ds_read_b128 v[9:12], v29 offset:992
	s_waitcnt lgkmcnt(4)
	v_fma_f32 v5, -v30, v5, v20
	v_fma_f32 v5, -v31, v6, v5
	;; [unrolled: 1-line block ×4, first 2 shown]
	s_waitcnt lgkmcnt(1)
	v_fma_f32 v1, -v34, v1, v5
	v_fma_f32 v1, -v35, v2, v1
	;; [unrolled: 1-line block ×4, first 2 shown]
	s_waitcnt lgkmcnt(0)
	v_fma_f32 v5, -v38, v9, v1
	ds_read_b32 v6, v29 offset:1008
	ds_read_b128 v[1:4], v29 offset:1040
	v_fma_f32 v5, -v39, v10, v5
	v_fma_f32 v5, -v18, v11, v5
	;; [unrolled: 1-line block ×3, first 2 shown]
	s_waitcnt lgkmcnt(1)
	v_mul_f32_e32 v20, v5, v6
	ds_read_b128 v[5:8], v29 offset:1056
	s_waitcnt lgkmcnt(1)
	v_fma_f32 v1, -v30, v1, v21
	v_fma_f32 v1, -v31, v2, v1
	;; [unrolled: 1-line block ×4, first 2 shown]
	ds_read_b128 v[1:4], v29 offset:1072
	s_waitcnt lgkmcnt(1)
	v_fma_f32 v5, -v34, v5, v9
	v_fma_f32 v5, -v35, v6, v5
	;; [unrolled: 1-line block ×4, first 2 shown]
	ds_read_b64 v[9:10], v29 offset:1088
	s_waitcnt lgkmcnt(1)
	v_fma_f32 v1, -v38, v1, v5
	v_fma_f32 v1, -v39, v2, v1
	ds_read_b128 v[5:8], v29 offset:1120
	v_fma_f32 v1, -v18, v3, v1
	v_fma_f32 v1, -v19, v4, v1
	s_waitcnt lgkmcnt(1)
	v_fma_f32 v1, -v20, v9, v1
	v_mul_f32_e32 v21, v1, v10
	ds_read_b128 v[1:4], v29 offset:1136
	s_waitcnt lgkmcnt(1)
	v_fma_f32 v5, -v30, v5, v22
	v_fma_f32 v5, -v31, v6, v5
	;; [unrolled: 1-line block ×4, first 2 shown]
	ds_read_b128 v[5:8], v29 offset:1152
	s_waitcnt lgkmcnt(1)
	v_fma_f32 v1, -v34, v1, v9
	v_fma_f32 v1, -v35, v2, v1
	;; [unrolled: 1-line block ×4, first 2 shown]
	ds_read_b96 v[9:11], v29 offset:1168
	s_waitcnt lgkmcnt(1)
	v_fma_f32 v1, -v38, v5, v1
	v_fma_f32 v1, -v39, v6, v1
	;; [unrolled: 1-line block ×3, first 2 shown]
	ds_read_b128 v[1:4], v29 offset:1200
	v_fma_f32 v5, -v19, v8, v5
	s_waitcnt lgkmcnt(1)
	v_fma_f32 v5, -v20, v9, v5
	v_fma_f32 v5, -v21, v10, v5
	v_mul_f32_e32 v22, v5, v11
	ds_read_b128 v[5:8], v29 offset:1216
	s_waitcnt lgkmcnt(1)
	v_fma_f32 v1, -v30, v1, v23
	v_fma_f32 v1, -v31, v2, v1
	;; [unrolled: 1-line block ×4, first 2 shown]
	ds_read_b128 v[1:4], v29 offset:1232
	s_waitcnt lgkmcnt(1)
	v_fma_f32 v5, -v34, v5, v9
	v_fma_f32 v5, -v35, v6, v5
	;; [unrolled: 1-line block ×4, first 2 shown]
	s_waitcnt lgkmcnt(0)
	v_fma_f32 v1, -v38, v1, v5
	ds_read_b128 v[5:8], v29 offset:1248
	v_fma_f32 v1, -v39, v2, v1
	v_fma_f32 v1, -v18, v3, v1
	;; [unrolled: 1-line block ×3, first 2 shown]
	ds_read_b128 v[1:4], v29 offset:1280
	s_waitcnt lgkmcnt(1)
	v_fma_f32 v5, -v20, v5, v9
	v_fma_f32 v5, -v21, v6, v5
	;; [unrolled: 1-line block ×3, first 2 shown]
	v_mul_f32_e32 v23, v5, v8
	ds_write2_b32 v16, v20, v21 offset0:112 offset1:132
	ds_write2_b32 v28, v22, v23 offset0:24 offset1:44
	s_waitcnt lgkmcnt(2)
	v_fma_f32 v1, -v30, v1, v24
	ds_read_b128 v[5:8], v29 offset:1296
	ds_read_b128 v[9:12], v29 offset:1312
	;; [unrolled: 1-line block ×3, first 2 shown]
	v_fma_f32 v1, -v31, v2, v1
	v_fma_f32 v1, -v32, v3, v1
	;; [unrolled: 1-line block ×3, first 2 shown]
	s_waitcnt lgkmcnt(2)
	v_fma_f32 v1, -v34, v5, v1
	v_fma_f32 v1, -v35, v6, v1
	;; [unrolled: 1-line block ×4, first 2 shown]
	s_waitcnt lgkmcnt(1)
	v_fma_f32 v1, -v38, v9, v1
	v_fma_f32 v1, -v39, v10, v1
	;; [unrolled: 1-line block ×4, first 2 shown]
	ds_read_b32 v5, v29 offset:1344
	s_waitcnt lgkmcnt(1)
	v_fma_f32 v1, -v20, v13, v1
	v_fma_f32 v6, -v21, v14, v1
	ds_read_b128 v[1:4], v29 offset:1360
	v_fma_f32 v6, -v22, v15, v6
	v_fma_f32 v6, -v23, v16, v6
	s_waitcnt lgkmcnt(1)
	v_mul_f32_e32 v24, v6, v5
	ds_read_b128 v[5:8], v29 offset:1376
	s_waitcnt lgkmcnt(1)
	v_fma_f32 v1, -v30, v1, v25
	v_fma_f32 v1, -v31, v2, v1
	;; [unrolled: 1-line block ×4, first 2 shown]
	s_waitcnt lgkmcnt(0)
	v_fma_f32 v5, -v34, v5, v1
	ds_read_b128 v[1:4], v29 offset:1392
	v_fma_f32 v5, -v35, v6, v5
	v_fma_f32 v5, -v36, v7, v5
	;; [unrolled: 1-line block ×3, first 2 shown]
	ds_read_b128 v[5:8], v29 offset:1408
	s_waitcnt lgkmcnt(1)
	v_fma_f32 v1, -v38, v1, v9
	v_fma_f32 v1, -v39, v2, v1
	;; [unrolled: 1-line block ×4, first 2 shown]
	s_waitcnt lgkmcnt(0)
	v_fma_f32 v1, -v20, v5, v1
	ds_read_b64 v[9:10], v29 offset:1424
	v_fma_f32 v1, -v21, v6, v1
	v_fma_f32 v5, -v22, v7, v1
	ds_read_b128 v[1:4], v29 offset:1440
	v_fma_f32 v5, -v23, v8, v5
	s_waitcnt lgkmcnt(1)
	v_fma_f32 v5, -v24, v9, v5
	v_mul_f32_e32 v25, v5, v10
	ds_read_b128 v[5:8], v29 offset:1456
	s_waitcnt lgkmcnt(1)
	v_fma_f32 v1, -v30, v1, v26
	v_fma_f32 v1, -v31, v2, v1
	;; [unrolled: 1-line block ×4, first 2 shown]
	ds_read_b128 v[1:4], v29 offset:1472
	s_waitcnt lgkmcnt(1)
	v_fma_f32 v5, -v34, v5, v9
	v_fma_f32 v5, -v35, v6, v5
	;; [unrolled: 1-line block ×4, first 2 shown]
	s_waitcnt lgkmcnt(0)
	v_fma_f32 v1, -v38, v1, v5
	ds_read_b128 v[5:8], v29 offset:1488
	ds_read_b96 v[9:11], v29 offset:1504
	v_fma_f32 v1, -v39, v2, v1
	v_fma_f32 v1, -v18, v3, v1
	;; [unrolled: 1-line block ×3, first 2 shown]
	s_waitcnt lgkmcnt(1)
	v_fma_f32 v1, -v20, v5, v1
	v_fma_f32 v1, -v21, v6, v1
	;; [unrolled: 1-line block ×4, first 2 shown]
	s_waitcnt lgkmcnt(0)
	v_fma_f32 v1, -v24, v9, v1
	v_fma_f32 v5, -v25, v10, v1
	ds_read_b128 v[1:4], v29 offset:1520
	ds_write2_b32 v28, v24, v25 offset0:64 offset1:84
	v_mul_f32_e32 v26, v5, v11
	ds_read_b128 v[5:8], v29 offset:1536
	ds_read_b128 v[9:12], v29 offset:1552
	;; [unrolled: 1-line block ×3, first 2 shown]
	s_mov_b32 s8, 20
	s_waitcnt lgkmcnt(4)
	v_fma_f32 v1, -v30, v1, v27
	v_fma_f32 v1, -v31, v2, v1
	v_fma_f32 v1, -v32, v3, v1
	v_fma_f32 v1, -v33, v4, v1
	s_waitcnt lgkmcnt(2)
	v_fma_f32 v1, -v34, v5, v1
	v_fma_f32 v1, -v35, v6, v1
	v_fma_f32 v1, -v36, v7, v1
	v_fma_f32 v1, -v37, v8, v1
	;; [unrolled: 5-line block ×3, first 2 shown]
	ds_read_b128 v[1:4], v29 offset:1584
	s_waitcnt lgkmcnt(1)
	v_fma_f32 v5, -v20, v13, v5
	v_fma_f32 v5, -v21, v14, v5
	;; [unrolled: 1-line block ×4, first 2 shown]
	s_waitcnt lgkmcnt(0)
	v_fma_f32 v1, -v24, v1, v5
	v_fma_f32 v1, -v25, v2, v1
	;; [unrolled: 1-line block ×3, first 2 shown]
	v_mul_f32_e32 v1, v1, v4
	ds_write2_b32 v28, v26, v1 offset0:104 offset1:124
	s_cmp_lt_i32 s8, s16
	s_cbranch_scc1 .LBB21_13
	s_branch .LBB21_23
.LBB21_12:
	s_mov_b32 s8, 0
	s_cmp_lt_i32 s8, s16
	s_cbranch_scc0 .LBB21_23
.LBB21_13:
	s_add_i32 s11, s8, 15
	s_cmp_ge_u32 s11, s16
	s_cbranch_scc1 .LBB21_18
; %bb.14:
	s_mul_i32 s11, s8, 0x50
	v_add_u32_e32 v18, s11, v17
	ds_read2_b32 v[15:16], v18 offset1:20
	ds_read2_b32 v[13:14], v18 offset0:40 offset1:60
	ds_read2_b32 v[11:12], v18 offset0:80 offset1:100
	;; [unrolled: 1-line block ×5, first 2 shown]
	v_add_u32_e32 v1, 0x200, v18
	ds_read2_b32 v[3:4], v1 offset0:112 offset1:132
	v_add_u32_e32 v1, 0x400, v18
	ds_read2_b32 v[1:2], v1 offset0:24 offset1:44
	s_andn2_b64 vcc, exec, s[4:5]
	s_cbranch_vccnz .LBB21_17
; %bb.15:
	v_mov_b32_e32 v19, 0x640
	v_lshl_add_u32 v19, v0, 2, v19
	s_mov_b32 s4, s8
	s_mov_b32 s5, s11
.LBB21_16:                              ; =>This Inner Loop Header: Depth=1
	v_mov_b32_e32 v48, s5
	ds_read2_b32 v[52:53], v19 offset1:20
	ds_read2_b64 v[20:23], v48 offset1:10
	ds_read2_b64 v[24:27], v48 offset0:20 offset1:30
	ds_read2_b64 v[28:31], v48 offset0:40 offset1:50
	;; [unrolled: 1-line block ×7, first 2 shown]
	s_add_i32 s5, s5, 8
	s_add_i32 s4, s4, -2
	v_add_u32_e32 v19, 0xa0, v19
	s_waitcnt lgkmcnt(7)
	v_fma_f32 v15, -v52, v20, v15
	v_fma_f32 v16, -v52, v22, v16
	s_waitcnt lgkmcnt(6)
	v_fma_f32 v13, -v52, v24, v13
	v_fma_f32 v14, -v52, v26, v14
	;; [unrolled: 3-line block ×8, first 2 shown]
	s_cmp_lg_u32 s4, 0
	v_fma_f32 v15, -v53, v21, v15
	v_fma_f32 v16, -v53, v23, v16
	;; [unrolled: 1-line block ×16, first 2 shown]
	s_cbranch_scc1 .LBB21_16
.LBB21_17:
	s_lshl_b32 s4, s8, 2
	s_add_i32 s5, s4, s11
	v_mov_b32_e32 v27, s5
	ds_read2_b32 v[25:26], v27 offset1:84
	s_add_i32 s5, s11, 0x50
	s_add_i32 s12, s4, s5
	v_mov_b32_e32 v19, s12
	s_add_i32 s12, s11, 0xa0
	s_add_i32 s13, s4, s12
	ds_read_b64 v[21:22], v19
	s_waitcnt lgkmcnt(1)
	v_mul_f32_e32 v28, v15, v25
	v_mov_b32_e32 v15, s13
	ds_write_b32 v18, v28
	ds_read_b96 v[18:20], v15
	s_waitcnt lgkmcnt(2)
	v_fma_f32 v15, -v28, v21, v16
	v_mul_f32_e32 v29, v15, v22
	v_add_u32_e32 v15, s5, v17
	s_add_i32 s5, s11, 0xf0
	s_waitcnt lgkmcnt(0)
	v_fma_f32 v13, -v28, v18, v13
	v_fma_f32 v13, -v29, v19, v13
	v_mul_f32_e32 v30, v13, v20
	v_add_u32_e32 v13, s12, v17
	s_add_i32 s12, s4, s5
	ds_write_b32 v13, v30
	v_mov_b32_e32 v13, s12
	ds_read_b128 v[18:21], v13
	s_add_i32 s12, s11, 0x140
	s_add_i32 s13, s4, s12
	v_mov_b32_e32 v13, s13
	ds_read_b128 v[22:25], v13
	s_waitcnt lgkmcnt(1)
	v_fma_f32 v13, -v28, v18, v14
	v_fma_f32 v13, -v29, v19, v13
	;; [unrolled: 1-line block ×3, first 2 shown]
	v_mul_f32_e32 v31, v13, v21
	v_add_u32_e32 v13, s5, v17
	s_add_i32 s5, s11, 0x190
	s_add_i32 s13, s4, s5
	v_mov_b32_e32 v18, s13
	ds_write_b32 v15, v29
	ds_write_b32 v13, v31
	s_waitcnt lgkmcnt(2)
	v_fma_f32 v11, -v28, v22, v11
	ds_read_b128 v[13:16], v18
	v_fma_f32 v11, -v29, v23, v11
	v_fma_f32 v11, -v30, v24, v11
	v_fma_f32 v11, -v31, v25, v11
	v_mul_f32_e32 v23, v11, v26
	v_add_u32_e32 v11, s12, v17
	ds_read_b64 v[18:19], v18 offset:16
	ds_write_b32 v11, v23
	s_waitcnt lgkmcnt(2)
	v_fma_f32 v11, -v28, v13, v12
	v_fma_f32 v11, -v29, v14, v11
	s_add_i32 s12, s11, 0x1e0
	v_fma_f32 v11, -v30, v15, v11
	s_add_i32 s13, s4, s12
	v_fma_f32 v11, -v31, v16, v11
	v_mov_b32_e32 v16, s13
	s_waitcnt lgkmcnt(1)
	v_fma_f32 v15, -v23, v18, v11
	ds_read_b128 v[11:14], v16
	v_mul_f32_e32 v24, v15, v19
	v_add_u32_e32 v15, s5, v17
	ds_read_b96 v[18:20], v16 offset:16
	s_add_i32 s5, s11, 0x230
	s_waitcnt lgkmcnt(1)
	v_fma_f32 v9, -v28, v11, v9
	v_fma_f32 v9, -v29, v12, v9
	s_add_i32 s13, s4, s5
	ds_write_b32 v15, v24
	v_fma_f32 v9, -v30, v13, v9
	v_mov_b32_e32 v15, s13
	v_fma_f32 v9, -v31, v14, v9
	ds_read_b128 v[11:14], v15
	s_waitcnt lgkmcnt(2)
	v_fma_f32 v9, -v23, v18, v9
	v_fma_f32 v9, -v24, v19, v9
	v_mul_f32_e32 v25, v9, v20
	v_add_u32_e32 v9, s12, v17
	ds_read_b128 v[18:21], v15 offset:16
	ds_write_b32 v9, v25
	s_waitcnt lgkmcnt(2)
	v_fma_f32 v9, -v28, v11, v10
	v_fma_f32 v9, -v29, v12, v9
	;; [unrolled: 1-line block ×4, first 2 shown]
	s_add_i32 s12, s11, 0x280
	s_waitcnt lgkmcnt(1)
	v_fma_f32 v9, -v23, v18, v9
	s_add_i32 s13, s4, s12
	v_fma_f32 v9, -v24, v19, v9
	v_mov_b32_e32 v14, s13
	v_fma_f32 v13, -v25, v20, v9
	ds_read_b128 v[9:12], v14
	v_mul_f32_e32 v26, v13, v21
	v_add_u32_e32 v13, s5, v17
	ds_write_b32 v13, v26
	ds_read_b128 v[13:16], v14 offset:16
	s_waitcnt lgkmcnt(2)
	v_fma_f32 v7, -v28, v9, v7
	v_fma_f32 v7, -v29, v10, v7
	v_fma_f32 v7, -v30, v11, v7
	v_fma_f32 v7, -v31, v12, v7
	ds_read2_b32 v[21:22], v27 offset0:168 offset1:252
	s_waitcnt lgkmcnt(1)
	v_fma_f32 v7, -v23, v13, v7
	v_fma_f32 v7, -v24, v14, v7
	;; [unrolled: 1-line block ×3, first 2 shown]
	s_add_i32 s5, s11, 0x2d0
	v_fma_f32 v7, -v26, v16, v7
	s_add_i32 s13, s4, s5
	s_waitcnt lgkmcnt(0)
	v_mul_f32_e32 v27, v7, v21
	v_mov_b32_e32 v7, s13
	ds_read_b128 v[9:12], v7
	v_add_u32_e32 v13, s12, v17
	ds_write_b32 v13, v27
	ds_read_b128 v[13:16], v7 offset:16
	ds_read_b64 v[18:19], v7 offset:32
	s_add_i32 s12, s11, 0x320
	s_waitcnt lgkmcnt(3)
	v_fma_f32 v7, -v28, v9, v8
	v_fma_f32 v7, -v29, v10, v7
	;; [unrolled: 1-line block ×4, first 2 shown]
	s_waitcnt lgkmcnt(1)
	v_fma_f32 v7, -v23, v13, v7
	v_fma_f32 v7, -v24, v14, v7
	s_add_i32 s13, s4, s12
	v_fma_f32 v7, -v25, v15, v7
	v_mov_b32_e32 v15, s13
	v_fma_f32 v11, -v26, v16, v7
	ds_read_b128 v[7:10], v15
	s_waitcnt lgkmcnt(1)
	v_fma_f32 v11, -v27, v18, v11
	v_mul_f32_e32 v32, v11, v19
	v_add_u32_e32 v11, s5, v17
	ds_write_b32 v11, v32
	ds_read_b128 v[11:14], v15 offset:16
	ds_read_b96 v[18:20], v15 offset:32
	s_waitcnt lgkmcnt(3)
	v_fma_f32 v5, -v28, v7, v5
	v_fma_f32 v5, -v29, v8, v5
	;; [unrolled: 1-line block ×4, first 2 shown]
	s_waitcnt lgkmcnt(1)
	v_fma_f32 v5, -v23, v11, v5
	v_fma_f32 v5, -v24, v12, v5
	;; [unrolled: 1-line block ×4, first 2 shown]
	s_waitcnt lgkmcnt(0)
	v_fma_f32 v5, -v27, v18, v5
	s_add_i32 s5, s11, 0x370
	v_fma_f32 v5, -v32, v19, v5
	s_add_i32 s13, s4, s5
	v_mul_f32_e32 v33, v5, v20
	v_mov_b32_e32 v5, s13
	ds_read_b128 v[7:10], v5
	v_add_u32_e32 v11, s12, v17
	ds_write_b32 v11, v33
	ds_read_b128 v[11:14], v5 offset:16
	ds_read_b128 v[18:21], v5 offset:32
	s_add_i32 s12, s11, 0x3c0
	s_waitcnt lgkmcnt(3)
	v_fma_f32 v5, -v28, v7, v6
	v_fma_f32 v5, -v29, v8, v5
	;; [unrolled: 1-line block ×4, first 2 shown]
	s_waitcnt lgkmcnt(1)
	v_fma_f32 v5, -v23, v11, v5
	v_fma_f32 v5, -v24, v12, v5
	;; [unrolled: 1-line block ×3, first 2 shown]
	s_add_i32 s13, s4, s12
	v_fma_f32 v9, -v26, v14, v5
	v_mov_b32_e32 v13, s13
	ds_read_b128 v[5:8], v13
	s_waitcnt lgkmcnt(1)
	v_fma_f32 v9, -v27, v18, v9
	v_fma_f32 v9, -v32, v19, v9
	;; [unrolled: 1-line block ×3, first 2 shown]
	v_mul_f32_e32 v34, v9, v21
	v_add_u32_e32 v9, s5, v17
	ds_write_b32 v9, v34
	ds_read_b128 v[9:12], v13 offset:16
	ds_read_b128 v[13:16], v13 offset:32
	s_waitcnt lgkmcnt(3)
	v_fma_f32 v3, -v28, v5, v3
	v_fma_f32 v3, -v29, v6, v3
	v_fma_f32 v3, -v30, v7, v3
	v_fma_f32 v3, -v31, v8, v3
	s_waitcnt lgkmcnt(1)
	v_fma_f32 v3, -v23, v9, v3
	v_fma_f32 v3, -v24, v10, v3
	v_fma_f32 v3, -v25, v11, v3
	v_fma_f32 v3, -v26, v12, v3
	;; [unrolled: 5-line block ×3, first 2 shown]
	s_add_i32 s5, s11, 0x410
	v_mul_f32_e32 v22, v3, v22
	v_add_u32_e32 v3, s12, v17
	s_add_i32 s12, s4, s5
	v_mov_b32_e32 v18, s12
	ds_read_b128 v[5:8], v18
	ds_write_b32 v3, v22
	ds_read_b128 v[9:12], v18 offset:16
	ds_read_b128 v[13:16], v18 offset:32
	ds_read_b64 v[18:19], v18 offset:48
	s_add_i32 s8, s8, 16
	s_waitcnt lgkmcnt(4)
	v_fma_f32 v3, -v28, v5, v4
	v_fma_f32 v3, -v29, v6, v3
	;; [unrolled: 1-line block ×4, first 2 shown]
	s_waitcnt lgkmcnt(2)
	v_fma_f32 v3, -v23, v9, v3
	v_fma_f32 v3, -v24, v10, v3
	;; [unrolled: 1-line block ×4, first 2 shown]
	s_waitcnt lgkmcnt(1)
	v_fma_f32 v3, -v27, v13, v3
	v_fma_f32 v3, -v32, v14, v3
	;; [unrolled: 1-line block ×3, first 2 shown]
	v_add_u32_e32 v7, s5, v17
	s_add_i32 s5, s11, 0x460
	v_fma_f32 v3, -v34, v16, v3
	s_add_i32 s12, s4, s5
	s_waitcnt lgkmcnt(0)
	v_fma_f32 v3, -v22, v18, v3
	v_mov_b32_e32 v16, s12
	v_mul_f32_e32 v15, v3, v19
	ds_read_b128 v[3:6], v16
	ds_write_b32 v7, v15
	ds_read_b128 v[7:10], v16 offset:16
	ds_read_b128 v[11:14], v16 offset:32
	ds_read_b96 v[18:20], v16 offset:48
	s_addk_i32 s11, 0x4b0
	s_add_i32 s4, s4, s11
	s_waitcnt lgkmcnt(4)
	v_fma_f32 v1, -v28, v3, v1
	v_fma_f32 v1, -v29, v4, v1
	;; [unrolled: 1-line block ×4, first 2 shown]
	s_waitcnt lgkmcnt(2)
	v_fma_f32 v1, -v23, v7, v1
	v_fma_f32 v1, -v24, v8, v1
	;; [unrolled: 1-line block ×4, first 2 shown]
	s_waitcnt lgkmcnt(1)
	v_fma_f32 v1, -v27, v11, v1
	v_fma_f32 v1, -v32, v12, v1
	v_mov_b32_e32 v16, s4
	v_fma_f32 v1, -v33, v13, v1
	ds_read_b128 v[3:6], v16
	v_fma_f32 v1, -v34, v14, v1
	s_waitcnt lgkmcnt(1)
	v_fma_f32 v1, -v22, v18, v1
	v_fma_f32 v1, -v15, v19, v1
	v_mul_f32_e32 v1, v1, v20
	v_add_u32_e32 v7, s5, v17
	ds_write_b32 v7, v1
	s_waitcnt lgkmcnt(1)
	v_fma_f32 v2, -v28, v3, v2
	ds_read_b128 v[7:10], v16 offset:16
	ds_read_b128 v[11:14], v16 offset:32
	;; [unrolled: 1-line block ×3, first 2 shown]
	v_fma_f32 v2, -v29, v4, v2
	v_fma_f32 v2, -v30, v5, v2
	v_fma_f32 v2, -v31, v6, v2
	s_waitcnt lgkmcnt(2)
	v_fma_f32 v2, -v23, v7, v2
	v_fma_f32 v2, -v24, v8, v2
	v_fma_f32 v2, -v25, v9, v2
	v_fma_f32 v2, -v26, v10, v2
	s_waitcnt lgkmcnt(1)
	v_fma_f32 v2, -v27, v11, v2
	;; [unrolled: 5-line block ×3, first 2 shown]
	v_fma_f32 v2, -v15, v19, v2
	v_fma_f32 v1, -v1, v20, v2
	v_mul_f32_e32 v1, v1, v21
	v_add_u32_e32 v2, s11, v17
	ds_write_b32 v2, v1
.LBB21_18:
	s_cmp_ge_i32 s8, s16
	s_cbranch_scc1 .LBB21_23
; %bb.19:
	v_mov_b32_e32 v1, 0x640
	s_mul_i32 s4, s8, 0x50
	v_lshl_add_u32 v1, v0, 2, v1
	s_branch .LBB21_21
.LBB21_20:                              ;   in Loop: Header=BB21_21 Depth=1
	s_mul_i32 s5, s8, 0x54
	v_mov_b32_e32 v4, s5
	ds_read_b32 v4, v4
	s_add_i32 s8, s8, 1
	s_addk_i32 s4, 0x50
	s_cmp_ge_i32 s8, s16
	s_waitcnt lgkmcnt(0)
	v_mul_f32_e32 v3, v3, v4
	ds_write_b32 v2, v3
	s_cbranch_scc1 .LBB21_23
.LBB21_21:                              ; =>This Loop Header: Depth=1
                                        ;     Child Loop BB21_22 Depth 2
	s_mul_i32 s5, s8, 0x50
	v_add_u32_e32 v2, s5, v17
	ds_read_b32 v3, v2
	s_cmp_eq_u32 s8, 0
	v_mov_b32_e32 v4, v1
	s_mov_b32 s5, s8
	s_mov_b32 s11, s4
	s_cbranch_scc1 .LBB21_20
.LBB21_22:                              ;   Parent Loop BB21_21 Depth=1
                                        ; =>  This Inner Loop Header: Depth=2
	v_mov_b32_e32 v6, s11
	ds_read_b32 v5, v4
	ds_read_b32 v6, v6
	s_add_i32 s11, s11, 4
	s_add_i32 s5, s5, -1
	v_add_u32_e32 v4, 0x50, v4
	s_cmp_lg_u32 s5, 0
	s_waitcnt lgkmcnt(0)
	v_fma_f32 v3, -v5, v6, v3
	s_cbranch_scc1 .LBB21_22
	s_branch .LBB21_20
.LBB21_23:
	s_mov_b64 s[4:5], 0
.LBB21_24:
	s_and_b64 vcc, exec, s[4:5]
	s_cbranch_vccz .LBB21_50
; %bb.25:
	s_add_i32 s4, s16, -1
	s_cmp_gt_i32 s10, 19
	s_mov_b32 s5, -1
	s_cbranch_scc0 .LBB21_27
; %bb.26:
	v_add_u32_e32 v2, 0x400, v17
	ds_read2_b32 v[10:11], v2 offset0:104 offset1:124
	ds_read2_b32 v[18:19], v2 offset0:64 offset1:84
	;; [unrolled: 1-line block ×3, first 2 shown]
	v_add_u32_e32 v3, 0x200, v17
	v_mov_b32_e32 v1, 0
	ds_read2_b32 v[28:29], v3 offset0:112 offset1:132
	ds_read2_b32 v[30:31], v17 offset0:200 offset1:220
	;; [unrolled: 1-line block ×4, first 2 shown]
	ds_read_b128 v[6:9], v1 offset:1584
	ds_read2_b32 v[36:37], v17 offset0:80 offset1:100
	ds_read2_b32 v[38:39], v17 offset0:40 offset1:60
	ds_read2_b32 v[40:41], v17 offset1:20
	ds_read_b96 v[22:24], v1 offset:1504
	s_waitcnt lgkmcnt(4)
	v_mul_f32_e32 v4, v11, v9
	v_fma_f32 v5, -v4, v8, v10
	ds_read_b64 v[42:43], v1 offset:1424
	ds_read_b128 v[8:11], v1 offset:1488
	v_fma_f32 v7, -v4, v7, v19
	s_waitcnt lgkmcnt(2)
	v_mul_f32_e32 v5, v5, v24
	v_fma_f32 v7, -v5, v23, v7
	ds_read_b128 v[12:15], v1 offset:1440
	v_fma_f32 v6, -v4, v6, v18
	ds_read_b128 v[18:21], v1 offset:1568
	s_waitcnt lgkmcnt(3)
	v_mul_f32_e32 v16, v7, v43
	v_fma_f32 v6, -v5, v22, v6
	ds_read_b32 v7, v1 offset:1344
	ds_read_b128 v[22:25], v1 offset:1552
	v_fma_f32 v6, -v16, v42, v6
	s_waitcnt lgkmcnt(2)
	v_fma_f32 v27, -v4, v21, v27
	v_fma_f32 v42, -v4, v20, v26
	v_fma_f32 v43, -v4, v19, v29
	v_fma_f32 v44, -v4, v18, v28
	ds_read_b128 v[18:21], v1 offset:1536
	s_waitcnt lgkmcnt(1)
	v_fma_f32 v31, -v4, v25, v31
	v_fma_f32 v30, -v4, v24, v30
	v_fma_f32 v33, -v4, v23, v33
	v_fma_f32 v32, -v4, v22, v32
	ds_read_b128 v[22:25], v1 offset:1520
	;; [unrolled: 6-line block ×4, first 2 shown]
	v_mul_f32_e32 v49, v6, v7
	v_fma_f32 v6, -v5, v11, v27
	s_waitcnt lgkmcnt(1)
	v_fma_f32 v6, -v16, v21, v6
	ds_read_b128 v[26:29], v1 offset:1392
	s_waitcnt lgkmcnt(1)
	v_fma_f32 v11, -v49, v25, v6
	v_fma_f32 v21, -v5, v9, v43
	;; [unrolled: 1-line block ×3, first 2 shown]
	ds_read_b128 v[6:9], v1 offset:1248
	v_fma_f32 v10, -v5, v10, v42
	v_fma_f32 v10, -v16, v20, v10
	;; [unrolled: 1-line block ×4, first 2 shown]
	ds_read_b128 v[18:21], v1 offset:1280
	s_waitcnt lgkmcnt(1)
	v_mul_f32_e32 v42, v11, v9
	v_fma_f32 v9, -v49, v24, v10
	v_fma_f32 v10, -v49, v23, v34
	;; [unrolled: 1-line block ×3, first 2 shown]
	ds_read_b128 v[22:25], v1 offset:1472
	v_fma_f32 v43, -v42, v7, v10
	v_fma_f32 v37, -v42, v8, v9
	;; [unrolled: 1-line block ×3, first 2 shown]
	ds_read_b128 v[6:9], v1 offset:1456
	s_waitcnt lgkmcnt(1)
	v_fma_f32 v10, -v5, v25, v31
	v_fma_f32 v10, -v16, v29, v10
	;; [unrolled: 1-line block ×5, first 2 shown]
	ds_read_b128 v[22:25], v1 offset:1312
	v_fma_f32 v11, -v16, v28, v11
	v_fma_f32 v34, -v16, v27, v29
	;; [unrolled: 1-line block ×3, first 2 shown]
	ds_read_b128 v[26:29], v1 offset:1296
	ds_read_b128 v[30:33], v1 offset:1232
	s_waitcnt lgkmcnt(2)
	v_fma_f32 v10, -v49, v25, v10
	v_fma_f32 v11, -v49, v24, v11
	;; [unrolled: 1-line block ×4, first 2 shown]
	ds_read_b96 v[34:36], v1 offset:1168
	ds_read_b128 v[22:25], v1 offset:1152
	s_waitcnt lgkmcnt(2)
	v_fma_f32 v10, -v42, v33, v10
	v_fma_f32 v11, -v42, v32, v11
	v_fma_f32 v50, -v42, v31, v50
	s_waitcnt lgkmcnt(1)
	v_mul_f32_e32 v52, v37, v36
	v_fma_f32 v51, -v42, v30, v51
	s_waitcnt lgkmcnt(0)
	v_fma_f32 v25, -v52, v25, v10
	v_fma_f32 v24, -v52, v24, v11
	ds_read_b64 v[10:11], v1 offset:1088
	ds_read_b128 v[30:33], v1 offset:1072
	v_fma_f32 v35, -v52, v35, v43
	v_fma_f32 v23, -v52, v23, v50
	;; [unrolled: 1-line block ×3, first 2 shown]
	s_waitcnt lgkmcnt(1)
	v_mul_f32_e32 v43, v35, v11
	s_waitcnt lgkmcnt(0)
	v_fma_f32 v11, -v43, v33, v25
	v_fma_f32 v50, -v43, v32, v24
	;; [unrolled: 1-line block ×4, first 2 shown]
	ds_read_b32 v35, v1 offset:1008
	ds_read_b128 v[22:25], v1 offset:992
	v_fma_f32 v34, -v52, v34, v44
	v_fma_f32 v10, -v43, v10, v34
	ds_read_b128 v[30:33], v1 offset:1216
	s_waitcnt lgkmcnt(2)
	v_mul_f32_e32 v44, v10, v35
	ds_read_b128 v[34:37], v1 offset:912
	s_waitcnt lgkmcnt(2)
	v_fma_f32 v10, -v44, v25, v11
	v_fma_f32 v11, -v44, v24, v50
	;; [unrolled: 1-line block ×4, first 2 shown]
	ds_read_b128 v[22:25], v1 offset:1200
	s_waitcnt lgkmcnt(1)
	v_mul_f32_e32 v53, v10, v37
	v_fma_f32 v54, -v53, v36, v11
	v_fma_f32 v50, -v53, v35, v50
	;; [unrolled: 1-line block ×3, first 2 shown]
	ds_read_b128 v[34:37], v1 offset:1376
	v_fma_f32 v10, -v5, v9, v45
	v_fma_f32 v11, -v5, v8, v46
	;; [unrolled: 1-line block ×4, first 2 shown]
	s_waitcnt lgkmcnt(0)
	v_fma_f32 v10, -v16, v37, v10
	v_fma_f32 v11, -v16, v36, v11
	v_fma_f32 v45, -v16, v35, v45
	v_fma_f32 v46, -v16, v34, v46
	v_fma_f32 v10, -v49, v29, v10
	v_fma_f32 v11, -v49, v28, v11
	v_fma_f32 v45, -v49, v27, v45
	v_fma_f32 v46, -v49, v26, v46
	v_fma_f32 v47, -v42, v33, v10
	v_fma_f32 v48, -v42, v32, v11
	v_fma_f32 v45, -v42, v31, v45
	v_fma_f32 v46, -v42, v30, v46
	ds_read_b128 v[30:33], v1 offset:1360
	v_fma_f32 v15, -v5, v15, v39
	v_fma_f32 v14, -v5, v14, v38
	;; [unrolled: 1-line block ×4, first 2 shown]
	s_waitcnt lgkmcnt(0)
	v_fma_f32 v15, -v16, v33, v15
	v_fma_f32 v14, -v16, v32, v14
	;; [unrolled: 1-line block ×4, first 2 shown]
	ds_read_b128 v[6:9], v1 offset:1136
	ds_read_b128 v[34:37], v1 offset:1120
	;; [unrolled: 1-line block ×5, first 2 shown]
	v_fma_f32 v15, -v49, v21, v15
	v_fma_f32 v14, -v49, v20, v14
	;; [unrolled: 1-line block ×4, first 2 shown]
	ds_read_b128 v[18:21], v1 offset:960
	ds_write2_b32 v2, v5, v4 offset0:104 offset1:124
	ds_write2_b32 v2, v49, v16 offset0:64 offset1:84
	;; [unrolled: 1-line block ×4, first 2 shown]
	v_fma_f32 v25, -v42, v25, v15
	v_fma_f32 v24, -v42, v24, v14
	ds_read_b96 v[14:16], v1 offset:832
	ds_read_b128 v[2:5], v1 offset:816
	v_fma_f32 v23, -v42, v23, v38
	v_fma_f32 v22, -v42, v22, v39
	s_waitcnt lgkmcnt(11)
	v_fma_f32 v40, -v52, v7, v45
	s_waitcnt lgkmcnt(1)
	v_mul_f32_e32 v42, v54, v16
	v_fma_f32 v41, -v52, v6, v46
	v_fma_f32 v16, -v42, v15, v50
	;; [unrolled: 1-line block ×3, first 2 shown]
	ds_read_b64 v[14:15], v1 offset:752
	ds_read_b32 v46, v1 offset:672
	v_fma_f32 v38, -v52, v9, v47
	v_fma_f32 v39, -v52, v8, v48
	;; [unrolled: 1-line block ×3, first 2 shown]
	s_waitcnt lgkmcnt(1)
	v_mul_f32_e32 v51, v16, v15
	v_fma_f32 v14, -v51, v14, v45
	s_waitcnt lgkmcnt(0)
	v_mul_f32_e32 v45, v14, v46
	v_fma_f32 v14, -v43, v29, v38
	v_fma_f32 v14, -v44, v33, v14
	;; [unrolled: 1-line block ×5, first 2 shown]
	ds_read_b128 v[26:29], v1 offset:896
	v_fma_f32 v15, -v44, v32, v15
	v_fma_f32 v16, -v44, v31, v16
	v_fma_f32 v34, -v44, v30, v33
	ds_read_b128 v[30:33], v1 offset:880
	s_waitcnt lgkmcnt(1)
	v_fma_f32 v14, -v53, v29, v14
	ds_read_b128 v[6:9], v1 offset:800
	v_fma_f32 v14, -v42, v5, v14
	v_fma_f32 v5, -v53, v28, v15
	v_fma_f32 v15, -v53, v27, v16
	v_fma_f32 v16, -v53, v26, v34
	ds_read_b128 v[26:29], v1 offset:736
	v_fma_f32 v47, -v52, v37, v25
	v_fma_f32 v48, -v52, v36, v24
	;; [unrolled: 1-line block ×3, first 2 shown]
	ds_read_b128 v[22:25], v1 offset:656
	v_fma_f32 v34, -v42, v4, v5
	v_fma_f32 v15, -v42, v3, v15
	;; [unrolled: 1-line block ×3, first 2 shown]
	s_waitcnt lgkmcnt(1)
	v_fma_f32 v14, -v51, v29, v14
	ds_read_b128 v[2:5], v1 offset:720
	s_waitcnt lgkmcnt(1)
	v_fma_f32 v14, -v45, v25, v14
	v_fma_f32 v29, -v51, v28, v34
	;; [unrolled: 1-line block ×4, first 2 shown]
	ds_read_b128 v[25:28], v1 offset:576
	ds_read_b128 v[34:37], v1 offset:640
	v_fma_f32 v23, -v45, v23, v15
	v_fma_f32 v22, -v45, v22, v16
	;; [unrolled: 1-line block ×3, first 2 shown]
	s_waitcnt lgkmcnt(1)
	v_mul_f32_e32 v38, v14, v28
	ds_read_b96 v[14:16], v1 offset:496
	v_fma_f32 v24, -v38, v27, v24
	v_fma_f32 v23, -v38, v26, v23
	ds_read_b64 v[26:27], v1 offset:416
	v_fma_f32 v28, -v43, v13, v47
	v_fma_f32 v29, -v43, v12, v48
	v_fma_f32 v39, -v43, v11, v49
	v_fma_f32 v40, -v43, v10, v50
	ds_read_b128 v[10:13], v1 offset:560
	s_waitcnt lgkmcnt(2)
	v_mul_f32_e32 v16, v24, v16
	v_fma_f32 v22, -v38, v25, v22
	v_fma_f32 v15, -v16, v15, v23
	;; [unrolled: 1-line block ×3, first 2 shown]
	ds_read_b128 v[22:25], v1 offset:480
	s_waitcnt lgkmcnt(2)
	v_mul_f32_e32 v15, v15, v27
	ds_write2_b32 v17, v42, v53 offset0:200 offset1:220
	ds_write2_b32 v17, v45, v51 offset0:160 offset1:180
	ds_write2_b32 v17, v16, v38 offset0:120 offset1:140
	v_fma_f32 v14, -v15, v26, v14
	ds_read_b32 v26, v1 offset:336
	v_fma_f32 v27, -v44, v21, v28
	v_fma_f32 v28, -v44, v20, v29
	;; [unrolled: 1-line block ×4, first 2 shown]
	ds_read_b128 v[18:21], v1 offset:400
	s_waitcnt lgkmcnt(1)
	v_mul_f32_e32 v14, v14, v26
	v_fma_f32 v26, -v53, v33, v27
	v_fma_f32 v9, -v42, v9, v26
	;; [unrolled: 1-line block ×7, first 2 shown]
	ds_write2_b32 v17, v14, v15 offset0:80 offset1:100
	v_fma_f32 v31, -v42, v7, v5
	v_fma_f32 v5, -v53, v30, v39
	;; [unrolled: 1-line block ×3, first 2 shown]
	ds_read_b128 v[5:8], v1 offset:320
	ds_read_b128 v[26:29], v1 offset:240
	v_fma_f32 v4, -v51, v4, v32
	v_fma_f32 v9, -v38, v13, v9
	v_fma_f32 v4, -v45, v36, v4
	v_fma_f32 v9, -v16, v25, v9
	v_fma_f32 v4, -v38, v12, v4
	s_waitcnt lgkmcnt(3)
	v_fma_f32 v9, -v15, v21, v9
	v_fma_f32 v4, -v16, v24, v4
	s_waitcnt lgkmcnt(1)
	v_fma_f32 v8, -v14, v8, v9
	v_fma_f32 v4, -v15, v20, v4
	s_waitcnt lgkmcnt(0)
	v_mul_f32_e32 v13, v8, v29
	v_fma_f32 v4, -v14, v7, v4
	ds_read_b96 v[7:9], v1 offset:160
	v_fma_f32 v4, -v13, v28, v4
	v_fma_f32 v12, -v51, v3, v31
	;; [unrolled: 1-line block ×3, first 2 shown]
	ds_read_b64 v[2:3], v1 offset:80
	s_waitcnt lgkmcnt(1)
	v_mul_f32_e32 v4, v4, v9
	v_fma_f32 v9, -v45, v35, v12
	v_fma_f32 v9, -v38, v11, v9
	;; [unrolled: 1-line block ×7, first 2 shown]
	s_waitcnt lgkmcnt(0)
	v_mul_f32_e32 v3, v6, v3
	v_fma_f32 v6, -v45, v34, v20
	v_fma_f32 v6, -v38, v10, v6
	;; [unrolled: 1-line block ×3, first 2 shown]
	ds_read_b32 v1, v1
	v_fma_f32 v6, -v15, v18, v6
	v_fma_f32 v5, -v14, v5, v6
	;; [unrolled: 1-line block ×3, first 2 shown]
	ds_write2_b32 v17, v4, v13 offset0:40 offset1:60
	v_fma_f32 v4, -v4, v7, v5
	v_fma_f32 v2, -v3, v2, v4
	s_waitcnt lgkmcnt(1)
	v_mul_f32_e32 v1, v2, v1
	ds_write2_b32 v17, v1, v3 offset1:20
	s_cmp_gt_i32 s5, -1
	s_cbranch_scc1 .LBB21_28
	s_branch .LBB21_50
.LBB21_27:
	s_mov_b32 s5, s4
	s_cmp_gt_i32 s5, -1
	s_cbranch_scc0 .LBB21_50
.LBB21_28:
	s_cmp_lt_u32 s5, 15
	s_cbranch_scc1 .LBB21_33
; %bb.29:
	s_mul_i32 s8, s5, 0x50
	v_add_u32_e32 v4, s8, v17
	v_add_u32_e32 v1, 0xffffffb0, v4
	;; [unrolled: 1-line block ×8, first 2 shown]
	ds_read_b32 v5, v4
	ds_read_b32 v18, v1
	;; [unrolled: 1-line block ×8, first 2 shown]
	v_add_u32_e32 v1, 0xfffffd80, v4
	v_add_u32_e32 v2, 0xfffffd30, v4
	;; [unrolled: 1-line block ×8, first 2 shown]
	ds_read_b32 v12, v1
	ds_read_b32 v11, v2
	;; [unrolled: 1-line block ×8, first 2 shown]
	s_cmp_le_i32 s4, s5
	s_cbranch_scc1 .LBB21_32
; %bb.30:
	s_mul_i32 s10, s16, 0x50
	s_lshl_b32 s11, s5, 2
	v_lshl_add_u32 v19, v0, 2, s10
	s_add_i32 s10, s10, s11
	v_add_u32_e32 v19, 0x5f0, v19
	s_addk_i32 s10, 0xff74
	s_mov_b32 s11, s4
.LBB21_31:                              ; =>This Inner Loop Header: Depth=1
	v_mov_b32_e32 v34, s10
	ds_read_b32 v36, v19
	ds_read2_b32 v[20:21], v34 offset0:14 offset1:15
	ds_read2_b32 v[22:23], v34 offset0:12 offset1:13
	;; [unrolled: 1-line block ×7, first 2 shown]
	ds_read2_b32 v[34:35], v34 offset1:1
	s_add_i32 s11, s11, -1
	s_addk_i32 s10, 0xffb0
	v_add_u32_e32 v19, 0xffffffb0, v19
	s_cmp_gt_i32 s11, s5
	s_waitcnt lgkmcnt(7)
	v_fma_f32 v5, -v36, v21, v5
	v_fma_f32 v18, -v36, v20, v18
	s_waitcnt lgkmcnt(6)
	v_fma_f32 v6, -v36, v23, v6
	v_fma_f32 v7, -v36, v22, v7
	;; [unrolled: 3-line block ×8, first 2 shown]
	s_cbranch_scc1 .LBB21_31
.LBB21_32:
	s_lshl_b32 s10, s5, 2
	s_add_i32 s11, s10, -4
	s_add_i32 s11, s11, s8
	v_mov_b32_e32 v19, s11
	ds_read2_b32 v[19:20], v19 offset1:1
	s_addk_i32 s11, 0xffb0
	v_mov_b32_e32 v21, s11
	s_add_i32 s11, s8, 0xffffffb0
	s_add_i32 s13, s10, -12
	s_add_i32 s14, s13, s8
	s_add_i32 s12, s13, s11
	v_mov_b32_e32 v22, s14
	v_mov_b32_e32 v23, s12
	ds_read_b32 v25, v21
	ds_read2_b32 v[21:22], v22 offset1:1
	ds_read2_b32 v[23:24], v23 offset1:1
	s_waitcnt lgkmcnt(3)
	v_mul_f32_e32 v5, v5, v20
	ds_write_b32 v4, v5
	v_fma_f32 v4, -v5, v19, v18
	s_add_i32 s12, s8, 0xffffff60
	s_waitcnt lgkmcnt(3)
	v_mul_f32_e32 v4, v4, v25
	v_add_u32_e32 v18, s11, v17
	s_add_i32 s13, s13, s12
	ds_write_b32 v18, v4
	v_mov_b32_e32 v18, s13
	ds_read2_b32 v[18:19], v18 offset1:1
	s_add_i32 s13, s14, 0xffffff10
	s_sub_i32 s15, s10, 20
	v_mov_b32_e32 v20, s13
	s_add_i32 s13, s15, s11
	s_waitcnt lgkmcnt(4)
	v_fma_f32 v6, -v5, v22, v6
	s_add_i32 s17, s15, s8
	v_mov_b32_e32 v26, s13
	s_waitcnt lgkmcnt(3)
	v_fma_f32 v6, -v4, v24, v6
	v_mov_b32_e32 v22, s17
	ds_read_b32 v20, v20
	ds_read2_b32 v[24:25], v22 offset1:1
	ds_read2_b32 v[26:27], v26 offset1:1
	v_fma_f32 v7, -v5, v21, v7
	s_waitcnt lgkmcnt(3)
	v_mul_f32_e32 v6, v6, v19
	v_fma_f32 v7, -v4, v23, v7
	v_fma_f32 v7, -v6, v18, v7
	s_add_i32 s13, s8, 0xffffff10
	s_waitcnt lgkmcnt(2)
	v_mul_f32_e32 v7, v7, v20
	v_add_u32_e32 v18, s13, v17
	s_add_i32 s14, s15, s12
	ds_write_b32 v18, v7
	v_mov_b32_e32 v18, s14
	s_add_i32 s14, s15, s13
	v_mov_b32_e32 v20, s14
	s_add_i32 s14, s8, 0xfffffec0
	v_add_u32_e32 v19, s12, v17
	s_add_i32 s15, s15, s14
	ds_write_b32 v19, v6
	v_mov_b32_e32 v22, s15
	ds_read2_b32 v[18:19], v18 offset1:1
	ds_read2_b32 v[20:21], v20 offset1:1
	;; [unrolled: 1-line block ×3, first 2 shown]
	s_add_i32 s15, s17, 0xfffffe70
	s_waitcnt lgkmcnt(6)
	v_fma_f32 v16, -v5, v25, v16
	v_mov_b32_e32 v25, s15
	s_waitcnt lgkmcnt(5)
	v_fma_f32 v16, -v4, v27, v16
	ds_read_b32 v25, v25
	v_fma_f32 v15, -v5, v24, v15
	s_waitcnt lgkmcnt(3)
	v_fma_f32 v16, -v6, v19, v16
	v_fma_f32 v15, -v4, v26, v15
	s_sub_i32 s18, s10, 28
	s_waitcnt lgkmcnt(2)
	v_fma_f32 v16, -v7, v21, v16
	v_fma_f32 v15, -v6, v18, v15
	s_add_i32 s17, s18, s11
	s_waitcnt lgkmcnt(1)
	v_mul_f32_e32 v35, v16, v23
	v_fma_f32 v15, -v7, v20, v15
	v_mov_b32_e32 v18, s17
	s_add_i32 s17, s18, s12
	v_add_u32_e32 v16, s14, v17
	v_fma_f32 v15, -v35, v22, v15
	s_add_i32 s19, s18, s8
	v_mov_b32_e32 v20, s17
	s_add_i32 s17, s18, s13
	ds_write_b32 v16, v35
	s_waitcnt lgkmcnt(1)
	v_mul_f32_e32 v36, v15, v25
	v_mov_b32_e32 v15, s19
	v_mov_b32_e32 v22, s17
	ds_read2_b32 v[15:16], v15 offset1:1
	ds_read2_b32 v[18:19], v18 offset1:1
	;; [unrolled: 1-line block ×4, first 2 shown]
	s_add_i32 s15, s8, 0xfffffe70
	s_add_i32 s17, s18, s14
	s_waitcnt lgkmcnt(3)
	v_fma_f32 v14, -v5, v16, v14
	v_mov_b32_e32 v16, s17
	s_add_i32 s17, s18, s15
	v_add_u32_e32 v24, s15, v17
	s_waitcnt lgkmcnt(2)
	v_fma_f32 v14, -v4, v19, v14
	v_mov_b32_e32 v19, s17
	s_add_i32 s17, s8, 0xfffffe20
	ds_write_b32 v24, v36
	s_waitcnt lgkmcnt(2)
	v_fma_f32 v14, -v6, v21, v14
	s_add_i32 s18, s18, s17
	s_waitcnt lgkmcnt(1)
	v_fma_f32 v14, -v7, v23, v14
	v_mov_b32_e32 v21, s18
	ds_read2_b32 v[23:24], v16 offset1:1
	ds_read2_b32 v[25:26], v19 offset1:1
	;; [unrolled: 1-line block ×3, first 2 shown]
	s_add_i32 s18, s19, 0xfffffdd0
	v_fma_f32 v13, -v5, v15, v13
	v_mov_b32_e32 v16, s18
	v_fma_f32 v13, -v4, v18, v13
	ds_read_b32 v16, v16
	v_fma_f32 v13, -v6, v20, v13
	s_waitcnt lgkmcnt(3)
	v_fma_f32 v14, -v35, v24, v14
	v_fma_f32 v13, -v7, v22, v13
	s_waitcnt lgkmcnt(2)
	v_fma_f32 v14, -v36, v26, v14
	v_fma_f32 v13, -v35, v23, v13
	s_waitcnt lgkmcnt(1)
	v_mul_f32_e32 v37, v14, v28
	v_fma_f32 v13, -v36, v25, v13
	s_sub_i32 s20, s10, 36
	v_fma_f32 v13, -v37, v27, v13
	s_add_i32 s18, s8, 0xfffffdd0
	s_add_i32 s19, s20, s11
	v_add_u32_e32 v14, s17, v17
	s_waitcnt lgkmcnt(0)
	v_mul_f32_e32 v38, v13, v16
	v_add_u32_e32 v13, s18, v17
	s_add_i32 s21, s20, s8
	v_mov_b32_e32 v15, s19
	s_add_i32 s19, s20, s12
	ds_write_b32 v14, v37
	ds_write_b32 v13, v38
	v_mov_b32_e32 v13, s21
	v_mov_b32_e32 v18, s19
	ds_read2_b32 v[13:14], v13 offset1:1
	ds_read2_b32 v[15:16], v15 offset1:1
	;; [unrolled: 1-line block ×3, first 2 shown]
	s_add_i32 s19, s20, s13
	v_mov_b32_e32 v20, s19
	s_add_i32 s19, s20, s14
	ds_read2_b32 v[20:21], v20 offset1:1
	s_waitcnt lgkmcnt(3)
	v_fma_f32 v12, -v5, v14, v12
	v_mov_b32_e32 v14, s19
	s_add_i32 s19, s20, s15
	s_waitcnt lgkmcnt(2)
	v_fma_f32 v12, -v4, v16, v12
	v_mov_b32_e32 v16, s19
	s_add_i32 s19, s20, s17
	;; [unrolled: 4-line block ×3, first 2 shown]
	v_mov_b32_e32 v28, s19
	ds_read2_b32 v[22:23], v14 offset1:1
	ds_read2_b32 v[24:25], v16 offset1:1
	;; [unrolled: 1-line block ×4, first 2 shown]
	s_waitcnt lgkmcnt(4)
	v_fma_f32 v12, -v7, v21, v12
	s_waitcnt lgkmcnt(3)
	v_fma_f32 v12, -v35, v23, v12
	s_add_i32 s19, s8, 0xfffffd80
	s_waitcnt lgkmcnt(2)
	v_fma_f32 v12, -v36, v25, v12
	s_add_i32 s20, s20, s19
	v_fma_f32 v11, -v5, v13, v11
	s_waitcnt lgkmcnt(1)
	v_fma_f32 v12, -v37, v27, v12
	v_mov_b32_e32 v14, s20
	s_add_i32 s20, s21, 0xfffffd30
	s_sub_i32 s22, s10, 44
	v_fma_f32 v11, -v4, v15, v11
	s_waitcnt lgkmcnt(0)
	v_fma_f32 v12, -v38, v29, v12
	ds_read2_b32 v[29:30], v14 offset1:1
	v_mov_b32_e32 v14, s20
	s_add_i32 s23, s22, s8
	s_add_i32 s20, s22, s11
	v_fma_f32 v11, -v6, v18, v11
	v_mov_b32_e32 v16, s23
	v_mov_b32_e32 v19, s20
	ds_read_b32 v14, v14
	ds_read2_b32 v[31:32], v16 offset1:1
	ds_read2_b32 v[33:34], v19 offset1:1
	v_fma_f32 v11, -v7, v20, v11
	v_fma_f32 v11, -v35, v22, v11
	;; [unrolled: 1-line block ×4, first 2 shown]
	s_waitcnt lgkmcnt(3)
	v_mul_f32_e32 v39, v12, v30
	v_fma_f32 v11, -v38, v28, v11
	s_waitcnt lgkmcnt(1)
	v_fma_f32 v10, -v5, v32, v10
	s_add_i32 s21, s22, s12
	v_add_u32_e32 v12, s19, v17
	v_fma_f32 v11, -v39, v29, v11
	s_add_i32 s20, s8, 0xfffffd30
	s_waitcnt lgkmcnt(0)
	v_fma_f32 v16, -v4, v34, v10
	v_mov_b32_e32 v10, s21
	s_add_i32 s21, s22, s13
	ds_write_b32 v12, v39
	v_mul_f32_e32 v40, v11, v14
	v_add_u32_e32 v11, s20, v17
	v_mov_b32_e32 v12, s21
	s_add_i32 s21, s22, s14
	ds_write_b32 v11, v40
	v_mov_b32_e32 v14, s21
	ds_read2_b32 v[10:11], v10 offset1:1
	ds_read2_b32 v[12:13], v12 offset1:1
	;; [unrolled: 1-line block ×3, first 2 shown]
	s_add_i32 s21, s22, s15
	v_mov_b32_e32 v18, s21
	s_waitcnt lgkmcnt(2)
	v_fma_f32 v11, -v6, v11, v16
	s_add_i32 s21, s22, s17
	ds_read2_b32 v[18:19], v18 offset1:1
	s_waitcnt lgkmcnt(2)
	v_fma_f32 v11, -v7, v13, v11
	v_mov_b32_e32 v13, s21
	s_add_i32 s21, s22, s18
	v_mov_b32_e32 v20, s21
	s_add_i32 s21, s22, s19
	;; [unrolled: 2-line block ×3, first 2 shown]
	v_mov_b32_e32 v24, s21
	s_waitcnt lgkmcnt(1)
	v_fma_f32 v11, -v35, v15, v11
	ds_read2_b32 v[15:16], v13 offset1:1
	ds_read2_b32 v[20:21], v20 offset1:1
	;; [unrolled: 1-line block ×4, first 2 shown]
	s_waitcnt lgkmcnt(4)
	v_fma_f32 v11, -v36, v19, v11
	s_waitcnt lgkmcnt(3)
	v_fma_f32 v11, -v37, v16, v11
	s_add_i32 s21, s8, 0xfffffce0
	v_fma_f32 v9, -v5, v31, v9
	s_waitcnt lgkmcnt(2)
	v_fma_f32 v11, -v38, v21, v11
	s_add_i32 s22, s22, s21
	v_fma_f32 v9, -v4, v33, v9
	s_waitcnt lgkmcnt(1)
	v_fma_f32 v11, -v39, v23, v11
	v_mov_b32_e32 v13, s22
	s_add_i32 s22, s23, 0xfffffc90
	v_fma_f32 v9, -v6, v10, v9
	s_waitcnt lgkmcnt(0)
	v_fma_f32 v11, -v40, v25, v11
	ds_read2_b32 v[25:26], v13 offset1:1
	v_mov_b32_e32 v13, s22
	s_sub_i32 s22, s10, 52
	v_fma_f32 v9, -v7, v12, v9
	s_add_i32 s23, s22, s8
	s_add_i32 s24, s22, s11
	v_fma_f32 v9, -v35, v14, v9
	v_mov_b32_e32 v16, s23
	v_mov_b32_e32 v19, s24
	ds_read_b32 v13, v13
	ds_read2_b32 v[27:28], v16 offset1:1
	ds_read2_b32 v[29:30], v19 offset1:1
	v_fma_f32 v9, -v36, v18, v9
	v_fma_f32 v9, -v37, v15, v9
	v_fma_f32 v9, -v38, v20, v9
	v_fma_f32 v9, -v39, v22, v9
	s_waitcnt lgkmcnt(3)
	v_mul_f32_e32 v34, v11, v26
	v_fma_f32 v9, -v40, v24, v9
	s_waitcnt lgkmcnt(1)
	v_fma_f32 v8, -v5, v28, v8
	s_add_i32 s25, s22, s12
	v_fma_f32 v9, -v34, v25, v9
	s_add_i32 s24, s8, 0xfffffc90
	s_waitcnt lgkmcnt(0)
	v_fma_f32 v16, -v4, v30, v8
	v_mov_b32_e32 v8, s25
	s_add_i32 s25, s22, s13
	v_add_u32_e32 v11, s21, v17
	v_mul_f32_e32 v33, v9, v13
	v_add_u32_e32 v9, s24, v17
	v_mov_b32_e32 v10, s25
	s_add_i32 s25, s22, s14
	ds_write_b32 v11, v34
	ds_write_b32 v9, v33
	v_mov_b32_e32 v12, s25
	ds_read2_b32 v[8:9], v8 offset1:1
	ds_read2_b32 v[10:11], v10 offset1:1
	;; [unrolled: 1-line block ×3, first 2 shown]
	s_add_i32 s25, s22, s15
	v_mov_b32_e32 v14, s25
	s_waitcnt lgkmcnt(2)
	v_fma_f32 v9, -v6, v9, v16
	s_add_i32 s25, s22, s17
	ds_read2_b32 v[14:15], v14 offset1:1
	s_waitcnt lgkmcnt(2)
	v_fma_f32 v9, -v7, v11, v9
	v_mov_b32_e32 v11, s25
	s_add_i32 s25, s22, s18
	s_waitcnt lgkmcnt(1)
	v_fma_f32 v9, -v35, v13, v9
	v_mov_b32_e32 v13, s25
	s_add_i32 s25, s22, s19
	v_mov_b32_e32 v16, s25
	s_add_i32 s25, s22, s20
	v_mov_b32_e32 v24, s25
	v_fma_f32 v3, -v5, v27, v3
	ds_read2_b32 v[18:19], v11 offset1:1
	ds_read2_b32 v[20:21], v13 offset1:1
	;; [unrolled: 1-line block ×4, first 2 shown]
	v_fma_f32 v3, -v4, v29, v3
	s_waitcnt lgkmcnt(4)
	v_fma_f32 v9, -v36, v15, v9
	s_add_i32 s25, s22, s21
	v_fma_f32 v3, -v6, v8, v3
	s_waitcnt lgkmcnt(3)
	v_fma_f32 v9, -v37, v19, v9
	v_mov_b32_e32 v11, s25
	s_add_i32 s25, s22, s24
	v_fma_f32 v3, -v7, v10, v3
	s_waitcnt lgkmcnt(2)
	v_fma_f32 v9, -v38, v21, v9
	v_mov_b32_e32 v13, s25
	s_add_i32 s25, s8, 0xfffffc40
	v_fma_f32 v3, -v35, v12, v3
	s_waitcnt lgkmcnt(1)
	v_fma_f32 v9, -v39, v23, v9
	s_add_i32 s22, s22, s25
	v_fma_f32 v3, -v36, v14, v3
	s_waitcnt lgkmcnt(0)
	v_fma_f32 v9, -v40, v25, v9
	v_mov_b32_e32 v19, s22
	ds_read2_b32 v[15:16], v11 offset1:1
	ds_read2_b32 v[25:26], v13 offset1:1
	;; [unrolled: 1-line block ×3, first 2 shown]
	s_add_i32 s22, s23, 0xfffffbf0
	v_fma_f32 v3, -v37, v18, v3
	v_mov_b32_e32 v11, s22
	v_fma_f32 v3, -v38, v20, v3
	ds_read_b32 v11, v11
	v_fma_f32 v3, -v39, v22, v3
	s_sub_i32 s10, s10, 60
	s_waitcnt lgkmcnt(3)
	v_fma_f32 v9, -v34, v16, v9
	v_fma_f32 v3, -v40, v24, v3
	s_add_i32 s11, s10, s11
	s_waitcnt lgkmcnt(2)
	v_fma_f32 v9, -v33, v26, v9
	v_fma_f32 v3, -v34, v15, v3
	v_mov_b32_e32 v10, s11
	s_add_i32 s11, s10, s12
	s_waitcnt lgkmcnt(1)
	v_mul_f32_e32 v41, v9, v31
	v_add_u32_e32 v9, s25, v17
	v_fma_f32 v3, -v33, v25, v3
	s_add_i32 s23, s10, s8
	v_mov_b32_e32 v12, s11
	s_add_i32 s11, s10, s13
	ds_write_b32 v9, v41
	v_fma_f32 v3, -v41, v30, v3
	v_mov_b32_e32 v8, s23
	v_mov_b32_e32 v14, s11
	s_waitcnt lgkmcnt(1)
	v_mul_f32_e32 v42, v3, v11
	ds_read2_b32 v[8:9], v8 offset1:1
	ds_read2_b32 v[10:11], v10 offset1:1
	;; [unrolled: 1-line block ×4, first 2 shown]
	s_add_i32 s22, s8, 0xfffffbf0
	s_waitcnt lgkmcnt(3)
	v_fma_f32 v2, -v5, v9, v2
	s_waitcnt lgkmcnt(2)
	v_fma_f32 v2, -v4, v11, v2
	;; [unrolled: 2-line block ×3, first 2 shown]
	s_add_i32 s11, s10, s14
	v_add_u32_e32 v3, s22, v17
	s_waitcnt lgkmcnt(0)
	v_fma_f32 v9, -v7, v15, v2
	v_mov_b32_e32 v2, s11
	s_add_i32 s11, s10, s15
	ds_write_b32 v3, v42
	v_mov_b32_e32 v11, s11
	s_add_i32 s11, s10, s17
	v_mov_b32_e32 v13, s11
	ds_read2_b32 v[2:3], v2 offset1:1
	ds_read2_b32 v[15:16], v11 offset1:1
	;; [unrolled: 1-line block ×3, first 2 shown]
	s_add_i32 s11, s10, s18
	v_mov_b32_e32 v11, s11
	ds_read2_b32 v[20:21], v11 offset1:1
	s_add_i32 s11, s10, s19
	s_waitcnt lgkmcnt(3)
	v_fma_f32 v3, -v35, v3, v9
	v_mov_b32_e32 v9, s11
	s_add_i32 s11, s10, s20
	v_fma_f32 v1, -v5, v8, v1
	v_mov_b32_e32 v11, s11
	s_add_i32 s11, s10, s21
	v_fma_f32 v1, -v4, v10, v1
	s_waitcnt lgkmcnt(2)
	v_fma_f32 v3, -v36, v16, v3
	v_mov_b32_e32 v13, s11
	s_add_i32 s11, s10, s24
	v_fma_f32 v1, -v6, v12, v1
	s_waitcnt lgkmcnt(1)
	v_fma_f32 v3, -v37, v19, v3
	v_mov_b32_e32 v16, s11
	ds_read2_b32 v[22:23], v9 offset1:1
	ds_read2_b32 v[24:25], v11 offset1:1
	;; [unrolled: 1-line block ×4, first 2 shown]
	v_fma_f32 v1, -v7, v14, v1
	s_waitcnt lgkmcnt(4)
	v_fma_f32 v3, -v38, v21, v3
	v_fma_f32 v1, -v35, v2, v1
	s_waitcnt lgkmcnt(3)
	v_fma_f32 v3, -v39, v23, v3
	;; [unrolled: 3-line block ×3, first 2 shown]
	s_add_i32 s11, s10, s25
	s_addk_i32 s8, 0xfba0
	v_fma_f32 v1, -v37, v18, v1
	s_waitcnt lgkmcnt(1)
	v_fma_f32 v3, -v34, v27, v3
	v_mov_b32_e32 v9, s11
	s_add_i32 s11, s10, s22
	s_add_i32 s10, s10, s8
	v_fma_f32 v1, -v38, v20, v1
	s_waitcnt lgkmcnt(0)
	v_fma_f32 v3, -v33, v29, v3
	v_mov_b32_e32 v11, s11
	v_mov_b32_e32 v13, s10
	ds_read2_b32 v[8:9], v9 offset1:1
	ds_read2_b32 v[29:30], v11 offset1:1
	;; [unrolled: 1-line block ×3, first 2 shown]
	s_add_i32 s10, s23, 0xfffffb50
	v_fma_f32 v1, -v39, v22, v1
	v_mov_b32_e32 v4, s10
	v_fma_f32 v1, -v40, v24, v1
	ds_read_b32 v4, v4
	v_fma_f32 v1, -v34, v26, v1
	s_waitcnt lgkmcnt(3)
	v_fma_f32 v3, -v41, v9, v3
	v_fma_f32 v1, -v33, v28, v1
	s_waitcnt lgkmcnt(2)
	v_fma_f32 v3, -v42, v30, v3
	v_fma_f32 v1, -v41, v8, v1
	s_waitcnt lgkmcnt(1)
	v_mul_f32_e32 v3, v3, v32
	v_fma_f32 v1, -v42, v29, v1
	v_add_u32_e32 v5, s8, v17
	v_fma_f32 v1, -v3, v31, v1
	s_waitcnt lgkmcnt(0)
	v_mul_f32_e32 v1, v1, v4
	v_add_u32_e32 v2, 0xffffffb0, v5
	s_add_i32 s5, s5, -16
	ds_write_b32 v5, v3
	ds_write_b32 v2, v1
.LBB21_33:
	s_cmp_lt_i32 s5, 0
	s_cbranch_scc1 .LBB21_50
; %bb.34:
	s_and_b32 s8, s5, 3
	s_cmp_eq_u32 s8, 3
	s_mul_i32 s10, s16, 0x50
	s_mov_b32 s8, s5
	s_cbranch_scc1 .LBB21_39
; %bb.35:
	s_add_i32 s8, s5, 1
	s_and_b32 s11, s8, 3
	s_lshl_b32 s8, s5, 2
	s_add_i32 s8, s10, s8
	v_lshl_add_u32 v1, v0, 2, s10
	s_add_i32 s12, s8, 0xffffffb0
	v_add_u32_e32 v1, 0x5f0, v1
	s_mov_b32 s13, 0
	s_mov_b32 s8, s5
	s_branch .LBB21_37
.LBB21_36:                              ;   in Loop: Header=BB21_37 Depth=1
	s_mul_i32 s14, s8, 0x54
	v_mov_b32_e32 v4, s14
	ds_read_b32 v4, v4
	s_add_i32 s8, s8, -1
	s_add_i32 s13, s13, 1
	s_add_i32 s12, s12, -4
	s_cmp_lg_u32 s13, s11
	s_waitcnt lgkmcnt(0)
	v_mul_f32_e32 v3, v3, v4
	ds_write_b32 v2, v3
	s_cbranch_scc0 .LBB21_39
.LBB21_37:                              ; =>This Loop Header: Depth=1
                                        ;     Child Loop BB21_38 Depth 2
	s_mul_i32 s14, s8, 0x50
	v_add_u32_e32 v2, s14, v17
	ds_read_b32 v3, v2
	s_cmp_le_i32 s4, s8
	v_mov_b32_e32 v4, v1
	s_mov_b32 s14, s12
	s_mov_b32 s15, s4
	s_cbranch_scc1 .LBB21_36
.LBB21_38:                              ;   Parent Loop BB21_37 Depth=1
                                        ; =>  This Inner Loop Header: Depth=2
	v_mov_b32_e32 v6, s14
	ds_read_b32 v5, v4
	ds_read_b32 v6, v6
	s_add_i32 s15, s15, -1
	s_addk_i32 s14, 0xffb0
	v_add_u32_e32 v4, 0xffffffb0, v4
	s_cmp_gt_i32 s15, s8
	s_waitcnt lgkmcnt(0)
	v_fma_f32 v3, -v5, v6, v3
	s_cbranch_scc1 .LBB21_38
	s_branch .LBB21_36
.LBB21_39:
	s_cmp_lt_u32 s5, 3
	s_cbranch_scc1 .LBB21_50
; %bb.40:
	s_lshl_b32 s5, s8, 2
	s_add_i32 s12, s10, s5
	v_lshl_add_u32 v1, v0, 2, s10
	s_add_i32 s5, s12, 0xffffffb0
	v_add_u32_e32 v1, 0x5f0, v1
	s_add_i32 s10, s12, 0xffffffac
	s_add_i32 s11, s12, 0xffffffa8
	s_addk_i32 s12, 0xffa4
	s_branch .LBB21_42
.LBB21_41:                              ;   in Loop: Header=BB21_42 Depth=1
	s_add_i32 s13, s14, 0xffffffac
	v_mov_b32_e32 v3, s13
	ds_read_b32 v3, v3
	s_add_i32 s13, s8, -4
	s_add_i32 s5, s5, -16
	;; [unrolled: 1-line block ×5, first 2 shown]
	s_waitcnt lgkmcnt(0)
	v_mul_f32_e32 v3, v5, v3
	s_cmp_lt_i32 s8, 4
	s_mov_b32 s8, s13
	ds_write_b32 v2, v3
	s_cbranch_scc1 .LBB21_50
.LBB21_42:                              ; =>This Loop Header: Depth=1
                                        ;     Child Loop BB21_43 Depth 2
                                        ;     Child Loop BB21_45 Depth 2
	;; [unrolled: 1-line block ×4, first 2 shown]
	s_mul_i32 s13, s8, 0x50
	v_add_u32_e32 v3, s13, v17
	ds_read_b32 v4, v3
	s_cmp_le_i32 s4, s8
	v_mov_b32_e32 v2, v1
	s_mov_b32 s14, s5
	s_mov_b32 s15, s4
	s_cbranch_scc1 .LBB21_44
.LBB21_43:                              ;   Parent Loop BB21_42 Depth=1
                                        ; =>  This Inner Loop Header: Depth=2
	v_mov_b32_e32 v6, s14
	ds_read_b32 v5, v2
	ds_read_b32 v6, v6
	s_add_i32 s15, s15, -1
	s_addk_i32 s14, 0xffb0
	v_add_u32_e32 v2, 0xffffffb0, v2
	s_cmp_gt_i32 s15, s8
	s_waitcnt lgkmcnt(0)
	v_fma_f32 v4, -v5, v6, v4
	s_cbranch_scc1 .LBB21_43
.LBB21_44:                              ;   in Loop: Header=BB21_42 Depth=1
	s_mul_i32 s14, s8, 0x54
	v_mov_b32_e32 v2, s14
	ds_read_b32 v6, v2
	s_addk_i32 s13, 0xffb0
	v_add_u32_e32 v2, s13, v17
	ds_read_b32 v5, v2
	s_cmp_le_i32 s16, s8
	s_waitcnt lgkmcnt(1)
	v_mul_f32_e32 v4, v4, v6
	ds_write_b32 v3, v4
	v_mov_b32_e32 v3, v1
	s_mov_b32 s15, s10
	s_mov_b32 s17, s16
	s_cbranch_scc1 .LBB21_46
.LBB21_45:                              ;   Parent Loop BB21_42 Depth=1
                                        ; =>  This Inner Loop Header: Depth=2
	v_mov_b32_e32 v6, s15
	ds_read_b32 v4, v3
	ds_read_b32 v6, v6
	s_add_i32 s17, s17, -1
	s_addk_i32 s15, 0xffb0
	v_add_u32_e32 v3, 0xffffffb0, v3
	s_cmp_gt_i32 s17, s8
	s_waitcnt lgkmcnt(0)
	v_fma_f32 v5, -v4, v6, v5
	s_cbranch_scc1 .LBB21_45
.LBB21_46:                              ;   in Loop: Header=BB21_42 Depth=1
	s_addk_i32 s14, 0xffac
	v_mov_b32_e32 v3, s14
	ds_read_b32 v6, v3
	s_addk_i32 s13, 0xffb0
	v_add_u32_e32 v3, s13, v17
	ds_read_b32 v4, v3
	s_add_i32 s15, s8, -2
	s_waitcnt lgkmcnt(1)
	v_mul_f32_e32 v5, v5, v6
	ds_write_b32 v2, v5
	s_cmp_le_i32 s4, s15
	v_mov_b32_e32 v2, v1
	s_mov_b32 s17, s11
	s_mov_b32 s18, s4
	s_cbranch_scc1 .LBB21_48
.LBB21_47:                              ;   Parent Loop BB21_42 Depth=1
                                        ; =>  This Inner Loop Header: Depth=2
	v_mov_b32_e32 v6, s17
	ds_read_b32 v5, v2
	ds_read_b32 v6, v6
	s_add_i32 s18, s18, -1
	s_addk_i32 s17, 0xffb0
	v_add_u32_e32 v2, 0xffffffb0, v2
	s_cmp_gt_i32 s18, s15
	s_waitcnt lgkmcnt(0)
	v_fma_f32 v4, -v5, v6, v4
	s_cbranch_scc1 .LBB21_47
.LBB21_48:                              ;   in Loop: Header=BB21_42 Depth=1
	s_addk_i32 s14, 0xffac
	v_mov_b32_e32 v2, s14
	ds_read_b32 v6, v2
	s_addk_i32 s13, 0xffb0
	v_add_u32_e32 v2, s13, v17
	ds_read_b32 v5, v2
	s_add_i32 s15, s8, -3
	s_waitcnt lgkmcnt(1)
	v_mul_f32_e32 v4, v4, v6
	ds_write_b32 v3, v4
	s_cmp_le_i32 s4, s15
	v_mov_b32_e32 v3, v1
	s_mov_b32 s13, s12
	s_mov_b32 s17, s4
	s_cbranch_scc1 .LBB21_41
.LBB21_49:                              ;   Parent Loop BB21_42 Depth=1
                                        ; =>  This Inner Loop Header: Depth=2
	v_mov_b32_e32 v6, s13
	ds_read_b32 v4, v3
	ds_read_b32 v6, v6
	s_add_i32 s17, s17, -1
	s_addk_i32 s13, 0xffb0
	v_add_u32_e32 v3, 0xffffffb0, v3
	s_cmp_gt_i32 s17, s15
	s_waitcnt lgkmcnt(0)
	v_fma_f32 v5, -v4, v6, v5
	s_cbranch_scc1 .LBB21_49
	s_branch .LBB21_41
.LBB21_50:
	s_waitcnt lgkmcnt(0)
	; wave barrier
	s_and_saveexec_b64 s[4:5], s[0:1]
	s_cbranch_execz .LBB21_54
; %bb.51:
	s_andn2_b64 vcc, exec, s[2:3]
	s_cbranch_vccnz .LBB21_54
; %bb.52:
	v_mad_i64_i32 v[1:2], s[0:1], s9, v0, 0
	v_mov_b32_e32 v3, s7
	v_lshlrev_b64 v[1:2], 2, v[1:2]
	v_add_co_u32_e32 v1, vcc, s6, v1
	v_addc_co_u32_e32 v2, vcc, v3, v2, vcc
	v_mov_b32_e32 v3, 0x640
	v_lshl_add_u32 v0, v0, 2, v3
.LBB21_53:                              ; =>This Inner Loop Header: Depth=1
	ds_read_b32 v3, v0
	s_add_i32 s16, s16, -1
	v_add_u32_e32 v0, 0x50, v0
	s_cmp_lg_u32 s16, 0
	s_waitcnt lgkmcnt(0)
	global_store_dword v[1:2], v3, off
	v_add_co_u32_e32 v1, vcc, 4, v1
	v_addc_co_u32_e32 v2, vcc, 0, v2, vcc
	s_cbranch_scc1 .LBB21_53
.LBB21_54:
	s_endpgm
	.section	.rodata,"a",@progbits
	.p2align	6, 0x0
	.amdhsa_kernel _ZL38rocblas_trsm_small_left_device_sharedBILi20ELi20ELb0EffPKfPfEv13rocblas_fill_18rocblas_operation_17rocblas_diagonal_iiT3_T4_lilT5_lili
		.amdhsa_group_segment_fixed_size 3200
		.amdhsa_private_segment_fixed_size 0
		.amdhsa_kernarg_size 352
		.amdhsa_user_sgpr_count 6
		.amdhsa_user_sgpr_private_segment_buffer 1
		.amdhsa_user_sgpr_dispatch_ptr 0
		.amdhsa_user_sgpr_queue_ptr 0
		.amdhsa_user_sgpr_kernarg_segment_ptr 1
		.amdhsa_user_sgpr_dispatch_id 0
		.amdhsa_user_sgpr_flat_scratch_init 0
		.amdhsa_user_sgpr_private_segment_size 0
		.amdhsa_uses_dynamic_stack 0
		.amdhsa_system_sgpr_private_segment_wavefront_offset 0
		.amdhsa_system_sgpr_workgroup_id_x 1
		.amdhsa_system_sgpr_workgroup_id_y 0
		.amdhsa_system_sgpr_workgroup_id_z 1
		.amdhsa_system_sgpr_workgroup_info 0
		.amdhsa_system_vgpr_workitem_id 0
		.amdhsa_next_free_vgpr 55
		.amdhsa_next_free_sgpr 98
		.amdhsa_reserve_vcc 1
		.amdhsa_reserve_flat_scratch 0
		.amdhsa_float_round_mode_32 0
		.amdhsa_float_round_mode_16_64 0
		.amdhsa_float_denorm_mode_32 3
		.amdhsa_float_denorm_mode_16_64 3
		.amdhsa_dx10_clamp 1
		.amdhsa_ieee_mode 1
		.amdhsa_fp16_overflow 0
		.amdhsa_exception_fp_ieee_invalid_op 0
		.amdhsa_exception_fp_denorm_src 0
		.amdhsa_exception_fp_ieee_div_zero 0
		.amdhsa_exception_fp_ieee_overflow 0
		.amdhsa_exception_fp_ieee_underflow 0
		.amdhsa_exception_fp_ieee_inexact 0
		.amdhsa_exception_int_div_zero 0
	.end_amdhsa_kernel
	.section	.text._ZL38rocblas_trsm_small_left_device_sharedBILi20ELi20ELb0EffPKfPfEv13rocblas_fill_18rocblas_operation_17rocblas_diagonal_iiT3_T4_lilT5_lili,"axG",@progbits,_ZL38rocblas_trsm_small_left_device_sharedBILi20ELi20ELb0EffPKfPfEv13rocblas_fill_18rocblas_operation_17rocblas_diagonal_iiT3_T4_lilT5_lili,comdat
.Lfunc_end21:
	.size	_ZL38rocblas_trsm_small_left_device_sharedBILi20ELi20ELb0EffPKfPfEv13rocblas_fill_18rocblas_operation_17rocblas_diagonal_iiT3_T4_lilT5_lili, .Lfunc_end21-_ZL38rocblas_trsm_small_left_device_sharedBILi20ELi20ELb0EffPKfPfEv13rocblas_fill_18rocblas_operation_17rocblas_diagonal_iiT3_T4_lilT5_lili
                                        ; -- End function
	.set _ZL38rocblas_trsm_small_left_device_sharedBILi20ELi20ELb0EffPKfPfEv13rocblas_fill_18rocblas_operation_17rocblas_diagonal_iiT3_T4_lilT5_lili.num_vgpr, 55
	.set _ZL38rocblas_trsm_small_left_device_sharedBILi20ELi20ELb0EffPKfPfEv13rocblas_fill_18rocblas_operation_17rocblas_diagonal_iiT3_T4_lilT5_lili.num_agpr, 0
	.set _ZL38rocblas_trsm_small_left_device_sharedBILi20ELi20ELb0EffPKfPfEv13rocblas_fill_18rocblas_operation_17rocblas_diagonal_iiT3_T4_lilT5_lili.numbered_sgpr, 26
	.set _ZL38rocblas_trsm_small_left_device_sharedBILi20ELi20ELb0EffPKfPfEv13rocblas_fill_18rocblas_operation_17rocblas_diagonal_iiT3_T4_lilT5_lili.num_named_barrier, 0
	.set _ZL38rocblas_trsm_small_left_device_sharedBILi20ELi20ELb0EffPKfPfEv13rocblas_fill_18rocblas_operation_17rocblas_diagonal_iiT3_T4_lilT5_lili.private_seg_size, 0
	.set _ZL38rocblas_trsm_small_left_device_sharedBILi20ELi20ELb0EffPKfPfEv13rocblas_fill_18rocblas_operation_17rocblas_diagonal_iiT3_T4_lilT5_lili.uses_vcc, 1
	.set _ZL38rocblas_trsm_small_left_device_sharedBILi20ELi20ELb0EffPKfPfEv13rocblas_fill_18rocblas_operation_17rocblas_diagonal_iiT3_T4_lilT5_lili.uses_flat_scratch, 0
	.set _ZL38rocblas_trsm_small_left_device_sharedBILi20ELi20ELb0EffPKfPfEv13rocblas_fill_18rocblas_operation_17rocblas_diagonal_iiT3_T4_lilT5_lili.has_dyn_sized_stack, 0
	.set _ZL38rocblas_trsm_small_left_device_sharedBILi20ELi20ELb0EffPKfPfEv13rocblas_fill_18rocblas_operation_17rocblas_diagonal_iiT3_T4_lilT5_lili.has_recursion, 0
	.set _ZL38rocblas_trsm_small_left_device_sharedBILi20ELi20ELb0EffPKfPfEv13rocblas_fill_18rocblas_operation_17rocblas_diagonal_iiT3_T4_lilT5_lili.has_indirect_call, 0
	.section	.AMDGPU.csdata,"",@progbits
; Kernel info:
; codeLenInByte = 12612
; TotalNumSgprs: 30
; NumVgprs: 55
; ScratchSize: 0
; MemoryBound: 0
; FloatMode: 240
; IeeeMode: 1
; LDSByteSize: 3200 bytes/workgroup (compile time only)
; SGPRBlocks: 12
; VGPRBlocks: 13
; NumSGPRsForWavesPerEU: 102
; NumVGPRsForWavesPerEU: 55
; Occupancy: 4
; WaveLimiterHint : 0
; COMPUTE_PGM_RSRC2:SCRATCH_EN: 0
; COMPUTE_PGM_RSRC2:USER_SGPR: 6
; COMPUTE_PGM_RSRC2:TRAP_HANDLER: 0
; COMPUTE_PGM_RSRC2:TGID_X_EN: 1
; COMPUTE_PGM_RSRC2:TGID_Y_EN: 0
; COMPUTE_PGM_RSRC2:TGID_Z_EN: 1
; COMPUTE_PGM_RSRC2:TIDIG_COMP_CNT: 0
	.section	.text._ZL30rocblas_trsm_small_left_deviceILi20ELi20ELb0EffPKfPfEv13rocblas_fill_18rocblas_operation_17rocblas_diagonal_iiT3_T4_lilT5_lili,"axG",@progbits,_ZL30rocblas_trsm_small_left_deviceILi20ELi20ELb0EffPKfPfEv13rocblas_fill_18rocblas_operation_17rocblas_diagonal_iiT3_T4_lilT5_lili,comdat
	.globl	_ZL30rocblas_trsm_small_left_deviceILi20ELi20ELb0EffPKfPfEv13rocblas_fill_18rocblas_operation_17rocblas_diagonal_iiT3_T4_lilT5_lili ; -- Begin function _ZL30rocblas_trsm_small_left_deviceILi20ELi20ELb0EffPKfPfEv13rocblas_fill_18rocblas_operation_17rocblas_diagonal_iiT3_T4_lilT5_lili
	.p2align	8
	.type	_ZL30rocblas_trsm_small_left_deviceILi20ELi20ELb0EffPKfPfEv13rocblas_fill_18rocblas_operation_17rocblas_diagonal_iiT3_T4_lilT5_lili,@function
_ZL30rocblas_trsm_small_left_deviceILi20ELi20ELb0EffPKfPfEv13rocblas_fill_18rocblas_operation_17rocblas_diagonal_iiT3_T4_lilT5_lili: ; @_ZL30rocblas_trsm_small_left_deviceILi20ELi20ELb0EffPKfPfEv13rocblas_fill_18rocblas_operation_17rocblas_diagonal_iiT3_T4_lilT5_lili
; %bb.0:
	s_load_dwordx4 s[0:3], s[4:5], 0x4
	s_load_dword s16, s[4:5], 0x14
	s_load_dwordx4 s[8:11], s[4:5], 0x30
	s_load_dwordx2 s[12:13], s[4:5], 0x40
	s_waitcnt lgkmcnt(0)
	s_min_i32 s17, s2, 20
	v_cmp_gt_i32_e32 vcc, s17, v0
	s_and_saveexec_b64 s[14:15], vcc
	s_cbranch_execz .LBB22_6
; %bb.1:
	s_load_dword s18, s[4:5], 0x28
	s_load_dwordx4 s[20:23], s[4:5], 0x18
	s_mul_i32 s9, s9, s7
	s_mul_hi_u32 s19, s8, s7
	s_add_i32 s9, s19, s9
	s_mul_i32 s8, s8, s7
	s_waitcnt lgkmcnt(0)
	s_ashr_i32 s19, s18, 31
	s_lshl_b64 s[8:9], s[8:9], 2
	s_add_u32 s20, s20, s8
	s_addc_u32 s21, s21, s9
	s_lshl_b64 s[8:9], s[22:23], 2
	s_add_u32 s8, s20, s8
	s_addc_u32 s9, s21, s9
	v_lshlrev_b32_e32 v3, 2, v0
	v_mov_b32_e32 v2, s9
	v_add_co_u32_e32 v1, vcc, s8, v3
	s_lshl_b64 s[8:9], s[18:19], 2
	v_addc_co_u32_e32 v2, vcc, 0, v2, vcc
	v_mov_b32_e32 v4, s9
	v_mov_b32_e32 v5, v3
	s_mov_b32 s9, s17
.LBB22_2:                               ; =>This Inner Loop Header: Depth=1
	global_load_dword v6, v[1:2], off
	v_add_co_u32_e32 v1, vcc, s8, v1
	s_add_i32 s9, s9, -1
	v_addc_co_u32_e32 v2, vcc, v2, v4, vcc
	s_cmp_eq_u32 s9, 0
	s_waitcnt vmcnt(0)
	ds_write_b32 v5, v6
	v_add_u32_e32 v5, 0x50, v5
	s_cbranch_scc0 .LBB22_2
; %bb.3:
	v_mul_u32_u24_e32 v1, 0x50, v0
	s_cmpk_lg_i32 s1, 0x84
	v_mov_b32_e32 v2, 1.0
	v_add_u32_e32 v1, v3, v1
	s_cbranch_scc0 .LBB22_5
; %bb.4:
	ds_read_b32 v2, v1
	s_waitcnt lgkmcnt(0)
	v_div_scale_f32 v3, s[8:9], v2, v2, 1.0
	v_div_scale_f32 v4, vcc, 1.0, v2, 1.0
	v_rcp_f32_e32 v5, v3
	v_fma_f32 v6, -v3, v5, 1.0
	v_fmac_f32_e32 v5, v6, v5
	v_mul_f32_e32 v6, v4, v5
	v_fma_f32 v7, -v3, v6, v4
	v_fmac_f32_e32 v6, v7, v5
	v_fma_f32 v3, -v3, v6, v4
	v_div_fmas_f32 v3, v3, v5, v6
	v_div_fixup_f32 v2, v3, v2, 1.0
.LBB22_5:
	ds_write_b32 v1, v2
.LBB22_6:
	s_or_b64 exec, exec, s[14:15]
	s_load_dword s1, s[4:5], 0x60
	s_mul_i32 s8, s6, 0xffffffec
	s_add_i32 s3, s3, s8
	s_waitcnt lgkmcnt(0)
	; wave barrier
	s_add_i32 s1, s1, -1
	s_cmp_ge_u32 s6, s1
	s_cselect_b32 s1, s3, 20
	v_cmp_gt_i32_e32 vcc, s1, v0
	s_and_saveexec_b64 s[8:9], vcc
	s_cbranch_execz .LBB22_51
; %bb.7:
	s_load_dwordx2 s[8:9], s[4:5], 0x50
	s_load_dword s1, s[4:5], 0x48
	s_waitcnt lgkmcnt(0)
	s_mul_i32 s3, s9, s7
	s_mul_hi_u32 s5, s8, s7
	s_mul_i32 s4, s8, s7
	v_mad_u64_u32 v[0:1], s[6:7], s6, 20, v[0:1]
	s_add_i32 s5, s5, s3
	s_lshl_b64 s[4:5], s[4:5], 2
	v_mad_i64_i32 v[0:1], s[6:7], s1, v0, 0
	s_add_u32 s3, s10, s4
	s_addc_u32 s8, s11, s5
	s_lshl_b64 s[6:7], s[12:13], 2
	s_add_u32 s1, s3, s6
	v_lshlrev_b64 v[2:3], 2, v[0:1]
	s_addc_u32 s3, s8, s7
	v_mov_b32_e32 v1, s3
	v_add_co_u32_e32 v0, vcc, s1, v2
	v_addc_co_u32_e32 v1, vcc, v1, v3, vcc
	s_cmpk_eq_i32 s0, 0x6f
	s_mov_b64 s[0:1], -1
	s_cbranch_scc1 .LBB22_25
; %bb.8:
	s_cmp_lt_i32 s2, 20
	s_cselect_b64 s[8:9], -1, 0
	s_cmp_gt_i32 s2, 19
	s_cbranch_scc0 .LBB22_10
; %bb.9:
	global_load_dwordx4 v[5:8], v[0:1], off
	global_load_dwordx4 v[9:12], v[0:1], off offset:16
	v_mov_b32_e32 v4, 0
	ds_read_b32 v34, v4
	ds_read_b64 v[32:33], v4 offset:80
	ds_read_b96 v[29:31], v4 offset:160
	ds_read_b128 v[13:16], v4 offset:240
	ds_read_b128 v[17:20], v4 offset:320
	;; [unrolled: 1-line block ×3, first 2 shown]
	ds_read_b32 v44, v4 offset:336
	ds_read_b128 v[25:28], v4 offset:480
	ds_read_b64 v[40:41], v4 offset:416
	s_mov_b32 s0, 20
	s_waitcnt vmcnt(1)
	v_mul_f32_e32 v5, s16, v5
	s_waitcnt lgkmcnt(8)
	v_mul_f32_e32 v5, v5, v34
	s_waitcnt lgkmcnt(7)
	;; [unrolled: 2-line block ×3, first 2 shown]
	v_mul_f32_e32 v29, v5, v29
	v_fma_f32 v6, s16, v6, -v32
	s_waitcnt lgkmcnt(5)
	v_mul_f32_e32 v13, v5, v13
	v_fma_f32 v7, s16, v7, -v29
	v_mul_f32_e32 v6, v6, v33
	s_waitcnt lgkmcnt(4)
	v_mul_f32_e32 v17, v5, v17
	s_waitcnt lgkmcnt(3)
	v_mul_f32_e32 v21, v5, v21
	v_fma_f32 v13, s16, v8, -v13
	s_waitcnt lgkmcnt(1)
	v_mul_f32_e32 v8, v5, v25
	v_fma_f32 v7, -v6, v30, v7
	s_waitcnt vmcnt(0)
	v_fma_f32 v17, s16, v9, -v17
	v_fma_f32 v21, s16, v10, -v21
	;; [unrolled: 1-line block ×3, first 2 shown]
	ds_read_b96 v[37:39], v4 offset:496
	ds_read_b128 v[8:11], v4 offset:560
	v_mul_f32_e32 v7, v7, v31
	global_load_dwordx4 v[29:32], v[0:1], off offset:32
	ds_read_b64 v[42:43], v4 offset:752
	s_waitcnt lgkmcnt(1)
	v_mul_f32_e32 v8, v5, v8
	v_fma_f32 v34, s16, v12, -v8
	v_fma_f32 v8, -v6, v14, v13
	v_fma_f32 v8, -v7, v15, v8
	global_load_dwordx4 v[12:15], v[0:1], off offset:48
	v_mul_f32_e32 v8, v8, v16
	v_fma_f32 v16, -v6, v18, v17
	v_fma_f32 v16, -v7, v19, v16
	;; [unrolled: 1-line block ×3, first 2 shown]
	ds_read_b128 v[16:19], v4 offset:640
	v_fma_f32 v20, -v6, v22, v21
	v_fma_f32 v20, -v7, v23, v20
	;; [unrolled: 1-line block ×3, first 2 shown]
	ds_read_b128 v[20:23], v4 offset:720
	v_fma_f32 v9, -v6, v9, v34
	v_fma_f32 v9, -v7, v10, v9
	ds_read_b128 v[33:36], v4 offset:576
	s_waitcnt lgkmcnt(2)
	v_mul_f32_e32 v10, v5, v16
	v_fma_f32 v24, -v6, v26, v25
	v_fma_f32 v24, -v7, v27, v24
	;; [unrolled: 1-line block ×3, first 2 shown]
	ds_read_b128 v[24:27], v4 offset:800
	v_fma_f32 v9, -v8, v11, v9
	s_waitcnt vmcnt(1)
	v_fma_f32 v10, s16, v29, -v10
	v_fma_f32 v10, -v6, v17, v10
	v_fma_f32 v10, -v7, v18, v10
	;; [unrolled: 1-line block ×3, first 2 shown]
	ds_read_b128 v[16:19], v4 offset:736
	s_waitcnt lgkmcnt(3)
	v_mul_f32_e32 v10, v5, v20
	v_fma_f32 v10, s16, v30, -v10
	v_fma_f32 v10, -v6, v21, v10
	v_fma_f32 v10, -v7, v22, v10
	;; [unrolled: 1-line block ×3, first 2 shown]
	s_waitcnt lgkmcnt(1)
	v_mul_f32_e32 v10, v5, v24
	v_fma_f32 v10, s16, v31, -v10
	v_fma_f32 v10, -v6, v25, v10
	v_fma_f32 v10, -v7, v26, v10
	v_mul_f32_e32 v24, v45, v44
	v_fma_f32 v49, -v8, v27, v10
	v_fma_f32 v10, -v24, v40, v46
	;; [unrolled: 1-line block ×3, first 2 shown]
	v_mul_f32_e32 v25, v10, v41
	global_load_dwordx4 v[20:23], v[0:1], off offset:64
	v_fma_f32 v10, -v25, v38, v11
	ds_read_b128 v[28:31], v4 offset:656
	ds_read_b32 v37, v4 offset:672
	v_fma_f32 v9, -v24, v33, v9
	v_mul_f32_e32 v26, v10, v39
	v_fma_f32 v9, -v25, v34, v9
	v_fma_f32 v9, -v26, v35, v9
	v_mul_f32_e32 v27, v9, v36
	ds_read_b128 v[33:36], v4 offset:816
	ds_read_b96 v[9:11], v4 offset:832
	s_waitcnt lgkmcnt(3)
	v_fma_f32 v28, -v24, v28, v47
	v_fma_f32 v16, -v24, v16, v48
	;; [unrolled: 1-line block ×5, first 2 shown]
	s_waitcnt lgkmcnt(1)
	v_fma_f32 v33, -v24, v33, v49
	v_fma_f32 v16, -v26, v18, v16
	;; [unrolled: 1-line block ×5, first 2 shown]
	v_mul_f32_e32 v16, v17, v37
	v_fma_f32 v17, -v16, v42, v18
	v_fma_f32 v18, -v26, v35, v29
	ds_read_b128 v[28:31], v4 offset:880
	v_fma_f32 v18, -v27, v36, v18
	v_mul_f32_e32 v17, v17, v43
	s_waitcnt lgkmcnt(1)
	v_fma_f32 v9, -v16, v9, v18
	v_fma_f32 v9, -v17, v10, v9
	v_mul_f32_e32 v18, v9, v11
	ds_read_b128 v[33:36], v4 offset:896
	s_waitcnt lgkmcnt(1)
	v_mul_f32_e32 v9, v5, v28
	v_fma_f32 v9, s16, v32, -v9
	v_fma_f32 v9, -v6, v29, v9
	v_fma_f32 v9, -v7, v30, v9
	;; [unrolled: 1-line block ×3, first 2 shown]
	ds_read_b128 v[28:31], v4 offset:912
	s_waitcnt lgkmcnt(1)
	v_fma_f32 v9, -v24, v33, v9
	v_fma_f32 v9, -v25, v34, v9
	v_fma_f32 v9, -v26, v35, v9
	ds_read_b128 v[32:35], v4 offset:960
	v_fma_f32 v9, -v27, v36, v9
	s_waitcnt lgkmcnt(1)
	v_fma_f32 v9, -v16, v28, v9
	v_fma_f32 v9, -v17, v29, v9
	;; [unrolled: 1-line block ×3, first 2 shown]
	v_mul_f32_e32 v19, v9, v31
	s_waitcnt lgkmcnt(0)
	v_mul_f32_e32 v9, v5, v32
	s_waitcnt vmcnt(1)
	v_fma_f32 v28, s16, v12, -v9
	ds_read_b128 v[9:12], v4 offset:976
	v_fma_f32 v28, -v6, v33, v28
	v_fma_f32 v28, -v7, v34, v28
	;; [unrolled: 1-line block ×3, first 2 shown]
	ds_read_b128 v[28:31], v4 offset:992
	s_waitcnt lgkmcnt(1)
	v_fma_f32 v9, -v24, v9, v32
	v_fma_f32 v9, -v25, v10, v9
	;; [unrolled: 1-line block ×3, first 2 shown]
	global_store_dwordx4 v[0:1], v[5:8], off
	global_store_dwordx4 v[0:1], v[24:27], off offset:16
	v_fma_f32 v9, -v27, v12, v9
	s_waitcnt lgkmcnt(0)
	v_fma_f32 v28, -v16, v28, v9
	ds_read_b128 v[9:12], v4 offset:1040
	ds_read_b32 v34, v4 offset:1008
	v_fma_f32 v28, -v17, v29, v28
	v_fma_f32 v28, -v18, v30, v28
	;; [unrolled: 1-line block ×3, first 2 shown]
	s_waitcnt lgkmcnt(1)
	v_mul_f32_e32 v9, v5, v9
	ds_read_b128 v[28:31], v4 offset:1056
	v_fma_f32 v9, s16, v13, -v9
	v_fma_f32 v9, -v6, v10, v9
	v_fma_f32 v9, -v7, v11, v9
	;; [unrolled: 1-line block ×3, first 2 shown]
	ds_read_b128 v[9:12], v4 offset:1072
	s_waitcnt lgkmcnt(1)
	v_fma_f32 v13, -v24, v28, v13
	v_fma_f32 v13, -v25, v29, v13
	v_fma_f32 v13, -v26, v30, v13
	v_fma_f32 v13, -v27, v31, v13
	ds_read_b64 v[32:33], v4 offset:1088
	ds_read_b128 v[28:31], v4 offset:1120
	s_waitcnt lgkmcnt(2)
	v_fma_f32 v9, -v16, v9, v13
	v_fma_f32 v9, -v17, v10, v9
	;; [unrolled: 1-line block ×4, first 2 shown]
	s_waitcnt lgkmcnt(0)
	v_mul_f32_e32 v11, v5, v28
	v_fma_f32 v28, s16, v14, -v11
	ds_read_b128 v[11:14], v4 offset:1136
	v_fma_f32 v28, -v6, v29, v28
	v_mul_f32_e32 v9, v35, v34
	v_fma_f32 v28, -v7, v30, v28
	v_fma_f32 v10, -v9, v32, v10
	;; [unrolled: 1-line block ×3, first 2 shown]
	ds_read_b128 v[28:31], v4 offset:1152
	s_waitcnt lgkmcnt(1)
	v_fma_f32 v11, -v24, v11, v32
	v_fma_f32 v11, -v25, v12, v11
	;; [unrolled: 1-line block ×4, first 2 shown]
	s_waitcnt lgkmcnt(0)
	v_fma_f32 v14, -v16, v28, v11
	v_fma_f32 v14, -v17, v29, v14
	ds_read_b96 v[11:13], v4 offset:1168
	v_fma_f32 v14, -v18, v30, v14
	v_fma_f32 v14, -v19, v31, v14
	ds_read_b128 v[28:31], v4 offset:1200
	v_mul_f32_e32 v10, v10, v33
	s_waitcnt lgkmcnt(1)
	v_fma_f32 v11, -v9, v11, v14
	v_fma_f32 v11, -v10, v12, v11
	v_mul_f32_e32 v11, v11, v13
	s_waitcnt lgkmcnt(0)
	v_mul_f32_e32 v12, v5, v28
	v_fma_f32 v28, s16, v15, -v12
	ds_read_b128 v[12:15], v4 offset:1216
	v_fma_f32 v28, -v6, v29, v28
	v_fma_f32 v28, -v7, v30, v28
	;; [unrolled: 1-line block ×3, first 2 shown]
	ds_read_b128 v[28:31], v4 offset:1232
	s_waitcnt lgkmcnt(1)
	v_fma_f32 v12, -v24, v12, v32
	v_fma_f32 v12, -v25, v13, v12
	;; [unrolled: 1-line block ×4, first 2 shown]
	s_waitcnt lgkmcnt(0)
	v_fma_f32 v28, -v16, v28, v12
	ds_read_b128 v[12:15], v4 offset:1248
	v_fma_f32 v28, -v17, v29, v28
	v_fma_f32 v28, -v18, v30, v28
	;; [unrolled: 1-line block ×3, first 2 shown]
	ds_read_b128 v[28:31], v4 offset:1280
	s_waitcnt lgkmcnt(1)
	v_fma_f32 v12, -v9, v12, v32
	v_fma_f32 v12, -v10, v13, v12
	;; [unrolled: 1-line block ×3, first 2 shown]
	v_mul_f32_e32 v12, v12, v15
	global_store_dwordx4 v[0:1], v[16:19], off offset:32
	global_store_dwordx4 v[0:1], v[9:12], off offset:48
	s_waitcnt lgkmcnt(0)
	v_mul_f32_e32 v13, v5, v28
	ds_read_b128 v[32:35], v4 offset:1296
	ds_read_b128 v[36:39], v4 offset:1312
	s_waitcnt vmcnt(4)
	v_fma_f32 v13, s16, v20, -v13
	v_fma_f32 v13, -v6, v29, v13
	v_fma_f32 v13, -v7, v30, v13
	;; [unrolled: 1-line block ×3, first 2 shown]
	s_waitcnt lgkmcnt(1)
	v_fma_f32 v13, -v24, v32, v13
	v_fma_f32 v13, -v25, v33, v13
	;; [unrolled: 1-line block ×3, first 2 shown]
	ds_read_b128 v[28:31], v4 offset:1328
	ds_read_b32 v20, v4 offset:1344
	v_fma_f32 v13, -v27, v35, v13
	s_waitcnt lgkmcnt(2)
	v_fma_f32 v13, -v16, v36, v13
	v_fma_f32 v13, -v17, v37, v13
	;; [unrolled: 1-line block ×3, first 2 shown]
	ds_read_b128 v[32:35], v4 offset:1360
	v_fma_f32 v13, -v19, v39, v13
	s_waitcnt lgkmcnt(2)
	v_fma_f32 v13, -v9, v28, v13
	v_fma_f32 v13, -v10, v29, v13
	;; [unrolled: 1-line block ×4, first 2 shown]
	ds_read_b128 v[28:31], v4 offset:1376
	s_waitcnt lgkmcnt(1)
	v_mul_f32_e32 v14, v5, v32
	v_fma_f32 v14, s16, v21, -v14
	v_fma_f32 v14, -v6, v33, v14
	v_fma_f32 v14, -v7, v34, v14
	;; [unrolled: 1-line block ×3, first 2 shown]
	ds_read_b128 v[32:35], v4 offset:1392
	s_waitcnt lgkmcnt(1)
	v_fma_f32 v14, -v24, v28, v14
	v_fma_f32 v14, -v25, v29, v14
	;; [unrolled: 1-line block ×4, first 2 shown]
	ds_read_b128 v[28:31], v4 offset:1408
	s_waitcnt lgkmcnt(1)
	v_fma_f32 v14, -v16, v32, v14
	v_fma_f32 v14, -v17, v33, v14
	;; [unrolled: 1-line block ×4, first 2 shown]
	s_waitcnt lgkmcnt(0)
	v_fma_f32 v14, -v9, v28, v14
	v_fma_f32 v21, -v10, v29, v14
	ds_read_b64 v[14:15], v4 offset:1424
	ds_read_b128 v[32:35], v4 offset:1440
	v_fma_f32 v21, -v11, v30, v21
	v_fma_f32 v21, -v12, v31, v21
	v_mul_f32_e32 v13, v13, v20
	s_waitcnt lgkmcnt(1)
	v_fma_f32 v14, -v13, v14, v21
	v_mul_f32_e32 v14, v14, v15
	s_waitcnt lgkmcnt(0)
	v_mul_f32_e32 v15, v5, v32
	ds_read_b128 v[28:31], v4 offset:1456
	v_fma_f32 v15, s16, v22, -v15
	v_fma_f32 v15, -v6, v33, v15
	v_fma_f32 v15, -v7, v34, v15
	;; [unrolled: 1-line block ×3, first 2 shown]
	ds_read_b128 v[32:35], v4 offset:1472
	s_waitcnt lgkmcnt(1)
	v_fma_f32 v15, -v24, v28, v15
	v_fma_f32 v15, -v25, v29, v15
	;; [unrolled: 1-line block ×4, first 2 shown]
	ds_read_b128 v[28:31], v4 offset:1488
	ds_read_b96 v[20:22], v4 offset:1504
	s_waitcnt lgkmcnt(2)
	v_fma_f32 v15, -v16, v32, v15
	v_fma_f32 v15, -v17, v33, v15
	;; [unrolled: 1-line block ×4, first 2 shown]
	s_waitcnt lgkmcnt(1)
	v_fma_f32 v15, -v9, v28, v15
	v_fma_f32 v15, -v10, v29, v15
	;; [unrolled: 1-line block ×4, first 2 shown]
	ds_read_b128 v[28:31], v4 offset:1520
	ds_read_b128 v[32:35], v4 offset:1536
	s_waitcnt lgkmcnt(2)
	v_fma_f32 v15, -v13, v20, v15
	v_fma_f32 v15, -v14, v21, v15
	v_mul_f32_e32 v15, v15, v22
	s_waitcnt lgkmcnt(1)
	v_mul_f32_e32 v5, v5, v28
	v_fma_f32 v5, s16, v23, -v5
	v_fma_f32 v5, -v6, v29, v5
	v_fma_f32 v5, -v7, v30, v5
	;; [unrolled: 1-line block ×3, first 2 shown]
	s_waitcnt lgkmcnt(0)
	v_fma_f32 v20, -v24, v32, v5
	ds_read_b128 v[5:8], v4 offset:1552
	v_fma_f32 v20, -v25, v33, v20
	v_fma_f32 v20, -v26, v34, v20
	;; [unrolled: 1-line block ×3, first 2 shown]
	ds_read_b128 v[20:23], v4 offset:1568
	s_waitcnt lgkmcnt(1)
	v_fma_f32 v5, -v16, v5, v24
	v_fma_f32 v5, -v17, v6, v5
	;; [unrolled: 1-line block ×4, first 2 shown]
	ds_read_b128 v[4:7], v4 offset:1584
	s_waitcnt lgkmcnt(1)
	v_fma_f32 v8, -v9, v20, v8
	v_fma_f32 v8, -v10, v21, v8
	;; [unrolled: 1-line block ×4, first 2 shown]
	s_waitcnt lgkmcnt(0)
	v_fma_f32 v4, -v13, v4, v8
	v_fma_f32 v4, -v14, v5, v4
	;; [unrolled: 1-line block ×3, first 2 shown]
	v_mul_f32_e32 v16, v4, v7
	global_store_dwordx4 v[0:1], v[13:16], off offset:64
	s_cmp_lt_i32 s0, s17
	s_cbranch_scc1 .LBB22_11
	s_branch .LBB22_24
.LBB22_10:
	s_mov_b32 s0, 0
	s_cmp_lt_i32 s0, s17
	s_cbranch_scc0 .LBB22_24
.LBB22_11:
	s_add_i32 s1, s0, 15
	s_cmp_ge_u32 s1, s17
	s_cbranch_scc1 .LBB22_19
; %bb.12:
	s_lshl_b32 s1, s0, 2
	v_add_co_u32_e32 v4, vcc, s1, v0
	v_addc_co_u32_e32 v5, vcc, 0, v1, vcc
	global_load_dwordx4 v[6:9], v[4:5], off
	global_load_dwordx4 v[10:13], v[4:5], off offset:16
	global_load_dwordx4 v[22:25], v[4:5], off offset:32
	;; [unrolled: 1-line block ×3, first 2 shown]
	s_andn2_b64 vcc, exec, s[8:9]
	s_waitcnt vmcnt(3)
	v_mul_f32_e32 v20, s16, v6
	v_mul_f32_e32 v21, s16, v7
	v_mul_f32_e32 v19, s16, v8
	v_mul_f32_e32 v18, s16, v9
	s_waitcnt vmcnt(2)
	v_mul_f32_e32 v17, s16, v10
	v_mul_f32_e32 v16, s16, v11
	v_mul_f32_e32 v15, s16, v12
	v_mul_f32_e32 v14, s16, v13
	s_waitcnt vmcnt(1)
	v_mul_f32_e32 v13, s16, v22
	v_mul_f32_e32 v12, s16, v23
	v_mul_f32_e32 v11, s16, v24
	v_mul_f32_e32 v10, s16, v25
	s_waitcnt vmcnt(0)
	v_mul_f32_e32 v9, s16, v26
	v_mul_f32_e32 v8, s16, v27
	v_mul_f32_e32 v7, s16, v28
	v_mul_f32_e32 v6, s16, v29
	s_cbranch_vccnz .LBB22_14
; %bb.13:
	s_mul_i32 s3, s0, 0x50
	s_mov_b64 s[8:9], 0
	s_branch .LBB22_15
.LBB22_14:
	s_mov_b64 s[8:9], -1
                                        ; implicit-def: $sgpr3
.LBB22_15:
	s_andn2_b64 vcc, exec, s[8:9]
	s_cbranch_vccnz .LBB22_18
; %bb.16:
	s_add_u32 s6, s10, s6
	s_addc_u32 s7, s11, s7
	s_add_u32 s4, s6, s4
	s_addc_u32 s5, s7, s5
	v_mov_b32_e32 v22, s5
	v_add_co_u32_e32 v2, vcc, s4, v2
	v_addc_co_u32_e32 v3, vcc, v22, v3, vcc
	s_mul_i32 s3, s0, 0x50
	v_add_co_u32_e32 v2, vcc, 4, v2
	v_addc_co_u32_e32 v3, vcc, 0, v3, vcc
	s_mov_b32 s4, s0
	s_mov_b32 s5, s3
.LBB22_17:                              ; =>This Inner Loop Header: Depth=1
	global_load_dwordx2 v[38:39], v[2:3], off offset:-4
	v_mov_b32_e32 v40, s5
	ds_read2_b64 v[22:25], v40 offset1:10
	ds_read2_b64 v[26:29], v40 offset0:20 offset1:30
	ds_read2_b64 v[30:33], v40 offset0:40 offset1:50
	;; [unrolled: 1-line block ×3, first 2 shown]
	s_add_i32 s5, s5, 8
	v_add_co_u32_e32 v2, vcc, 8, v2
	s_add_i32 s4, s4, -2
	v_addc_co_u32_e32 v3, vcc, 0, v3, vcc
	s_cmp_lg_u32 s4, 0
	s_waitcnt vmcnt(0) lgkmcnt(3)
	v_fma_f32 v20, -v38, v22, v20
	v_fma_f32 v21, -v38, v24, v21
	s_waitcnt lgkmcnt(2)
	v_fma_f32 v19, -v38, v26, v19
	v_fma_f32 v18, -v38, v28, v18
	s_waitcnt lgkmcnt(1)
	;; [unrolled: 3-line block ×3, first 2 shown]
	v_fma_f32 v15, -v38, v34, v15
	v_fma_f32 v14, -v38, v36, v14
	;; [unrolled: 1-line block ×4, first 2 shown]
	ds_read2_b64 v[22:25], v40 offset0:80 offset1:90
	v_fma_f32 v19, -v39, v27, v19
	v_fma_f32 v18, -v39, v29, v18
	ds_read2_b64 v[26:29], v40 offset0:100 offset1:110
	v_fma_f32 v17, -v39, v31, v17
	v_fma_f32 v16, -v39, v33, v16
	;; [unrolled: 3-line block ×3, first 2 shown]
	ds_read2_b64 v[34:37], v40 offset0:140 offset1:150
	s_waitcnt lgkmcnt(3)
	v_fma_f32 v13, -v38, v22, v13
	v_fma_f32 v12, -v38, v24, v12
	s_waitcnt lgkmcnt(2)
	v_fma_f32 v11, -v38, v26, v11
	v_fma_f32 v10, -v38, v28, v10
	;; [unrolled: 3-line block ×4, first 2 shown]
	v_fma_f32 v13, -v39, v23, v13
	v_fma_f32 v12, -v39, v25, v12
	;; [unrolled: 1-line block ×8, first 2 shown]
	s_cbranch_scc1 .LBB22_17
.LBB22_18:
	s_add_i32 s3, s1, s3
	v_mov_b32_e32 v34, s3
	s_or_b32 s3, s0, 1
	s_mulk_i32 s3, 0x50
	ds_read2_b32 v[2:3], v34 offset1:84
	s_add_i32 s1, s1, s3
	v_mov_b32_e32 v38, s1
	ds_read2_b64 v[22:25], v38 offset1:42
	ds_read_b96 v[30:32], v38 offset:80
	ds_read_b128 v[26:29], v38 offset:160
	s_waitcnt lgkmcnt(3)
	v_mul_f32_e32 v20, v20, v2
	s_add_i32 s0, s0, 16
	s_waitcnt lgkmcnt(2)
	v_fma_f32 v2, -v20, v22, v21
	v_mul_f32_e32 v21, v2, v23
	s_waitcnt lgkmcnt(1)
	v_fma_f32 v2, -v20, v30, v19
	v_fma_f32 v2, -v21, v31, v2
	v_mul_f32_e32 v22, v2, v32
	ds_read_b128 v[30:33], v38 offset:240
	s_waitcnt lgkmcnt(1)
	v_fma_f32 v2, -v20, v26, v18
	v_fma_f32 v2, -v21, v27, v2
	;; [unrolled: 1-line block ×3, first 2 shown]
	v_mul_f32_e32 v23, v2, v29
	ds_read_b128 v[26:29], v38 offset:320
	s_waitcnt lgkmcnt(1)
	v_fma_f32 v2, -v20, v30, v17
	v_fma_f32 v2, -v21, v31, v2
	;; [unrolled: 1-line block ×4, first 2 shown]
	v_mul_f32_e32 v30, v2, v3
	s_waitcnt lgkmcnt(0)
	v_fma_f32 v2, -v20, v26, v16
	v_fma_f32 v2, -v21, v27, v2
	ds_read_b128 v[16:19], v38 offset:400
	v_fma_f32 v2, -v22, v28, v2
	v_fma_f32 v2, -v23, v29, v2
	v_fma_f32 v2, -v30, v24, v2
	v_mul_f32_e32 v31, v2, v25
	ds_read_b96 v[24:26], v38 offset:416
	s_waitcnt lgkmcnt(1)
	v_fma_f32 v2, -v20, v16, v15
	v_fma_f32 v2, -v21, v17, v2
	v_fma_f32 v2, -v22, v18, v2
	ds_read_b128 v[15:18], v38 offset:480
	v_fma_f32 v2, -v23, v19, v2
	s_waitcnt lgkmcnt(1)
	v_fma_f32 v2, -v30, v24, v2
	v_fma_f32 v2, -v31, v25, v2
	v_mul_f32_e32 v32, v2, v26
	ds_read_b128 v[24:27], v38 offset:496
	s_waitcnt lgkmcnt(1)
	v_fma_f32 v2, -v20, v15, v14
	v_fma_f32 v2, -v21, v16, v2
	;; [unrolled: 1-line block ×4, first 2 shown]
	ds_read_b128 v[14:17], v38 offset:560
	s_waitcnt lgkmcnt(1)
	v_fma_f32 v2, -v30, v24, v2
	v_fma_f32 v2, -v31, v25, v2
	;; [unrolled: 1-line block ×3, first 2 shown]
	v_mul_f32_e32 v33, v2, v27
	ds_read_b128 v[24:27], v38 offset:576
	s_waitcnt lgkmcnt(1)
	v_fma_f32 v2, -v20, v14, v13
	v_fma_f32 v2, -v21, v15, v2
	;; [unrolled: 1-line block ×4, first 2 shown]
	s_waitcnt lgkmcnt(0)
	v_fma_f32 v13, -v30, v24, v2
	ds_read2_b32 v[2:3], v34 offset0:168 offset1:252
	v_fma_f32 v17, -v31, v25, v13
	ds_read_b128 v[13:16], v38 offset:640
	v_fma_f32 v17, -v32, v26, v17
	v_fma_f32 v17, -v33, v27, v17
	ds_read_b128 v[25:28], v38 offset:656
	s_waitcnt lgkmcnt(2)
	v_mul_f32_e32 v24, v17, v2
	s_waitcnt lgkmcnt(1)
	v_fma_f32 v2, -v20, v13, v12
	v_fma_f32 v2, -v21, v14, v2
	;; [unrolled: 1-line block ×4, first 2 shown]
	ds_read2_b64 v[12:15], v38 offset0:84 offset1:126
	s_waitcnt lgkmcnt(1)
	v_fma_f32 v2, -v30, v25, v2
	ds_read_b128 v[16:19], v38 offset:720
	v_fma_f32 v2, -v31, v26, v2
	v_fma_f32 v2, -v32, v27, v2
	;; [unrolled: 1-line block ×3, first 2 shown]
	s_waitcnt lgkmcnt(1)
	v_fma_f32 v2, -v24, v12, v2
	ds_read_b128 v[26:29], v38 offset:736
	v_mul_f32_e32 v25, v2, v13
	s_waitcnt lgkmcnt(1)
	v_fma_f32 v2, -v20, v16, v11
	v_fma_f32 v2, -v21, v17, v2
	;; [unrolled: 1-line block ×4, first 2 shown]
	ds_read_b96 v[11:13], v38 offset:752
	ds_read_b128 v[16:19], v38 offset:800
	s_waitcnt lgkmcnt(2)
	v_fma_f32 v2, -v30, v26, v2
	v_fma_f32 v2, -v31, v27, v2
	v_fma_f32 v2, -v32, v28, v2
	v_fma_f32 v2, -v33, v29, v2
	s_waitcnt lgkmcnt(1)
	v_fma_f32 v2, -v24, v11, v2
	v_fma_f32 v2, -v25, v12, v2
	v_mul_f32_e32 v26, v2, v13
	s_waitcnt lgkmcnt(0)
	v_fma_f32 v2, -v20, v16, v10
	ds_read_b128 v[10:13], v38 offset:816
	v_fma_f32 v2, -v21, v17, v2
	v_fma_f32 v2, -v22, v18, v2
	;; [unrolled: 1-line block ×3, first 2 shown]
	ds_read_b128 v[16:19], v38 offset:832
	s_waitcnt lgkmcnt(1)
	v_fma_f32 v2, -v30, v10, v2
	v_fma_f32 v2, -v31, v11, v2
	;; [unrolled: 1-line block ×4, first 2 shown]
	s_waitcnt lgkmcnt(0)
	v_fma_f32 v2, -v24, v16, v2
	ds_read_b128 v[10:13], v38 offset:880
	v_fma_f32 v2, -v25, v17, v2
	v_fma_f32 v2, -v26, v18, v2
	v_mul_f32_e32 v27, v2, v19
	global_store_dwordx4 v[4:5], v[20:23], off
	global_store_dwordx4 v[4:5], v[30:33], off offset:16
	global_store_dwordx4 v[4:5], v[24:27], off offset:32
	ds_read_b128 v[16:19], v38 offset:896
	ds_read_b128 v[34:37], v38 offset:912
	s_waitcnt lgkmcnt(2)
	v_fma_f32 v2, -v20, v10, v9
	v_fma_f32 v2, -v21, v11, v2
	;; [unrolled: 1-line block ×4, first 2 shown]
	s_waitcnt lgkmcnt(1)
	v_fma_f32 v2, -v30, v16, v2
	v_fma_f32 v2, -v31, v17, v2
	;; [unrolled: 1-line block ×4, first 2 shown]
	ds_read_b128 v[9:12], v38 offset:960
	ds_read_b128 v[16:19], v38 offset:976
	s_waitcnt lgkmcnt(2)
	v_fma_f32 v2, -v24, v34, v2
	v_fma_f32 v2, -v25, v35, v2
	;; [unrolled: 1-line block ×4, first 2 shown]
	v_mul_f32_e32 v13, v2, v3
	s_waitcnt lgkmcnt(1)
	v_fma_f32 v2, -v20, v9, v8
	v_fma_f32 v2, -v21, v10, v2
	;; [unrolled: 1-line block ×4, first 2 shown]
	ds_read_b128 v[8:11], v38 offset:992
	s_waitcnt lgkmcnt(1)
	v_fma_f32 v2, -v30, v16, v2
	v_fma_f32 v2, -v31, v17, v2
	v_fma_f32 v2, -v32, v18, v2
	v_fma_f32 v2, -v33, v19, v2
	ds_read_b128 v[16:19], v38 offset:1040
	s_waitcnt lgkmcnt(1)
	v_fma_f32 v2, -v24, v8, v2
	v_fma_f32 v2, -v25, v9, v2
	;; [unrolled: 1-line block ×5, first 2 shown]
	ds_read_b128 v[8:11], v38 offset:1056
	v_mul_f32_e32 v14, v2, v15
	s_waitcnt lgkmcnt(1)
	v_fma_f32 v2, -v20, v16, v7
	v_fma_f32 v2, -v21, v17, v2
	;; [unrolled: 1-line block ×4, first 2 shown]
	ds_read_b128 v[15:18], v38 offset:1072
	s_waitcnt lgkmcnt(1)
	v_fma_f32 v2, -v30, v8, v2
	v_fma_f32 v2, -v31, v9, v2
	;; [unrolled: 1-line block ×4, first 2 shown]
	ds_read_b96 v[34:36], v38 offset:1088
	ds_read_b128 v[7:10], v38 offset:1120
	s_waitcnt lgkmcnt(2)
	v_fma_f32 v2, -v24, v15, v2
	v_fma_f32 v2, -v25, v16, v2
	;; [unrolled: 1-line block ×4, first 2 shown]
	s_waitcnt lgkmcnt(1)
	v_fma_f32 v2, -v13, v34, v2
	v_fma_f32 v2, -v14, v35, v2
	ds_read_b128 v[16:19], v38 offset:1136
	v_mul_f32_e32 v15, v2, v36
	s_waitcnt lgkmcnt(1)
	v_fma_f32 v2, -v20, v7, v6
	v_fma_f32 v2, -v21, v8, v2
	;; [unrolled: 1-line block ×4, first 2 shown]
	ds_read_b128 v[6:9], v38 offset:1152
	s_waitcnt lgkmcnt(1)
	v_fma_f32 v2, -v30, v16, v2
	v_fma_f32 v2, -v31, v17, v2
	;; [unrolled: 1-line block ×4, first 2 shown]
	ds_read_b128 v[16:19], v38 offset:1168
	s_waitcnt lgkmcnt(1)
	v_fma_f32 v2, -v24, v6, v2
	v_fma_f32 v2, -v25, v7, v2
	;; [unrolled: 1-line block ×4, first 2 shown]
	s_waitcnt lgkmcnt(0)
	v_fma_f32 v2, -v13, v16, v2
	v_fma_f32 v2, -v14, v17, v2
	;; [unrolled: 1-line block ×3, first 2 shown]
	v_mul_f32_e32 v16, v2, v19
	global_store_dwordx4 v[4:5], v[13:16], off offset:48
.LBB22_19:
	s_cmp_ge_i32 s0, s17
	s_cbranch_scc1 .LBB22_24
; %bb.20:
	s_mul_i32 s3, s0, 0x50
	s_mov_b32 s1, 0
	s_branch .LBB22_22
.LBB22_21:                              ;   in Loop: Header=BB22_22 Depth=1
	s_mul_i32 s4, s0, 0x54
	v_mov_b32_e32 v4, s4
	ds_read_b32 v4, v4
	s_add_i32 s0, s0, 1
	s_addk_i32 s3, 0x50
	s_cmp_ge_i32 s0, s17
	s_waitcnt lgkmcnt(0)
	v_mul_f32_e32 v4, v6, v4
	global_store_dword v[2:3], v4, off
	s_cbranch_scc1 .LBB22_24
.LBB22_22:                              ; =>This Loop Header: Depth=1
                                        ;     Child Loop BB22_23 Depth 2
	s_lshl_b64 s[4:5], s[0:1], 2
	v_mov_b32_e32 v3, s5
	v_add_co_u32_e32 v2, vcc, s4, v0
	v_addc_co_u32_e32 v3, vcc, v1, v3, vcc
	global_load_dword v6, v[2:3], off
	v_mov_b32_e32 v5, v1
	v_mov_b32_e32 v4, v0
	s_mov_b32 s4, s0
	s_cmp_eq_u32 s0, 0
	s_mov_b32 s5, s3
	s_waitcnt vmcnt(0)
	v_mul_f32_e32 v6, s16, v6
	s_cbranch_scc1 .LBB22_21
.LBB22_23:                              ;   Parent Loop BB22_22 Depth=1
                                        ; =>  This Inner Loop Header: Depth=2
	global_load_dword v7, v[4:5], off
	v_mov_b32_e32 v8, s5
	ds_read_b32 v8, v8
	s_add_i32 s5, s5, 4
	s_add_i32 s4, s4, -1
	v_add_co_u32_e32 v4, vcc, 4, v4
	v_addc_co_u32_e32 v5, vcc, 0, v5, vcc
	s_cmp_lg_u32 s4, 0
	s_waitcnt vmcnt(0) lgkmcnt(0)
	v_fma_f32 v6, -v7, v8, v6
	s_cbranch_scc1 .LBB22_23
	s_branch .LBB22_21
.LBB22_24:
	s_mov_b64 s[0:1], 0
.LBB22_25:
	s_and_b64 vcc, exec, s[0:1]
	s_cbranch_vccz .LBB22_51
; %bb.26:
	s_add_i32 s8, s17, -1
	s_cmp_gt_i32 s2, 19
	s_mov_b32 s0, -1
	s_cbranch_scc0 .LBB22_28
; %bb.27:
	global_load_dwordx4 v[3:6], v[0:1], off offset:64
	global_load_dwordx4 v[7:10], v[0:1], off offset:48
	;; [unrolled: 1-line block ×4, first 2 shown]
	global_load_dwordx4 v[23:26], v[0:1], off
	v_mov_b32_e32 v2, 0
	ds_read_b128 v[19:22], v2 offset:1584
	ds_read_b128 v[27:30], v2 offset:1568
	s_waitcnt vmcnt(4)
	v_mul_f32_e32 v6, s16, v6
	s_waitcnt lgkmcnt(1)
	v_mul_f32_e32 v6, v6, v22
	v_mul_f32_e32 v21, v6, v21
	;; [unrolled: 1-line block ×4, first 2 shown]
	v_fma_f32 v31, s16, v5, -v21
	v_fma_f32 v32, s16, v4, -v20
	;; [unrolled: 1-line block ×3, first 2 shown]
	s_waitcnt lgkmcnt(0)
	v_mul_f32_e32 v3, v6, v30
	v_mul_f32_e32 v4, v6, v29
	;; [unrolled: 1-line block ×4, first 2 shown]
	s_waitcnt vmcnt(3)
	v_fma_f32 v28, s16, v10, -v3
	v_fma_f32 v29, s16, v9, -v4
	;; [unrolled: 1-line block ×4, first 2 shown]
	ds_read_b128 v[7:10], v2 offset:1536
	ds_read_b96 v[3:5], v2 offset:1504
	ds_read_b128 v[19:22], v2 offset:1552
	s_waitcnt lgkmcnt(2)
	v_mul_f32_e32 v34, v6, v10
	v_mul_f32_e32 v35, v6, v9
	;; [unrolled: 1-line block ×4, first 2 shown]
	ds_read_b128 v[7:10], v2 offset:1488
	s_waitcnt lgkmcnt(2)
	v_mul_f32_e32 v5, v31, v5
	s_waitcnt vmcnt(1)
	v_fma_f32 v18, s16, v18, -v34
	v_fma_f32 v17, s16, v17, -v35
	;; [unrolled: 1-line block ×3, first 2 shown]
	s_waitcnt lgkmcnt(0)
	v_fma_f32 v28, -v5, v10, v28
	v_fma_f32 v29, -v5, v9, v29
	;; [unrolled: 1-line block ×4, first 2 shown]
	ds_read_b128 v[7:10], v2 offset:1456
	v_fma_f32 v35, s16, v15, -v37
	ds_read_b64 v[15:16], v2 offset:1424
	v_mul_f32_e32 v22, v6, v22
	v_mul_f32_e32 v21, v6, v21
	s_waitcnt lgkmcnt(1)
	v_fma_f32 v31, -v5, v10, v18
	v_fma_f32 v36, -v5, v9, v17
	;; [unrolled: 1-line block ×4, first 2 shown]
	ds_read_b128 v[7:10], v2 offset:1408
	v_mul_f32_e32 v20, v6, v20
	v_mul_f32_e32 v19, v6, v19
	v_fma_f32 v4, -v5, v4, v32
	v_fma_f32 v22, s16, v14, -v22
	v_fma_f32 v21, s16, v13, -v21
	;; [unrolled: 1-line block ×4, first 2 shown]
	ds_read_b128 v[11:14], v2 offset:1472
	s_waitcnt lgkmcnt(2)
	v_mul_f32_e32 v4, v4, v16
	s_waitcnt lgkmcnt(1)
	v_fma_f32 v28, -v4, v10, v28
	v_fma_f32 v29, -v4, v9, v29
	;; [unrolled: 1-line block ×4, first 2 shown]
	ds_read_b128 v[7:10], v2 offset:1392
	s_waitcnt lgkmcnt(1)
	v_fma_f32 v22, -v5, v14, v22
	v_fma_f32 v21, -v5, v13, v21
	;; [unrolled: 1-line block ×5, first 2 shown]
	ds_read_b32 v32, v2 offset:1344
	v_fma_f32 v3, -v4, v15, v3
	ds_read_b128 v[15:18], v2 offset:1328
	s_waitcnt lgkmcnt(2)
	v_fma_f32 v22, -v4, v10, v22
	v_fma_f32 v21, -v4, v9, v21
	;; [unrolled: 1-line block ×4, first 2 shown]
	ds_read_b128 v[7:10], v2 offset:1312
	s_waitcnt lgkmcnt(2)
	v_mul_f32_e32 v3, v3, v32
	ds_read_b128 v[11:14], v2 offset:1520
	global_store_dwordx4 v[0:1], v[3:6], off offset:64
	s_waitcnt lgkmcnt(1)
	v_fma_f32 v22, -v3, v10, v22
	v_fma_f32 v21, -v3, v9, v21
	;; [unrolled: 1-line block ×4, first 2 shown]
	ds_read_b128 v[7:10], v2 offset:1296
	v_fma_f32 v28, -v3, v18, v28
	v_fma_f32 v29, -v3, v17, v29
	;; [unrolled: 1-line block ×4, first 2 shown]
	ds_read_b128 v[15:18], v2 offset:1376
	s_waitcnt lgkmcnt(2)
	v_mul_f32_e32 v14, v6, v14
	v_mul_f32_e32 v13, v6, v13
	;; [unrolled: 1-line block ×4, first 2 shown]
	s_waitcnt lgkmcnt(0)
	v_fma_f32 v19, -v4, v18, v31
	v_fma_f32 v31, -v4, v17, v36
	;; [unrolled: 1-line block ×4, first 2 shown]
	ds_read_b128 v[15:18], v2 offset:1440
	v_fma_f32 v35, -v3, v10, v19
	v_fma_f32 v31, -v3, v9, v31
	;; [unrolled: 1-line block ×4, first 2 shown]
	ds_read_b128 v[7:10], v2 offset:1360
	s_waitcnt vmcnt(1)
	v_fma_f32 v14, s16, v26, -v14
	v_fma_f32 v13, s16, v25, -v13
	v_fma_f32 v12, s16, v24, -v12
	v_fma_f32 v11, s16, v23, -v11
	s_waitcnt lgkmcnt(1)
	v_fma_f32 v14, -v5, v18, v14
	s_waitcnt lgkmcnt(0)
	v_fma_f32 v18, -v4, v10, v14
	v_fma_f32 v14, -v5, v17, v13
	;; [unrolled: 1-line block ×4, first 2 shown]
	ds_read_b128 v[10:13], v2 offset:1280
	v_fma_f32 v9, -v4, v9, v14
	v_fma_f32 v8, -v4, v8, v16
	;; [unrolled: 1-line block ×3, first 2 shown]
	ds_read_b128 v[14:17], v2 offset:1248
	s_waitcnt lgkmcnt(1)
	v_fma_f32 v25, -v3, v13, v18
	v_fma_f32 v26, -v3, v12, v9
	;; [unrolled: 1-line block ×4, first 2 shown]
	ds_read_b128 v[3:6], v2 offset:1232
	s_waitcnt lgkmcnt(1)
	v_mul_f32_e32 v7, v28, v17
	ds_read_b96 v[17:19], v2 offset:1168
	ds_read_b128 v[8:11], v2 offset:1152
	v_fma_f32 v12, -v7, v16, v29
	v_fma_f32 v24, -v7, v14, v27
	s_waitcnt lgkmcnt(2)
	v_fma_f32 v13, -v7, v6, v22
	v_fma_f32 v5, -v7, v5, v21
	;; [unrolled: 1-line block ×3, first 2 shown]
	s_waitcnt lgkmcnt(1)
	v_mul_f32_e32 v6, v12, v19
	v_fma_f32 v14, -v7, v3, v32
	s_waitcnt lgkmcnt(0)
	v_fma_f32 v19, -v6, v11, v13
	v_fma_f32 v20, -v6, v10, v5
	;; [unrolled: 1-line block ×3, first 2 shown]
	ds_read_b64 v[3:4], v2 offset:1088
	ds_read_b128 v[9:12], v2 offset:1072
	v_fma_f32 v23, -v7, v15, v30
	v_fma_f32 v5, -v6, v18, v23
	;; [unrolled: 1-line block ×3, first 2 shown]
	ds_read_b128 v[13:16], v2 offset:1216
	s_waitcnt lgkmcnt(2)
	v_mul_f32_e32 v5, v5, v4
	ds_read_b32 v4, v2 offset:1008
	s_waitcnt lgkmcnt(2)
	v_fma_f32 v28, -v5, v10, v21
	v_fma_f32 v21, -v6, v17, v24
	;; [unrolled: 1-line block ×5, first 2 shown]
	ds_read_b128 v[8:11], v2 offset:992
	ds_read_b128 v[17:20], v2 offset:1200
	v_fma_f32 v3, -v5, v3, v21
	ds_read_b128 v[21:24], v2 offset:912
	s_waitcnt lgkmcnt(3)
	v_mul_f32_e32 v4, v3, v4
	s_waitcnt lgkmcnt(2)
	v_fma_f32 v3, -v4, v11, v12
	v_fma_f32 v10, -v4, v10, v27
	v_fma_f32 v11, -v4, v9, v28
	v_fma_f32 v8, -v4, v8, v29
	s_waitcnt lgkmcnt(0)
	v_mul_f32_e32 v9, v3, v24
	v_fma_f32 v3, -v9, v23, v10
	v_fma_f32 v27, -v9, v22, v11
	;; [unrolled: 1-line block ×3, first 2 shown]
	ds_read_b128 v[21:24], v2 offset:1136
	v_fma_f32 v8, -v7, v16, v35
	v_fma_f32 v16, -v7, v13, v34
	ds_read_b128 v[10:13], v2 offset:1056
	v_fma_f32 v15, -v7, v15, v31
	v_fma_f32 v14, -v7, v14, v33
	s_waitcnt lgkmcnt(1)
	v_fma_f32 v8, -v6, v24, v8
	v_fma_f32 v15, -v6, v23, v15
	;; [unrolled: 1-line block ×4, first 2 shown]
	ds_read_b128 v[21:24], v2 offset:976
	s_waitcnt lgkmcnt(1)
	v_fma_f32 v8, -v5, v13, v8
	v_fma_f32 v15, -v5, v12, v15
	;; [unrolled: 1-line block ×4, first 2 shown]
	ds_read_b128 v[10:13], v2 offset:1120
	s_waitcnt lgkmcnt(1)
	v_fma_f32 v29, -v4, v24, v8
	v_fma_f32 v8, -v7, v20, v25
	;; [unrolled: 1-line block ×8, first 2 shown]
	ds_read_b128 v[21:24], v2 offset:1040
	ds_read_b128 v[14:17], v2 offset:960
	s_waitcnt lgkmcnt(2)
	v_fma_f32 v12, -v6, v12, v19
	v_fma_f32 v11, -v6, v11, v18
	;; [unrolled: 1-line block ×3, first 2 shown]
	ds_read_b96 v[18:20], v2 offset:832
	v_fma_f32 v8, -v6, v13, v8
	s_waitcnt lgkmcnt(2)
	v_fma_f32 v24, -v5, v24, v8
	v_fma_f32 v23, -v5, v23, v12
	;; [unrolled: 1-line block ×4, first 2 shown]
	s_waitcnt lgkmcnt(0)
	v_mul_f32_e32 v8, v3, v20
	global_store_dwordx4 v[0:1], v[4:7], off offset:48
	ds_read_b128 v[10:13], v2 offset:816
	v_fma_f32 v7, -v8, v19, v27
	v_fma_f32 v20, -v8, v18, v28
	ds_read_b64 v[18:19], v2 offset:752
	v_fma_f32 v33, -v4, v17, v24
	v_fma_f32 v34, -v4, v16, v23
	;; [unrolled: 1-line block ×4, first 2 shown]
	ds_read_b128 v[3:6], v2 offset:896
	ds_read_b128 v[14:17], v2 offset:800
	s_waitcnt lgkmcnt(2)
	v_mul_f32_e32 v7, v7, v19
	v_fma_f32 v26, -v7, v18, v20
	ds_read_b128 v[18:21], v2 offset:880
	s_waitcnt lgkmcnt(2)
	v_fma_f32 v6, -v9, v6, v29
	v_fma_f32 v22, -v8, v13, v6
	;; [unrolled: 1-line block ×5, first 2 shown]
	ds_read_b128 v[3:6], v2 offset:736
	v_fma_f32 v25, -v8, v12, v13
	v_fma_f32 v27, -v8, v11, v23
	;; [unrolled: 1-line block ×3, first 2 shown]
	ds_read_b128 v[10:13], v2 offset:720
	s_waitcnt lgkmcnt(1)
	v_fma_f32 v30, -v7, v6, v22
	ds_read_b32 v6, v2 offset:672
	v_fma_f32 v5, -v7, v5, v25
	ds_read_b128 v[22:25], v2 offset:656
	v_fma_f32 v4, -v7, v4, v27
	v_fma_f32 v3, -v7, v3, v28
	s_waitcnt lgkmcnt(1)
	v_mul_f32_e32 v6, v26, v6
	ds_read_b128 v[26:29], v2 offset:576
	s_waitcnt lgkmcnt(1)
	v_fma_f32 v25, -v6, v25, v30
	v_fma_f32 v3, -v6, v22, v3
	;; [unrolled: 1-line block ×4, first 2 shown]
	s_waitcnt lgkmcnt(0)
	v_mul_f32_e32 v22, v25, v29
	v_fma_f32 v29, -v22, v26, v3
	v_fma_f32 v3, -v9, v21, v33
	;; [unrolled: 1-line block ×5, first 2 shown]
	ds_read_b96 v[3:5], v2 offset:496
	v_fma_f32 v20, -v9, v20, v34
	v_fma_f32 v19, -v9, v19, v35
	;; [unrolled: 1-line block ×6, first 2 shown]
	ds_read_b128 v[14:17], v2 offset:560
	s_waitcnt lgkmcnt(1)
	v_mul_f32_e32 v21, v28, v5
	ds_read_b128 v[23:26], v2 offset:640
	v_fma_f32 v5, -v21, v4, v27
	v_fma_f32 v27, -v21, v3, v29
	ds_read_b64 v[3:4], v2 offset:416
	ds_read_b32 v31, v2 offset:336
	v_fma_f32 v33, -v7, v12, v20
	v_fma_f32 v32, -v7, v13, v30
	;; [unrolled: 1-line block ×3, first 2 shown]
	s_waitcnt lgkmcnt(1)
	v_mul_f32_e32 v20, v5, v4
	v_fma_f32 v18, -v7, v10, v18
	ds_read_b128 v[10:13], v2 offset:480
	v_fma_f32 v3, -v20, v3, v27
	ds_read_b128 v[27:30], v2 offset:400
	s_waitcnt lgkmcnt(2)
	v_mul_f32_e32 v19, v3, v31
	global_store_dwordx4 v[0:1], v[6:9], off offset:32
	global_store_dwordx4 v[0:1], v[19:22], off offset:16
	v_fma_f32 v7, -v6, v26, v32
	v_fma_f32 v8, -v6, v25, v33
	;; [unrolled: 1-line block ×4, first 2 shown]
	ds_read_b128 v[3:6], v2 offset:320
	ds_read_b128 v[23:26], v2 offset:240
	v_fma_f32 v7, -v22, v17, v7
	s_waitcnt lgkmcnt(3)
	v_fma_f32 v7, -v21, v13, v7
	s_waitcnt lgkmcnt(2)
	;; [unrolled: 2-line block ×3, first 2 shown]
	v_fma_f32 v6, -v19, v6, v7
	v_fma_f32 v7, -v22, v16, v8
	;; [unrolled: 1-line block ×7, first 2 shown]
	ds_read_b96 v[7:9], v2 offset:160
	v_fma_f32 v10, -v20, v29, v12
	s_waitcnt lgkmcnt(1)
	v_mul_f32_e32 v6, v6, v26
	v_fma_f32 v5, -v19, v5, v10
	v_fma_f32 v5, -v6, v25, v5
	ds_read_b64 v[10:11], v2 offset:80
	s_waitcnt lgkmcnt(1)
	v_mul_f32_e32 v5, v5, v9
	v_fma_f32 v9, -v20, v28, v13
	v_fma_f32 v4, -v19, v4, v9
	;; [unrolled: 1-line block ×4, first 2 shown]
	ds_read_b32 v2, v2
	v_fma_f32 v8, -v20, v27, v14
	v_fma_f32 v3, -v19, v3, v8
	;; [unrolled: 1-line block ×3, first 2 shown]
	s_waitcnt lgkmcnt(1)
	v_mul_f32_e32 v4, v4, v11
	v_fma_f32 v3, -v5, v7, v3
	v_fma_f32 v3, -v4, v10, v3
	s_waitcnt lgkmcnt(0)
	v_mul_f32_e32 v3, v3, v2
	global_store_dwordx4 v[0:1], v[3:6], off
	s_cmp_gt_i32 s0, -1
	s_cbranch_scc1 .LBB22_29
	s_branch .LBB22_51
.LBB22_28:
	s_mov_b32 s0, s8
	s_cmp_gt_i32 s0, -1
	s_cbranch_scc0 .LBB22_51
.LBB22_29:
	s_cmp_lt_u32 s0, 15
	s_cbranch_scc1 .LBB22_34
; %bb.30:
	s_mov_b32 s3, 0
	s_mov_b32 s1, s3
	s_lshl_b64 s[4:5], s[0:1], 2
	v_mov_b32_e32 v3, s5
	v_add_co_u32_e32 v2, vcc, s4, v0
	v_addc_co_u32_e32 v3, vcc, v1, v3, vcc
	global_load_dwordx4 v[4:7], v[2:3], off offset:-12
	global_load_dwordx4 v[12:15], v[2:3], off offset:-28
	;; [unrolled: 1-line block ×4, first 2 shown]
	s_cmp_le_i32 s8, s0
	s_waitcnt vmcnt(3)
	v_mul_f32_e32 v11, s16, v7
	v_mul_f32_e32 v10, s16, v6
	v_mul_f32_e32 v19, s16, v5
	v_mul_f32_e32 v18, s16, v4
	s_waitcnt vmcnt(2)
	v_mul_f32_e32 v4, s16, v15
	v_mul_f32_e32 v5, s16, v14
	v_mul_f32_e32 v7, s16, v13
	v_mul_f32_e32 v9, s16, v12
	;; [unrolled: 5-line block ×4, first 2 shown]
	s_cbranch_scc1 .LBB22_33
; %bb.31:
	s_mul_i32 s1, s17, 0x50
	s_lshl_b32 s2, s0, 2
	s_add_i32 s1, s1, s2
	s_addk_i32 s1, 0xff74
	s_mov_b32 s2, s8
.LBB22_32:                              ; =>This Inner Loop Header: Depth=1
	s_lshl_b64 s[4:5], s[2:3], 2
	v_mov_b32_e32 v21, s5
	v_add_co_u32_e32 v20, vcc, s4, v0
	v_addc_co_u32_e32 v21, vcc, v1, v21, vcc
	global_load_dword v36, v[20:21], off
	v_mov_b32_e32 v34, s1
	ds_read2_b32 v[20:21], v34 offset0:14 offset1:15
	ds_read2_b32 v[22:23], v34 offset0:12 offset1:13
	;; [unrolled: 1-line block ×7, first 2 shown]
	ds_read2_b32 v[34:35], v34 offset1:1
	s_add_i32 s2, s2, -1
	s_addk_i32 s1, 0xffb0
	s_cmp_gt_i32 s2, s0
	s_waitcnt vmcnt(0) lgkmcnt(7)
	v_fma_f32 v11, -v36, v21, v11
	v_fma_f32 v10, -v36, v20, v10
	s_waitcnt lgkmcnt(6)
	v_fma_f32 v19, -v36, v23, v19
	v_fma_f32 v18, -v36, v22, v18
	s_waitcnt lgkmcnt(5)
	;; [unrolled: 3-line block ×7, first 2 shown]
	v_fma_f32 v8, -v36, v35, v8
	v_fma_f32 v6, -v36, v34, v6
	s_cbranch_scc1 .LBB22_32
.LBB22_33:
	s_add_i32 s2, s0, -1
	s_lshl_b32 s3, s2, 2
	s_mul_i32 s1, s0, 0x50
	s_add_i32 s4, s3, s1
	v_mov_b32_e32 v20, s4
	s_add_i32 s9, s1, 0xffffffb0
	s_add_i32 s4, s0, -3
	ds_read2_b32 v[20:21], v20 offset1:1
	s_add_i32 s3, s3, s9
	s_lshl_b32 s5, s4, 2
	v_mov_b32_e32 v22, s3
	s_add_i32 s3, s5, s1
	v_mov_b32_e32 v23, s3
	s_add_i32 s3, s5, s9
	v_mov_b32_e32 v24, s3
	ds_read_b32 v26, v22
	ds_read2_b32 v[22:23], v23 offset1:1
	ds_read2_b32 v[24:25], v24 offset1:1
	s_waitcnt lgkmcnt(3)
	v_mul_f32_e32 v11, v11, v21
	s_mov_b32 s3, 0
	global_store_dword v[2:3], v11, off
	v_fma_f32 v2, -v11, v20, v10
	s_lshl_b64 s[6:7], s[2:3], 2
	s_waitcnt lgkmcnt(2)
	v_mul_f32_e32 v10, v2, v26
	v_mov_b32_e32 v3, s7
	v_add_co_u32_e32 v2, vcc, s6, v0
	s_add_i32 s10, s1, 0xffffff60
	v_addc_co_u32_e32 v3, vcc, v1, v3, vcc
	s_add_i32 s6, s5, s10
	global_store_dword v[2:3], v10, off
	v_mov_b32_e32 v3, s6
	s_waitcnt lgkmcnt(1)
	v_fma_f32 v2, -v11, v23, v19
	ds_read2_b32 v[19:20], v3 offset1:1
	s_add_i32 s11, s1, 0xffffff10
	s_add_i32 s6, s0, -5
	s_add_i32 s5, s5, s11
	s_lshl_b32 s7, s6, 2
	v_mov_b32_e32 v3, s5
	s_add_i32 s5, s7, s1
	s_add_i32 s2, s0, -2
	v_mov_b32_e32 v21, s5
	s_add_i32 s5, s7, s9
	s_waitcnt lgkmcnt(1)
	v_fma_f32 v2, -v10, v25, v2
	v_mov_b32_e32 v23, s5
	ds_read_b32 v3, v3
	ds_read2_b32 v[25:26], v21 offset1:1
	ds_read2_b32 v[27:28], v23 offset1:1
	s_lshl_b64 s[12:13], s[2:3], 2
	v_fma_f32 v18, -v11, v22, v18
	s_waitcnt lgkmcnt(3)
	v_mul_f32_e32 v2, v2, v20
	v_mov_b32_e32 v21, s13
	v_add_co_u32_e32 v20, vcc, s12, v0
	v_fma_f32 v18, -v10, v24, v18
	s_mov_b32 s5, s3
	v_addc_co_u32_e32 v21, vcc, v1, v21, vcc
	v_fma_f32 v18, -v2, v19, v18
	s_lshl_b64 s[4:5], s[4:5], 2
	s_waitcnt lgkmcnt(2)
	v_mul_f32_e32 v3, v18, v3
	v_mov_b32_e32 v19, s5
	v_add_co_u32_e32 v18, vcc, s4, v0
	v_addc_co_u32_e32 v19, vcc, v1, v19, vcc
	s_add_i32 s4, s7, s10
	global_store_dword v[18:19], v3, off
	v_mov_b32_e32 v18, s4
	s_add_i32 s4, s7, s11
	s_add_i32 s12, s1, 0xfffffec0
	global_store_dword v[20:21], v2, off
	v_mov_b32_e32 v20, s4
	s_add_i32 s4, s7, s12
	v_mov_b32_e32 v22, s4
	ds_read2_b32 v[18:19], v18 offset1:1
	ds_read2_b32 v[20:21], v20 offset1:1
	;; [unrolled: 1-line block ×3, first 2 shown]
	s_waitcnt lgkmcnt(4)
	v_fma_f32 v4, -v11, v26, v4
	s_add_i32 s13, s1, 0xfffffe70
	s_waitcnt lgkmcnt(3)
	v_fma_f32 v4, -v10, v28, v4
	s_add_i32 s4, s7, s13
	s_add_i32 s2, s0, -4
	v_mov_b32_e32 v24, s4
	s_waitcnt lgkmcnt(2)
	v_fma_f32 v4, -v2, v19, v4
	ds_read_b32 v26, v24
	s_waitcnt lgkmcnt(2)
	v_fma_f32 v4, -v3, v21, v4
	s_lshl_b64 s[4:5], s[2:3], 2
	v_fma_f32 v5, -v11, v25, v5
	s_waitcnt lgkmcnt(1)
	v_mul_f32_e32 v4, v4, v23
	v_mov_b32_e32 v19, s5
	v_add_co_u32_e32 v23, vcc, s4, v0
	v_fma_f32 v5, -v10, v27, v5
	s_mov_b32 s7, s3
	v_addc_co_u32_e32 v24, vcc, v1, v19, vcc
	v_fma_f32 v5, -v2, v18, v5
	s_lshl_b64 s[4:5], s[6:7], 2
	v_fma_f32 v5, -v3, v20, v5
	v_add_co_u32_e32 v18, vcc, s4, v0
	s_add_i32 s4, s0, -7
	v_fma_f32 v5, -v4, v22, v5
	v_mov_b32_e32 v19, s5
	s_lshl_b32 s5, s4, 2
	s_waitcnt lgkmcnt(0)
	v_mul_f32_e32 v5, v5, v26
	v_addc_co_u32_e32 v19, vcc, v1, v19, vcc
	s_add_i32 s2, s5, s1
	global_store_dword v[18:19], v5, off
	v_mov_b32_e32 v18, s2
	s_add_i32 s2, s5, s9
	v_mov_b32_e32 v20, s2
	s_add_i32 s2, s5, s10
	;; [unrolled: 2-line block ×3, first 2 shown]
	global_store_dword v[23:24], v4, off
	v_mov_b32_e32 v24, s2
	ds_read2_b32 v[18:19], v18 offset1:1
	ds_read2_b32 v[20:21], v20 offset1:1
	;; [unrolled: 1-line block ×4, first 2 shown]
	s_add_i32 s6, s5, s12
	s_waitcnt lgkmcnt(3)
	v_fma_f32 v7, -v11, v19, v7
	s_waitcnt lgkmcnt(2)
	v_fma_f32 v7, -v10, v21, v7
	v_mov_b32_e32 v19, s6
	s_add_i32 s6, s5, s13
	s_add_i32 s14, s1, 0xfffffe20
	s_waitcnt lgkmcnt(1)
	v_fma_f32 v7, -v2, v23, v7
	v_mov_b32_e32 v21, s6
	s_add_i32 s6, s5, s14
	s_add_i32 s15, s1, 0xfffffdd0
	s_waitcnt lgkmcnt(0)
	v_fma_f32 v7, -v3, v25, v7
	v_mov_b32_e32 v23, s6
	ds_read2_b32 v[25:26], v19 offset1:1
	ds_read2_b32 v[27:28], v21 offset1:1
	;; [unrolled: 1-line block ×3, first 2 shown]
	s_add_i32 s5, s5, s15
	v_fma_f32 v9, -v11, v18, v9
	v_mov_b32_e32 v19, s5
	v_fma_f32 v9, -v10, v20, v9
	ds_read_b32 v19, v19
	v_fma_f32 v9, -v2, v22, v9
	s_add_i32 s2, s0, -6
	s_waitcnt lgkmcnt(3)
	v_fma_f32 v7, -v4, v26, v7
	v_fma_f32 v9, -v3, v24, v9
	s_waitcnt lgkmcnt(2)
	v_fma_f32 v7, -v5, v28, v7
	s_lshl_b64 s[6:7], s[2:3], 2
	v_fma_f32 v9, -v4, v25, v9
	s_waitcnt lgkmcnt(1)
	v_mul_f32_e32 v7, v7, v30
	v_mov_b32_e32 v21, s7
	v_add_co_u32_e32 v30, vcc, s6, v0
	v_fma_f32 v9, -v5, v27, v9
	s_mov_b32 s5, s3
	v_addc_co_u32_e32 v31, vcc, v1, v21, vcc
	v_fma_f32 v9, -v7, v29, v9
	s_lshl_b64 s[4:5], s[4:5], 2
	s_add_i32 s6, s0, -9
	s_waitcnt lgkmcnt(0)
	v_mul_f32_e32 v9, v9, v19
	v_mov_b32_e32 v19, s5
	v_add_co_u32_e32 v18, vcc, s4, v0
	s_lshl_b32 s4, s6, 2
	v_addc_co_u32_e32 v19, vcc, v1, v19, vcc
	s_add_i32 s5, s4, s1
	global_store_dword v[18:19], v9, off
	v_mov_b32_e32 v18, s5
	s_add_i32 s5, s4, s9
	v_mov_b32_e32 v20, s5
	s_add_i32 s5, s4, s10
	global_store_dword v[30:31], v7, off
	v_mov_b32_e32 v22, s5
	ds_read2_b32 v[18:19], v18 offset1:1
	ds_read2_b32 v[20:21], v20 offset1:1
	;; [unrolled: 1-line block ×3, first 2 shown]
	s_add_i32 s5, s4, s11
	v_mov_b32_e32 v24, s5
	s_add_i32 s5, s4, s12
	ds_read2_b32 v[24:25], v24 offset1:1
	s_waitcnt lgkmcnt(3)
	v_fma_f32 v13, -v11, v19, v13
	v_mov_b32_e32 v19, s5
	s_add_i32 s5, s4, s13
	s_waitcnt lgkmcnt(2)
	v_fma_f32 v13, -v10, v21, v13
	v_mov_b32_e32 v21, s5
	s_add_i32 s5, s4, s14
	;; [unrolled: 4-line block ×3, first 2 shown]
	v_mov_b32_e32 v32, s5
	ds_read2_b32 v[26:27], v19 offset1:1
	ds_read2_b32 v[28:29], v21 offset1:1
	;; [unrolled: 1-line block ×4, first 2 shown]
	s_waitcnt lgkmcnt(4)
	v_fma_f32 v13, -v3, v25, v13
	s_waitcnt lgkmcnt(3)
	v_fma_f32 v13, -v4, v27, v13
	s_add_i32 s18, s1, 0xfffffd80
	s_waitcnt lgkmcnt(2)
	v_fma_f32 v13, -v5, v29, v13
	s_add_i32 s5, s4, s18
	s_add_i32 s19, s1, 0xfffffd30
	v_fma_f32 v14, -v11, v18, v14
	s_waitcnt lgkmcnt(1)
	v_fma_f32 v13, -v7, v31, v13
	v_mov_b32_e32 v19, s5
	s_add_i32 s4, s4, s19
	v_fma_f32 v14, -v10, v20, v14
	s_waitcnt lgkmcnt(0)
	v_fma_f32 v13, -v9, v33, v13
	ds_read2_b32 v[33:34], v19 offset1:1
	v_mov_b32_e32 v19, s4
	s_add_i32 s4, s0, -11
	v_fma_f32 v14, -v2, v22, v14
	s_lshl_b32 s5, s4, 2
	v_fma_f32 v14, -v3, v24, v14
	s_add_i32 s7, s5, s1
	v_fma_f32 v14, -v4, v26, v14
	s_add_i32 s2, s0, -8
	v_mov_b32_e32 v21, s7
	s_add_i32 s7, s5, s9
	v_fma_f32 v14, -v5, v28, v14
	v_mov_b32_e32 v23, s7
	ds_read_b32 v19, v19
	ds_read2_b32 v[35:36], v21 offset1:1
	ds_read2_b32 v[37:38], v23 offset1:1
	s_lshl_b64 s[20:21], s[2:3], 2
	v_fma_f32 v14, -v7, v30, v14
	s_waitcnt lgkmcnt(3)
	v_mul_f32_e32 v13, v13, v34
	v_mov_b32_e32 v21, s21
	v_add_co_u32_e32 v39, vcc, s20, v0
	v_fma_f32 v14, -v9, v32, v14
	s_mov_b32 s7, s3
	v_addc_co_u32_e32 v40, vcc, v1, v21, vcc
	v_fma_f32 v14, -v13, v33, v14
	s_lshl_b64 s[6:7], s[6:7], 2
	s_waitcnt lgkmcnt(2)
	v_mul_f32_e32 v14, v14, v19
	v_mov_b32_e32 v19, s7
	v_add_co_u32_e32 v18, vcc, s6, v0
	v_addc_co_u32_e32 v19, vcc, v1, v19, vcc
	s_add_i32 s6, s5, s10
	global_store_dword v[18:19], v14, off
	v_mov_b32_e32 v18, s6
	s_add_i32 s6, s5, s11
	v_mov_b32_e32 v20, s6
	s_add_i32 s6, s5, s12
	global_store_dword v[39:40], v13, off
	v_mov_b32_e32 v22, s6
	ds_read2_b32 v[18:19], v18 offset1:1
	ds_read2_b32 v[20:21], v20 offset1:1
	;; [unrolled: 1-line block ×3, first 2 shown]
	s_waitcnt lgkmcnt(4)
	v_fma_f32 v17, -v11, v36, v17
	s_add_i32 s6, s5, s13
	s_waitcnt lgkmcnt(3)
	v_fma_f32 v17, -v10, v38, v17
	v_mov_b32_e32 v24, s6
	s_add_i32 s6, s5, s14
	ds_read2_b32 v[24:25], v24 offset1:1
	s_waitcnt lgkmcnt(3)
	v_fma_f32 v17, -v2, v19, v17
	v_mov_b32_e32 v19, s6
	s_add_i32 s6, s5, s15
	s_waitcnt lgkmcnt(2)
	v_fma_f32 v17, -v3, v21, v17
	v_mov_b32_e32 v21, s6
	s_add_i32 s6, s5, s18
	;; [unrolled: 4-line block ×3, first 2 shown]
	v_mov_b32_e32 v32, s6
	ds_read2_b32 v[26:27], v19 offset1:1
	ds_read2_b32 v[28:29], v21 offset1:1
	ds_read2_b32 v[30:31], v23 offset1:1
	ds_read2_b32 v[32:33], v32 offset1:1
	s_waitcnt lgkmcnt(4)
	v_fma_f32 v17, -v5, v25, v17
	v_fma_f32 v16, -v11, v35, v16
	s_waitcnt lgkmcnt(3)
	v_fma_f32 v17, -v7, v27, v17
	s_add_i32 s20, s1, 0xfffffce0
	v_fma_f32 v16, -v10, v37, v16
	s_add_i32 s2, s0, -10
	s_waitcnt lgkmcnt(2)
	v_fma_f32 v17, -v9, v29, v17
	s_add_i32 s6, s5, s20
	v_fma_f32 v16, -v2, v18, v16
	s_waitcnt lgkmcnt(1)
	v_fma_f32 v17, -v13, v31, v17
	v_mov_b32_e32 v19, s6
	s_lshl_b64 s[6:7], s[2:3], 2
	s_add_i32 s21, s1, 0xfffffc90
	v_fma_f32 v16, -v3, v20, v16
	s_waitcnt lgkmcnt(0)
	v_fma_f32 v17, -v14, v33, v17
	v_mov_b32_e32 v21, s7
	v_add_co_u32_e32 v33, vcc, s6, v0
	s_add_i32 s2, s5, s21
	v_fma_f32 v16, -v4, v22, v16
	v_addc_co_u32_e32 v34, vcc, v1, v21, vcc
	v_mov_b32_e32 v21, s2
	ds_read2_b32 v[38:39], v19 offset1:1
	ds_read_b32 v19, v21
	v_fma_f32 v16, -v5, v24, v16
	v_fma_f32 v16, -v7, v26, v16
	;; [unrolled: 1-line block ×4, first 2 shown]
	s_add_i32 s6, s0, -13
	s_waitcnt lgkmcnt(1)
	v_mul_f32_e32 v17, v17, v39
	v_fma_f32 v16, -v14, v32, v16
	s_mov_b32 s5, s3
	s_lshl_b32 s7, s6, 2
	v_fma_f32 v16, -v17, v38, v16
	s_lshl_b64 s[4:5], s[4:5], 2
	s_add_i32 s2, s7, s1
	s_waitcnt lgkmcnt(0)
	v_mul_f32_e32 v16, v16, v19
	v_mov_b32_e32 v19, s5
	v_add_co_u32_e32 v18, vcc, s4, v0
	v_mov_b32_e32 v21, s2
	s_add_i32 s2, s7, s9
	v_addc_co_u32_e32 v19, vcc, v1, v19, vcc
	s_add_i32 s4, s7, s10
	v_mov_b32_e32 v23, s2
	ds_read2_b32 v[40:41], v21 offset1:1
	ds_read2_b32 v[42:43], v23 offset1:1
	global_store_dword v[18:19], v16, off
	v_mov_b32_e32 v18, s4
	s_add_i32 s4, s7, s11
	v_mov_b32_e32 v20, s4
	s_add_i32 s4, s7, s12
	global_store_dword v[33:34], v17, off
	v_mov_b32_e32 v22, s4
	ds_read2_b32 v[18:19], v18 offset1:1
	ds_read2_b32 v[20:21], v20 offset1:1
	;; [unrolled: 1-line block ×3, first 2 shown]
	s_waitcnt lgkmcnt(4)
	v_fma_f32 v15, -v11, v41, v15
	s_add_i32 s4, s7, s13
	s_waitcnt lgkmcnt(3)
	v_fma_f32 v15, -v10, v43, v15
	v_mov_b32_e32 v24, s4
	s_add_i32 s4, s7, s14
	ds_read2_b32 v[24:25], v24 offset1:1
	s_waitcnt lgkmcnt(3)
	v_fma_f32 v15, -v2, v19, v15
	v_mov_b32_e32 v19, s4
	s_add_i32 s4, s7, s15
	s_waitcnt lgkmcnt(2)
	v_fma_f32 v15, -v3, v21, v15
	v_mov_b32_e32 v21, s4
	s_add_i32 s4, s7, s18
	;; [unrolled: 4-line block ×3, first 2 shown]
	v_mov_b32_e32 v32, s4
	ds_read2_b32 v[26:27], v19 offset1:1
	ds_read2_b32 v[28:29], v21 offset1:1
	;; [unrolled: 1-line block ×4, first 2 shown]
	s_add_i32 s4, s7, s20
	s_waitcnt lgkmcnt(4)
	v_fma_f32 v15, -v5, v25, v15
	v_mov_b32_e32 v19, s4
	s_add_i32 s4, s7, s21
	s_add_i32 s22, s1, 0xfffffc40
	v_fma_f32 v12, -v11, v40, v12
	s_add_i32 s2, s0, -12
	s_waitcnt lgkmcnt(3)
	v_fma_f32 v15, -v7, v27, v15
	v_mov_b32_e32 v21, s4
	s_add_i32 s4, s7, s22
	v_fma_f32 v12, -v10, v42, v12
	s_waitcnt lgkmcnt(2)
	v_fma_f32 v15, -v9, v29, v15
	v_mov_b32_e32 v23, s4
	s_lshl_b64 s[4:5], s[2:3], 2
	v_fma_f32 v12, -v2, v18, v12
	s_waitcnt lgkmcnt(1)
	v_fma_f32 v15, -v13, v31, v15
	v_mov_b32_e32 v25, s5
	s_mul_i32 s5, s0, 0x54
	v_fma_f32 v12, -v3, v20, v12
	s_waitcnt lgkmcnt(0)
	v_fma_f32 v15, -v14, v33, v15
	v_add_co_u32_e32 v33, vcc, s4, v0
	s_add_i32 s2, s5, 0xfffffbbc
	v_fma_f32 v12, -v4, v22, v12
	v_addc_co_u32_e32 v34, vcc, v1, v25, vcc
	v_mov_b32_e32 v25, s2
	v_fma_f32 v12, -v5, v24, v12
	ds_read_b32 v25, v25
	ds_read2_b32 v[35:36], v19 offset1:1
	ds_read2_b32 v[37:38], v21 offset1:1
	ds_read2_b32 v[43:44], v23 offset1:1
	v_fma_f32 v12, -v7, v26, v12
	v_fma_f32 v12, -v9, v28, v12
	;; [unrolled: 1-line block ×3, first 2 shown]
	s_waitcnt lgkmcnt(2)
	v_fma_f32 v15, -v17, v36, v15
	v_fma_f32 v12, -v14, v32, v12
	s_waitcnt lgkmcnt(1)
	v_fma_f32 v15, -v16, v38, v15
	v_fma_f32 v12, -v17, v35, v12
	s_mov_b32 s7, s3
	s_waitcnt lgkmcnt(0)
	v_mul_f32_e32 v15, v15, v44
	v_fma_f32 v12, -v16, v37, v12
	s_lshl_b64 s[6:7], s[6:7], 2
	s_add_i32 s4, s0, -15
	v_fma_f32 v12, -v15, v43, v12
	v_mov_b32_e32 v19, s7
	v_add_co_u32_e32 v18, vcc, s6, v0
	s_lshl_b32 s6, s4, 2
	v_mul_f32_e32 v12, v12, v25
	v_addc_co_u32_e32 v19, vcc, v1, v19, vcc
	s_add_i32 s1, s6, s1
	global_store_dword v[18:19], v12, off
	v_mov_b32_e32 v18, s1
	s_add_i32 s1, s6, s9
	v_mov_b32_e32 v20, s1
	s_add_i32 s1, s6, s10
	;; [unrolled: 2-line block ×3, first 2 shown]
	global_store_dword v[33:34], v15, off
	v_mov_b32_e32 v24, s1
	ds_read2_b32 v[18:19], v18 offset1:1
	ds_read2_b32 v[20:21], v20 offset1:1
	;; [unrolled: 1-line block ×4, first 2 shown]
	s_add_i32 s1, s6, s12
	s_waitcnt lgkmcnt(3)
	v_fma_f32 v8, -v11, v19, v8
	v_mov_b32_e32 v19, s1
	s_add_i32 s1, s6, s13
	s_waitcnt lgkmcnt(2)
	v_fma_f32 v8, -v10, v21, v8
	v_mov_b32_e32 v21, s1
	;; [unrolled: 4-line block ×3, first 2 shown]
	s_add_i32 s1, s6, s15
	s_waitcnt lgkmcnt(0)
	v_fma_f32 v8, -v3, v25, v8
	ds_read2_b32 v[25:26], v19 offset1:1
	ds_read2_b32 v[27:28], v21 offset1:1
	;; [unrolled: 1-line block ×3, first 2 shown]
	v_mov_b32_e32 v19, s1
	ds_read2_b32 v[31:32], v19 offset1:1
	s_add_i32 s1, s6, s18
	v_mov_b32_e32 v19, s1
	s_add_i32 s1, s6, s19
	v_fma_f32 v6, -v11, v18, v6
	s_waitcnt lgkmcnt(3)
	v_fma_f32 v8, -v4, v26, v8
	v_mov_b32_e32 v21, s1
	s_add_i32 s1, s6, s20
	v_fma_f32 v6, -v10, v20, v6
	s_waitcnt lgkmcnt(2)
	v_fma_f32 v8, -v5, v28, v8
	;; [unrolled: 5-line block ×3, first 2 shown]
	v_mov_b32_e32 v26, s1
	ds_read2_b32 v[33:34], v19 offset1:1
	ds_read2_b32 v[35:36], v21 offset1:1
	;; [unrolled: 1-line block ×4, first 2 shown]
	v_fma_f32 v2, -v3, v24, v2
	s_waitcnt lgkmcnt(4)
	v_fma_f32 v8, -v9, v32, v8
	s_add_i32 s1, s6, s22
	v_fma_f32 v2, -v4, v25, v2
	s_add_i32 s2, s0, -14
	s_waitcnt lgkmcnt(3)
	v_fma_f32 v8, -v13, v34, v8
	s_add_i32 s6, s1, 0xffffffb0
	v_fma_f32 v2, -v5, v27, v2
	s_waitcnt lgkmcnt(2)
	v_fma_f32 v8, -v14, v36, v8
	v_mov_b32_e32 v21, s1
	v_mov_b32_e32 v23, s6
	s_addk_i32 s1, 0xff60
	s_lshl_b64 s[6:7], s[2:3], 2
	v_fma_f32 v2, -v7, v29, v2
	s_waitcnt lgkmcnt(1)
	v_fma_f32 v8, -v17, v38, v8
	v_mov_b32_e32 v11, s7
	v_add_co_u32_e32 v18, vcc, s6, v0
	v_mov_b32_e32 v26, s1
	s_add_i32 s1, s5, 0xfffffb14
	v_fma_f32 v2, -v9, v31, v2
	s_waitcnt lgkmcnt(0)
	v_fma_f32 v8, -v16, v40, v8
	v_addc_co_u32_e32 v19, vcc, v1, v11, vcc
	v_mov_b32_e32 v28, s1
	ds_read2_b32 v[10:11], v21 offset1:1
	ds_read2_b32 v[20:21], v23 offset1:1
	ds_read_b32 v23, v28
	ds_read2_b32 v[40:41], v26 offset1:1
	v_fma_f32 v2, -v13, v33, v2
	v_fma_f32 v2, -v14, v35, v2
	;; [unrolled: 1-line block ×3, first 2 shown]
	s_waitcnt lgkmcnt(3)
	v_fma_f32 v8, -v15, v11, v8
	v_fma_f32 v2, -v16, v39, v2
	s_waitcnt lgkmcnt(2)
	v_fma_f32 v8, -v12, v21, v8
	v_fma_f32 v2, -v15, v10, v2
	s_waitcnt lgkmcnt(0)
	v_mul_f32_e32 v8, v8, v41
	v_fma_f32 v2, -v12, v20, v2
	s_mov_b32 s5, s3
	v_fma_f32 v2, -v8, v40, v2
	s_lshl_b64 s[2:3], s[4:5], 2
	v_mul_f32_e32 v4, v2, v23
	v_mov_b32_e32 v3, s3
	v_add_co_u32_e32 v2, vcc, s2, v0
	v_addc_co_u32_e32 v3, vcc, v1, v3, vcc
	s_add_i32 s0, s0, -16
	global_store_dword v[18:19], v8, off
	global_store_dword v[2:3], v4, off
.LBB22_34:
	s_cmp_lt_i32 s0, 0
	s_cbranch_scc1 .LBB22_51
; %bb.35:
	s_and_b32 s1, s0, 3
	s_cmp_eq_u32 s1, 3
	s_mul_i32 s1, s17, 0x50
	s_mov_b32 s2, s0
	s_cbranch_scc1 .LBB22_40
; %bb.36:
	s_add_i32 s2, s0, 1
	s_and_b32 s6, s2, 3
	s_lshl_b32 s2, s0, 2
	s_add_i32 s2, s1, s2
	s_add_i32 s7, s2, 0xffffffb0
	s_mov_b32 s5, 0
	s_mov_b32 s2, s0
	;; [unrolled: 1-line block ×3, first 2 shown]
	s_branch .LBB22_38
.LBB22_37:                              ;   in Loop: Header=BB22_38 Depth=1
	s_mul_i32 s3, s2, 0x54
	v_mov_b32_e32 v5, s3
	ds_read_b32 v5, v5
	s_add_i32 s2, s2, -1
	s_add_i32 s9, s9, 1
	s_add_i32 s7, s7, -4
	s_cmp_lg_u32 s9, s6
	s_waitcnt lgkmcnt(0)
	v_mul_f32_e32 v4, v4, v5
	global_store_dword v[2:3], v4, off
	s_cbranch_scc0 .LBB22_40
.LBB22_38:                              ; =>This Loop Header: Depth=1
                                        ;     Child Loop BB22_39 Depth 2
	s_mov_b32 s3, s5
	s_lshl_b64 s[10:11], s[2:3], 2
	v_mov_b32_e32 v3, s11
	v_add_co_u32_e32 v2, vcc, s10, v0
	v_addc_co_u32_e32 v3, vcc, v1, v3, vcc
	global_load_dword v4, v[2:3], off
	s_mov_b32 s3, s7
	s_cmp_le_i32 s8, s2
	s_mov_b32 s4, s8
	s_waitcnt vmcnt(0)
	v_mul_f32_e32 v4, s16, v4
	s_cbranch_scc1 .LBB22_37
.LBB22_39:                              ;   Parent Loop BB22_38 Depth=1
                                        ; =>  This Inner Loop Header: Depth=2
	s_lshl_b64 s[10:11], s[4:5], 2
	v_mov_b32_e32 v6, s11
	v_add_co_u32_e32 v5, vcc, s10, v0
	v_addc_co_u32_e32 v6, vcc, v1, v6, vcc
	global_load_dword v5, v[5:6], off
	v_mov_b32_e32 v6, s3
	ds_read_b32 v6, v6
	s_add_i32 s4, s4, -1
	s_addk_i32 s3, 0xffb0
	s_cmp_gt_i32 s4, s2
	s_waitcnt vmcnt(0) lgkmcnt(0)
	v_fma_f32 v4, -v5, v6, v4
	s_cbranch_scc1 .LBB22_39
	s_branch .LBB22_37
.LBB22_40:
	s_cmp_lt_u32 s0, 3
	s_cbranch_scc1 .LBB22_51
; %bb.41:
	s_lshl_b32 s0, s2, 2
	s_add_i32 s0, s1, s0
	s_add_i32 s6, s0, 0xffffffb0
	;; [unrolled: 1-line block ×5, first 2 shown]
	s_mov_b32 s1, 0
	s_branch .LBB22_43
.LBB22_42:                              ;   in Loop: Header=BB22_43 Depth=1
	s_add_i32 s0, s3, 0xffffffac
	v_mov_b32_e32 v5, s0
	ds_read_b32 v5, v5
	s_add_i32 s0, s2, -4
	s_add_i32 s6, s6, -16
	s_add_i32 s7, s7, -16
	s_add_i32 s9, s9, -16
	s_add_i32 s10, s10, -16
	s_waitcnt lgkmcnt(0)
	v_mul_f32_e32 v4, v4, v5
	s_cmp_lt_i32 s2, 4
	s_mov_b32 s2, s0
	global_store_dword v[2:3], v4, off
	s_cbranch_scc1 .LBB22_51
.LBB22_43:                              ; =>This Loop Header: Depth=1
                                        ;     Child Loop BB22_44 Depth 2
                                        ;     Child Loop BB22_46 Depth 2
	;; [unrolled: 1-line block ×4, first 2 shown]
	s_mov_b32 s3, s1
	s_lshl_b64 s[4:5], s[2:3], 2
	v_mov_b32_e32 v2, s5
	v_add_co_u32_e32 v4, vcc, s4, v0
	v_addc_co_u32_e32 v5, vcc, v1, v2, vcc
	global_load_dword v2, v[4:5], off
	s_mov_b32 s3, s6
	s_cmp_le_i32 s8, s2
	s_mov_b32 s0, s8
	s_waitcnt vmcnt(0)
	v_mul_f32_e32 v6, s16, v2
	s_cbranch_scc1 .LBB22_45
.LBB22_44:                              ;   Parent Loop BB22_43 Depth=1
                                        ; =>  This Inner Loop Header: Depth=2
	s_lshl_b64 s[4:5], s[0:1], 2
	v_mov_b32_e32 v3, s5
	v_add_co_u32_e32 v2, vcc, s4, v0
	v_addc_co_u32_e32 v3, vcc, v1, v3, vcc
	global_load_dword v2, v[2:3], off
	v_mov_b32_e32 v3, s3
	ds_read_b32 v3, v3
	s_add_i32 s0, s0, -1
	s_addk_i32 s3, 0xffb0
	s_cmp_gt_i32 s0, s2
	s_waitcnt vmcnt(0) lgkmcnt(0)
	v_fma_f32 v6, -v2, v3, v6
	s_cbranch_scc1 .LBB22_44
.LBB22_45:                              ;   in Loop: Header=BB22_43 Depth=1
	s_add_i32 s0, s2, -1
	s_lshl_b64 s[4:5], s[0:1], 2
	v_mov_b32_e32 v3, s5
	v_add_co_u32_e32 v2, vcc, s4, v0
	v_addc_co_u32_e32 v3, vcc, v1, v3, vcc
	global_load_dword v7, v[2:3], off
	s_mul_i32 s3, s2, 0x54
	v_mov_b32_e32 v8, s3
	ds_read_b32 v8, v8
	s_mov_b32 s4, s7
	s_cmp_le_i32 s17, s2
	s_mov_b32 s0, s17
	s_waitcnt lgkmcnt(0)
	v_mul_f32_e32 v6, v6, v8
	global_store_dword v[4:5], v6, off
	s_waitcnt vmcnt(1)
	v_mul_f32_e32 v6, s16, v7
	s_cbranch_scc1 .LBB22_47
.LBB22_46:                              ;   Parent Loop BB22_43 Depth=1
                                        ; =>  This Inner Loop Header: Depth=2
	s_add_i32 s0, s0, -1
	s_lshl_b64 s[12:13], s[0:1], 2
	v_mov_b32_e32 v5, s13
	v_add_co_u32_e32 v4, vcc, s12, v0
	v_addc_co_u32_e32 v5, vcc, v1, v5, vcc
	global_load_dword v4, v[4:5], off
	v_mov_b32_e32 v5, s4
	ds_read_b32 v5, v5
	s_addk_i32 s4, 0xffb0
	s_cmp_gt_i32 s0, s2
	s_waitcnt vmcnt(0) lgkmcnt(0)
	v_fma_f32 v6, -v4, v5, v6
	s_cbranch_scc1 .LBB22_46
.LBB22_47:                              ;   in Loop: Header=BB22_43 Depth=1
	s_add_i32 s4, s2, -2
	s_mov_b32 s5, s1
	s_lshl_b64 s[12:13], s[4:5], 2
	v_mov_b32_e32 v5, s13
	v_add_co_u32_e32 v4, vcc, s12, v0
	v_addc_co_u32_e32 v5, vcc, v1, v5, vcc
	global_load_dword v7, v[4:5], off
	s_addk_i32 s3, 0xffac
	v_mov_b32_e32 v8, s3
	ds_read_b32 v8, v8
	s_mov_b32 s5, s9
	s_cmp_le_i32 s8, s4
	s_mov_b32 s0, s8
	s_waitcnt lgkmcnt(0)
	v_mul_f32_e32 v6, v6, v8
	global_store_dword v[2:3], v6, off
	s_waitcnt vmcnt(1)
	v_mul_f32_e32 v6, s16, v7
	s_cbranch_scc1 .LBB22_49
.LBB22_48:                              ;   Parent Loop BB22_43 Depth=1
                                        ; =>  This Inner Loop Header: Depth=2
	s_lshl_b64 s[12:13], s[0:1], 2
	v_mov_b32_e32 v3, s13
	v_add_co_u32_e32 v2, vcc, s12, v0
	v_addc_co_u32_e32 v3, vcc, v1, v3, vcc
	global_load_dword v2, v[2:3], off
	v_mov_b32_e32 v3, s5
	ds_read_b32 v3, v3
	s_add_i32 s0, s0, -1
	s_addk_i32 s5, 0xffb0
	s_cmp_gt_i32 s0, s4
	s_waitcnt vmcnt(0) lgkmcnt(0)
	v_fma_f32 v6, -v2, v3, v6
	s_cbranch_scc1 .LBB22_48
.LBB22_49:                              ;   in Loop: Header=BB22_43 Depth=1
	s_add_i32 s4, s2, -3
	s_mov_b32 s5, s1
	s_lshl_b64 s[12:13], s[4:5], 2
	v_mov_b32_e32 v3, s13
	v_add_co_u32_e32 v2, vcc, s12, v0
	v_addc_co_u32_e32 v3, vcc, v1, v3, vcc
	global_load_dword v7, v[2:3], off
	s_addk_i32 s3, 0xffac
	v_mov_b32_e32 v8, s3
	ds_read_b32 v8, v8
	s_mov_b32 s5, s10
	s_cmp_le_i32 s8, s4
	s_mov_b32 s0, s8
	s_waitcnt lgkmcnt(0)
	v_mul_f32_e32 v6, v6, v8
	global_store_dword v[4:5], v6, off
	s_waitcnt vmcnt(1)
	v_mul_f32_e32 v4, s16, v7
	s_cbranch_scc1 .LBB22_42
.LBB22_50:                              ;   Parent Loop BB22_43 Depth=1
                                        ; =>  This Inner Loop Header: Depth=2
	s_lshl_b64 s[12:13], s[0:1], 2
	v_mov_b32_e32 v6, s13
	v_add_co_u32_e32 v5, vcc, s12, v0
	v_addc_co_u32_e32 v6, vcc, v1, v6, vcc
	global_load_dword v5, v[5:6], off
	v_mov_b32_e32 v6, s5
	ds_read_b32 v6, v6
	s_add_i32 s0, s0, -1
	s_addk_i32 s5, 0xffb0
	s_cmp_gt_i32 s0, s4
	s_waitcnt vmcnt(0) lgkmcnt(0)
	v_fma_f32 v4, -v5, v6, v4
	s_cbranch_scc1 .LBB22_50
	s_branch .LBB22_42
.LBB22_51:
	s_endpgm
	.section	.rodata,"a",@progbits
	.p2align	6, 0x0
	.amdhsa_kernel _ZL30rocblas_trsm_small_left_deviceILi20ELi20ELb0EffPKfPfEv13rocblas_fill_18rocblas_operation_17rocblas_diagonal_iiT3_T4_lilT5_lili
		.amdhsa_group_segment_fixed_size 1600
		.amdhsa_private_segment_fixed_size 0
		.amdhsa_kernarg_size 352
		.amdhsa_user_sgpr_count 6
		.amdhsa_user_sgpr_private_segment_buffer 1
		.amdhsa_user_sgpr_dispatch_ptr 0
		.amdhsa_user_sgpr_queue_ptr 0
		.amdhsa_user_sgpr_kernarg_segment_ptr 1
		.amdhsa_user_sgpr_dispatch_id 0
		.amdhsa_user_sgpr_flat_scratch_init 0
		.amdhsa_user_sgpr_private_segment_size 0
		.amdhsa_uses_dynamic_stack 0
		.amdhsa_system_sgpr_private_segment_wavefront_offset 0
		.amdhsa_system_sgpr_workgroup_id_x 1
		.amdhsa_system_sgpr_workgroup_id_y 0
		.amdhsa_system_sgpr_workgroup_id_z 1
		.amdhsa_system_sgpr_workgroup_info 0
		.amdhsa_system_vgpr_workitem_id 0
		.amdhsa_next_free_vgpr 50
		.amdhsa_next_free_sgpr 24
		.amdhsa_reserve_vcc 1
		.amdhsa_reserve_flat_scratch 0
		.amdhsa_float_round_mode_32 0
		.amdhsa_float_round_mode_16_64 0
		.amdhsa_float_denorm_mode_32 3
		.amdhsa_float_denorm_mode_16_64 3
		.amdhsa_dx10_clamp 1
		.amdhsa_ieee_mode 1
		.amdhsa_fp16_overflow 0
		.amdhsa_exception_fp_ieee_invalid_op 0
		.amdhsa_exception_fp_denorm_src 0
		.amdhsa_exception_fp_ieee_div_zero 0
		.amdhsa_exception_fp_ieee_overflow 0
		.amdhsa_exception_fp_ieee_underflow 0
		.amdhsa_exception_fp_ieee_inexact 0
		.amdhsa_exception_int_div_zero 0
	.end_amdhsa_kernel
	.section	.text._ZL30rocblas_trsm_small_left_deviceILi20ELi20ELb0EffPKfPfEv13rocblas_fill_18rocblas_operation_17rocblas_diagonal_iiT3_T4_lilT5_lili,"axG",@progbits,_ZL30rocblas_trsm_small_left_deviceILi20ELi20ELb0EffPKfPfEv13rocblas_fill_18rocblas_operation_17rocblas_diagonal_iiT3_T4_lilT5_lili,comdat
.Lfunc_end22:
	.size	_ZL30rocblas_trsm_small_left_deviceILi20ELi20ELb0EffPKfPfEv13rocblas_fill_18rocblas_operation_17rocblas_diagonal_iiT3_T4_lilT5_lili, .Lfunc_end22-_ZL30rocblas_trsm_small_left_deviceILi20ELi20ELb0EffPKfPfEv13rocblas_fill_18rocblas_operation_17rocblas_diagonal_iiT3_T4_lilT5_lili
                                        ; -- End function
	.set _ZL30rocblas_trsm_small_left_deviceILi20ELi20ELb0EffPKfPfEv13rocblas_fill_18rocblas_operation_17rocblas_diagonal_iiT3_T4_lilT5_lili.num_vgpr, 50
	.set _ZL30rocblas_trsm_small_left_deviceILi20ELi20ELb0EffPKfPfEv13rocblas_fill_18rocblas_operation_17rocblas_diagonal_iiT3_T4_lilT5_lili.num_agpr, 0
	.set _ZL30rocblas_trsm_small_left_deviceILi20ELi20ELb0EffPKfPfEv13rocblas_fill_18rocblas_operation_17rocblas_diagonal_iiT3_T4_lilT5_lili.numbered_sgpr, 24
	.set _ZL30rocblas_trsm_small_left_deviceILi20ELi20ELb0EffPKfPfEv13rocblas_fill_18rocblas_operation_17rocblas_diagonal_iiT3_T4_lilT5_lili.num_named_barrier, 0
	.set _ZL30rocblas_trsm_small_left_deviceILi20ELi20ELb0EffPKfPfEv13rocblas_fill_18rocblas_operation_17rocblas_diagonal_iiT3_T4_lilT5_lili.private_seg_size, 0
	.set _ZL30rocblas_trsm_small_left_deviceILi20ELi20ELb0EffPKfPfEv13rocblas_fill_18rocblas_operation_17rocblas_diagonal_iiT3_T4_lilT5_lili.uses_vcc, 1
	.set _ZL30rocblas_trsm_small_left_deviceILi20ELi20ELb0EffPKfPfEv13rocblas_fill_18rocblas_operation_17rocblas_diagonal_iiT3_T4_lilT5_lili.uses_flat_scratch, 0
	.set _ZL30rocblas_trsm_small_left_deviceILi20ELi20ELb0EffPKfPfEv13rocblas_fill_18rocblas_operation_17rocblas_diagonal_iiT3_T4_lilT5_lili.has_dyn_sized_stack, 0
	.set _ZL30rocblas_trsm_small_left_deviceILi20ELi20ELb0EffPKfPfEv13rocblas_fill_18rocblas_operation_17rocblas_diagonal_iiT3_T4_lilT5_lili.has_recursion, 0
	.set _ZL30rocblas_trsm_small_left_deviceILi20ELi20ELb0EffPKfPfEv13rocblas_fill_18rocblas_operation_17rocblas_diagonal_iiT3_T4_lilT5_lili.has_indirect_call, 0
	.section	.AMDGPU.csdata,"",@progbits
; Kernel info:
; codeLenInByte = 12276
; TotalNumSgprs: 28
; NumVgprs: 50
; ScratchSize: 0
; MemoryBound: 0
; FloatMode: 240
; IeeeMode: 1
; LDSByteSize: 1600 bytes/workgroup (compile time only)
; SGPRBlocks: 3
; VGPRBlocks: 12
; NumSGPRsForWavesPerEU: 28
; NumVGPRsForWavesPerEU: 50
; Occupancy: 4
; WaveLimiterHint : 0
; COMPUTE_PGM_RSRC2:SCRATCH_EN: 0
; COMPUTE_PGM_RSRC2:USER_SGPR: 6
; COMPUTE_PGM_RSRC2:TRAP_HANDLER: 0
; COMPUTE_PGM_RSRC2:TGID_X_EN: 1
; COMPUTE_PGM_RSRC2:TGID_Y_EN: 0
; COMPUTE_PGM_RSRC2:TGID_Z_EN: 1
; COMPUTE_PGM_RSRC2:TIDIG_COMP_CNT: 0
	.section	.text._ZL38rocblas_trsm_small_left_device_sharedBILi20ELi20ELb1EffPKfPfEv13rocblas_fill_18rocblas_operation_17rocblas_diagonal_iiT3_T4_lilT5_lili,"axG",@progbits,_ZL38rocblas_trsm_small_left_device_sharedBILi20ELi20ELb1EffPKfPfEv13rocblas_fill_18rocblas_operation_17rocblas_diagonal_iiT3_T4_lilT5_lili,comdat
	.globl	_ZL38rocblas_trsm_small_left_device_sharedBILi20ELi20ELb1EffPKfPfEv13rocblas_fill_18rocblas_operation_17rocblas_diagonal_iiT3_T4_lilT5_lili ; -- Begin function _ZL38rocblas_trsm_small_left_device_sharedBILi20ELi20ELb1EffPKfPfEv13rocblas_fill_18rocblas_operation_17rocblas_diagonal_iiT3_T4_lilT5_lili
	.p2align	8
	.type	_ZL38rocblas_trsm_small_left_device_sharedBILi20ELi20ELb1EffPKfPfEv13rocblas_fill_18rocblas_operation_17rocblas_diagonal_iiT3_T4_lilT5_lili,@function
_ZL38rocblas_trsm_small_left_device_sharedBILi20ELi20ELb1EffPKfPfEv13rocblas_fill_18rocblas_operation_17rocblas_diagonal_iiT3_T4_lilT5_lili: ; @_ZL38rocblas_trsm_small_left_device_sharedBILi20ELi20ELb1EffPKfPfEv13rocblas_fill_18rocblas_operation_17rocblas_diagonal_iiT3_T4_lilT5_lili
; %bb.0:
	s_load_dwordx4 s[8:11], s[4:5], 0x4
	s_load_dword s17, s[4:5], 0x14
	s_load_dwordx4 s[0:3], s[4:5], 0x30
	s_load_dwordx2 s[12:13], s[4:5], 0x40
	s_waitcnt lgkmcnt(0)
	s_min_i32 s16, s10, 20
	v_cmp_gt_i32_e32 vcc, s16, v0
	s_and_saveexec_b64 s[14:15], vcc
	s_cbranch_execz .LBB23_6
; %bb.1:
	s_load_dword s18, s[4:5], 0x28
	s_load_dwordx4 s[20:23], s[4:5], 0x18
	s_mul_i32 s1, s1, s7
	s_mul_hi_u32 s19, s0, s7
	s_add_i32 s1, s19, s1
	s_mul_i32 s0, s0, s7
	s_waitcnt lgkmcnt(0)
	s_ashr_i32 s19, s18, 31
	s_lshl_b64 s[0:1], s[0:1], 2
	s_add_u32 s20, s20, s0
	s_addc_u32 s21, s21, s1
	s_lshl_b64 s[0:1], s[22:23], 2
	s_add_u32 s0, s20, s0
	s_addc_u32 s1, s21, s1
	v_lshlrev_b32_e32 v3, 2, v0
	v_mov_b32_e32 v2, s1
	v_add_co_u32_e32 v1, vcc, s0, v3
	s_lshl_b64 s[0:1], s[18:19], 2
	v_addc_co_u32_e32 v2, vcc, 0, v2, vcc
	v_mov_b32_e32 v4, s1
	v_mov_b32_e32 v5, v3
	s_mov_b32 s1, s16
.LBB23_2:                               ; =>This Inner Loop Header: Depth=1
	global_load_dword v6, v[1:2], off
	v_add_co_u32_e32 v1, vcc, s0, v1
	s_add_i32 s1, s1, -1
	v_addc_co_u32_e32 v2, vcc, v2, v4, vcc
	s_cmp_eq_u32 s1, 0
	s_waitcnt vmcnt(0)
	ds_write_b32 v5, v6
	v_add_u32_e32 v5, 0x50, v5
	s_cbranch_scc0 .LBB23_2
; %bb.3:
	v_mul_u32_u24_e32 v1, 0x50, v0
	s_cmpk_lg_i32 s9, 0x84
	v_mov_b32_e32 v2, 1.0
	v_add_u32_e32 v1, v3, v1
	s_cbranch_scc0 .LBB23_5
; %bb.4:
	ds_read_b32 v2, v1
	s_waitcnt lgkmcnt(0)
	v_div_scale_f32 v3, s[0:1], v2, v2, 1.0
	v_div_scale_f32 v4, vcc, 1.0, v2, 1.0
	v_rcp_f32_e32 v5, v3
	v_fma_f32 v6, -v3, v5, 1.0
	v_fmac_f32_e32 v5, v6, v5
	v_mul_f32_e32 v6, v4, v5
	v_fma_f32 v7, -v3, v6, v4
	v_fmac_f32_e32 v6, v7, v5
	v_fma_f32 v3, -v3, v6, v4
	v_div_fmas_f32 v3, v3, v5, v6
	v_div_fixup_f32 v2, v3, v2, 1.0
.LBB23_5:
	ds_write_b32 v1, v2
.LBB23_6:
	s_or_b64 exec, exec, s[14:15]
	s_load_dword s0, s[4:5], 0x60
	s_load_dwordx2 s[14:15], s[4:5], 0x50
	s_load_dword s9, s[4:5], 0x48
	s_waitcnt lgkmcnt(0)
	s_mul_i32 s1, s15, s7
	s_mul_hi_u32 s5, s14, s7
	s_mul_i32 s4, s14, s7
	s_add_i32 s5, s5, s1
	s_lshl_b64 s[4:5], s[4:5], 2
	s_add_u32 s1, s2, s4
	s_addc_u32 s4, s3, s5
	s_lshl_b64 s[2:3], s[12:13], 2
	s_add_u32 s2, s1, s2
	s_mul_i32 s1, s6, 0xffffffec
	s_addc_u32 s3, s4, s3
	s_add_i32 s0, s0, -1
	s_add_i32 s1, s11, s1
	s_cmp_ge_u32 s6, s0
	s_mul_i32 s6, s6, 20
	s_cselect_b32 s4, s1, 20
	s_mul_hi_i32 s1, s9, s6
	s_mul_i32 s0, s9, s6
	s_lshl_b64 s[0:1], s[0:1], 2
	s_add_u32 s6, s2, s0
	s_addc_u32 s7, s3, s1
	s_cmp_gt_i32 s10, 0
	v_cmp_gt_i32_e64 s[0:1], s4, v0
	s_cselect_b64 s[2:3], -1, 0
	s_and_b64 s[12:13], s[0:1], s[2:3]
	s_and_saveexec_b64 s[4:5], s[12:13]
	s_cbranch_execz .LBB23_9
; %bb.7:
	v_mad_i64_i32 v[1:2], s[12:13], s9, v0, 0
	v_mov_b32_e32 v3, s7
	s_mov_b32 s11, s16
	v_lshlrev_b64 v[1:2], 2, v[1:2]
	v_add_co_u32_e32 v1, vcc, s6, v1
	v_addc_co_u32_e32 v2, vcc, v3, v2, vcc
	v_mov_b32_e32 v3, 0x640
	v_lshl_add_u32 v3, v0, 2, v3
.LBB23_8:                               ; =>This Inner Loop Header: Depth=1
	global_load_dword v4, v[1:2], off
	s_add_i32 s11, s11, -1
	v_add_co_u32_e32 v1, vcc, 4, v1
	v_addc_co_u32_e32 v2, vcc, 0, v2, vcc
	s_cmp_lg_u32 s11, 0
	s_waitcnt vmcnt(0)
	v_mul_f32_e32 v4, s17, v4
	ds_write_b32 v3, v4
	v_add_u32_e32 v3, 0x50, v3
	s_cbranch_scc1 .LBB23_8
.LBB23_9:
	s_or_b64 exec, exec, s[4:5]
	v_mov_b32_e32 v1, 0x640
	s_cmpk_eq_i32 s8, 0x6f
	v_lshl_add_u32 v17, v0, 2, v1
	s_mov_b64 s[4:5], -1
	s_waitcnt lgkmcnt(0)
	; wave barrier
	s_cbranch_scc1 .LBB23_32
; %bb.10:
	s_add_i32 s4, s16, -1
	s_cmp_gt_i32 s10, 19
	s_mov_b32 s5, -1
	s_cbranch_scc0 .LBB23_12
; %bb.11:
	v_add_u32_e32 v32, 0x400, v17
	v_add_u32_e32 v33, 0x200, v17
	v_mov_b32_e32 v34, 0
	v_mov_b32_e32 v3, 0x594
	;; [unrolled: 1-line block ×3, first 2 shown]
	ds_read2_b32 v[1:2], v32 offset0:104 offset1:124
	ds_read2_b32 v[5:6], v32 offset0:64 offset1:84
	;; [unrolled: 1-line block ×9, first 2 shown]
	ds_read_b32 v28, v34 offset:1596
	ds_read2_b32 v[22:23], v3 offset1:1
	ds_read2_b32 v[24:25], v4 offset1:1
	ds_read_b64 v[3:4], v34 offset:1512
	ds_read2_b32 v[26:27], v17 offset1:20
	s_movk_i32 s8, 0x400
	s_waitcnt lgkmcnt(4)
	v_mul_f32_e32 v35, v2, v28
	v_add_u32_e64 v2, s8, 0
	ds_read2_b32 v[28:29], v2 offset0:63 offset1:103
	s_waitcnt lgkmcnt(2)
	v_fma_f32 v1, -v35, v4, v1
	v_mul_f32_e32 v36, v1, v3
	ds_read_b128 v[1:4], v34 offset:1344
	ds_write2_b32 v32, v36, v35 offset0:104 offset1:124
	s_waitcnt lgkmcnt(2)
	v_fma_f32 v6, -v35, v29, v6
	v_fma_f32 v6, -v36, v23, v6
	v_mul_f32_e32 v37, v6, v22
	s_waitcnt lgkmcnt(1)
	v_fma_f32 v4, -v35, v4, v5
	v_fma_f32 v3, -v36, v3, v4
	;; [unrolled: 1-line block ×3, first 2 shown]
	v_mul_f32_e32 v38, v2, v1
	v_mov_b32_e32 v2, 0x4ec
	ds_read_b64 v[22:23], v34 offset:1192
	ds_read2_b32 v[5:6], v2 offset1:1
	v_fma_f32 v1, -v35, v28, v8
	v_fma_f32 v1, -v36, v25, v1
	ds_write2_b32 v32, v38, v37 offset0:64 offset1:84
	v_fma_f32 v1, -v37, v24, v1
	v_mov_b32_e32 v2, 0x454
	v_mov_b32_e32 v3, 0x44c
	;; [unrolled: 1-line block ×3, first 2 shown]
	ds_read2_b32 v[24:25], v2 offset1:1
	ds_read2_b32 v[28:29], v3 offset1:1
	;; [unrolled: 1-line block ×3, first 2 shown]
	s_waitcnt lgkmcnt(4)
	v_fma_f32 v6, -v38, v6, v1
	ds_read2_b64 v[1:4], v34 offset0:147 offset1:148
	v_mul_f32_e32 v39, v6, v5
	v_fma_f32 v5, -v35, v23, v7
	s_movk_i32 s11, 0x200
	v_fma_f32 v22, -v36, v22, v5
	ds_read_b128 v[5:8], v34 offset:1024
	s_waitcnt lgkmcnt(1)
	v_fma_f32 v4, -v37, v4, v22
	v_add_u32_e64 v22, s11, 0
	ds_read2_b32 v[22:23], v22 offset0:111 offset1:151
	v_fma_f32 v3, -v38, v3, v4
	v_fma_f32 v2, -v39, v2, v3
	v_mul_f32_e32 v40, v2, v1
	s_waitcnt lgkmcnt(1)
	v_fma_f32 v8, -v35, v8, v9
	s_waitcnt lgkmcnt(0)
	v_fma_f32 v1, -v35, v23, v10
	v_fma_f32 v1, -v36, v25, v1
	v_fma_f32 v1, -v37, v24, v1
	v_fma_f32 v1, -v38, v29, v1
	v_fma_f32 v1, -v39, v28, v1
	v_fma_f32 v1, -v40, v31, v1
	v_mul_f32_e32 v24, v1, v30
	ds_read_b128 v[1:4], v34 offset:1008
	v_fma_f32 v7, -v36, v7, v8
	v_fma_f32 v6, -v37, v6, v7
	;; [unrolled: 1-line block ×3, first 2 shown]
	ds_read2_b32 v[5:6], v34 offset0:237 offset1:238
	s_waitcnt lgkmcnt(1)
	v_fma_f32 v4, -v39, v4, v7
	v_fma_f32 v3, -v40, v3, v4
	;; [unrolled: 1-line block ×3, first 2 shown]
	v_mul_f32_e32 v25, v2, v1
	ds_read2_b32 v[1:2], v34 offset0:235 offset1:236
	ds_read_b64 v[7:8], v34 offset:872
	v_fma_f32 v3, -v35, v22, v12
	s_waitcnt lgkmcnt(2)
	v_fma_f32 v6, -v36, v6, v3
	ds_read2_b32 v[3:4], v34 offset0:233 offset1:234
	v_fma_f32 v5, -v37, v5, v6
	s_waitcnt lgkmcnt(2)
	v_fma_f32 v2, -v38, v2, v5
	ds_read2_b32 v[5:6], v34 offset0:231 offset1:232
	v_fma_f32 v1, -v39, v1, v2
	s_waitcnt lgkmcnt(1)
	v_fma_f32 v1, -v40, v4, v1
	v_fma_f32 v1, -v24, v3, v1
	ds_write2_b32 v32, v40, v39 offset0:24 offset1:44
	s_waitcnt lgkmcnt(1)
	v_fma_f32 v6, -v25, v6, v1
	ds_read2_b64 v[1:4], v34 offset0:107 offset1:108
	v_mul_f32_e32 v28, v6, v5
	v_fma_f32 v5, -v35, v8, v11
	v_fma_f32 v9, -v36, v7, v5
	ds_read2_b64 v[5:8], v34 offset0:105 offset1:106
	s_waitcnt lgkmcnt(1)
	v_fma_f32 v4, -v37, v4, v9
	v_fma_f32 v3, -v38, v3, v4
	;; [unrolled: 1-line block ×4, first 2 shown]
	s_waitcnt lgkmcnt(0)
	v_fma_f32 v1, -v24, v8, v1
	ds_write2_b32 v33, v25, v24 offset0:112 offset1:132
	v_fma_f32 v1, -v25, v7, v1
	v_fma_f32 v3, -v28, v6, v1
	ds_read2_b32 v[22:23], v34 offset0:159 offset1:199
	ds_read2_b32 v[1:2], v34 offset0:197 offset1:198
	v_mul_f32_e32 v29, v3, v5
	ds_read2_b32 v[3:4], v34 offset0:195 offset1:196
	ds_read2_b32 v[7:8], v34 offset0:191 offset1:192
	s_waitcnt lgkmcnt(3)
	v_fma_f32 v5, -v35, v23, v14
	s_waitcnt lgkmcnt(2)
	v_fma_f32 v2, -v36, v2, v5
	ds_read2_b32 v[5:6], v34 offset0:193 offset1:194
	v_fma_f32 v1, -v37, v1, v2
	s_waitcnt lgkmcnt(2)
	v_fma_f32 v1, -v38, v4, v1
	v_fma_f32 v1, -v39, v3, v1
	ds_read2_b32 v[9:10], v34 offset0:189 offset1:190
	s_waitcnt lgkmcnt(1)
	v_fma_f32 v1, -v40, v6, v1
	v_fma_f32 v5, -v24, v5, v1
	ds_read_b128 v[1:4], v34 offset:704
	v_fma_f32 v5, -v25, v8, v5
	v_fma_f32 v5, -v28, v7, v5
	s_waitcnt lgkmcnt(1)
	v_fma_f32 v5, -v29, v10, v5
	v_mul_f32_e32 v30, v5, v9
	s_waitcnt lgkmcnt(0)
	v_fma_f32 v8, -v35, v4, v13
	ds_read_b128 v[4:7], v34 offset:688
	v_fma_f32 v3, -v36, v3, v8
	v_fma_f32 v2, -v37, v2, v3
	;; [unrolled: 1-line block ×3, first 2 shown]
	ds_read_b128 v[8:11], v34 offset:672
	s_waitcnt lgkmcnt(1)
	v_fma_f32 v1, -v39, v7, v1
	v_fma_f32 v1, -v40, v6, v1
	;; [unrolled: 1-line block ×4, first 2 shown]
	s_waitcnt lgkmcnt(0)
	v_fma_f32 v1, -v28, v11, v1
	v_fma_f32 v1, -v29, v10, v1
	;; [unrolled: 1-line block ×3, first 2 shown]
	ds_read2_b32 v[1:2], v34 offset0:157 offset1:158
	v_mul_f32_e32 v31, v3, v8
	ds_read2_b32 v[3:4], v34 offset0:155 offset1:156
	v_fma_f32 v5, -v35, v22, v16
	ds_read_b64 v[7:8], v34 offset:552
	s_waitcnt lgkmcnt(2)
	v_fma_f32 v2, -v36, v2, v5
	ds_read2_b32 v[5:6], v34 offset0:153 offset1:154
	v_fma_f32 v1, -v37, v1, v2
	s_waitcnt lgkmcnt(2)
	v_fma_f32 v4, -v38, v4, v1
	ds_read2_b32 v[1:2], v34 offset0:151 offset1:152
	v_fma_f32 v3, -v39, v3, v4
	;; [unrolled: 4-line block ×4, first 2 shown]
	s_waitcnt lgkmcnt(1)
	v_fma_f32 v1, -v29, v4, v1
	v_fma_f32 v9, -v30, v3, v1
	ds_read2_b64 v[1:4], v34 offset0:67 offset1:68
	s_waitcnt lgkmcnt(1)
	v_fma_f32 v6, -v31, v6, v9
	v_mul_f32_e32 v32, v6, v5
	v_fma_f32 v5, -v35, v8, v15
	v_fma_f32 v5, -v36, v7, v5
	s_waitcnt lgkmcnt(0)
	v_fma_f32 v8, -v37, v4, v5
	ds_read2_b64 v[4:7], v34 offset0:65 offset1:66
	v_fma_f32 v3, -v38, v3, v8
	v_fma_f32 v2, -v39, v2, v3
	;; [unrolled: 1-line block ×3, first 2 shown]
	ds_read2_b64 v[8:11], v34 offset0:63 offset1:64
	s_waitcnt lgkmcnt(1)
	v_fma_f32 v1, -v24, v7, v1
	v_fma_f32 v1, -v25, v6, v1
	;; [unrolled: 1-line block ×4, first 2 shown]
	s_waitcnt lgkmcnt(0)
	v_fma_f32 v1, -v30, v11, v1
	ds_write2_b32 v17, v29, v28 offset0:200 offset1:220
	ds_write2_b32 v17, v31, v30 offset0:160 offset1:180
	v_fma_f32 v1, -v31, v10, v1
	v_fma_f32 v3, -v32, v9, v1
	ds_read2_b32 v[22:23], v34 offset0:79 offset1:119
	ds_read2_b32 v[1:2], v34 offset0:117 offset1:118
	v_mul_f32_e32 v33, v3, v8
	ds_read2_b32 v[3:4], v34 offset0:115 offset1:116
	ds_write2_b32 v17, v33, v32 offset0:120 offset1:140
	s_waitcnt lgkmcnt(3)
	v_fma_f32 v5, -v35, v23, v19
	s_waitcnt lgkmcnt(2)
	v_fma_f32 v2, -v36, v2, v5
	ds_read2_b32 v[5:6], v34 offset0:113 offset1:114
	v_fma_f32 v1, -v37, v1, v2
	s_waitcnt lgkmcnt(2)
	v_fma_f32 v4, -v38, v4, v1
	ds_read2_b32 v[1:2], v34 offset0:111 offset1:112
	ds_read2_b32 v[9:10], v34 offset0:105 offset1:106
	v_fma_f32 v3, -v39, v3, v4
	s_waitcnt lgkmcnt(2)
	v_fma_f32 v6, -v40, v6, v3
	ds_read2_b32 v[3:4], v34 offset0:109 offset1:110
	v_fma_f32 v5, -v24, v5, v6
	s_waitcnt lgkmcnt(2)
	v_fma_f32 v2, -v25, v2, v5
	;; [unrolled: 4-line block ×3, first 2 shown]
	v_fma_f32 v1, -v30, v3, v1
	s_waitcnt lgkmcnt(0)
	v_fma_f32 v1, -v31, v6, v1
	v_fma_f32 v11, -v32, v5, v1
	ds_read_b128 v[1:4], v34 offset:368
	ds_read_b128 v[5:8], v34 offset:384
	v_fma_f32 v10, -v33, v10, v11
	v_mul_f32_e32 v23, v10, v9
	ds_read_b128 v[9:12], v34 offset:336
	ds_read_b128 v[13:16], v34 offset:352
	s_waitcnt lgkmcnt(2)
	v_fma_f32 v8, -v35, v8, v18
	v_fma_f32 v7, -v36, v7, v8
	;; [unrolled: 1-line block ×8, first 2 shown]
	s_waitcnt lgkmcnt(0)
	v_fma_f32 v1, -v28, v16, v1
	v_fma_f32 v1, -v29, v15, v1
	;; [unrolled: 1-line block ×7, first 2 shown]
	ds_read2_b32 v[1:2], v34 offset0:77 offset1:78
	v_mul_f32_e32 v15, v3, v9
	ds_read2_b32 v[3:4], v34 offset0:75 offset1:76
	v_fma_f32 v5, -v35, v22, v21
	ds_read_b64 v[7:8], v34 offset:232
	s_waitcnt lgkmcnt(2)
	v_fma_f32 v2, -v36, v2, v5
	ds_read2_b32 v[5:6], v34 offset0:73 offset1:74
	v_fma_f32 v1, -v37, v1, v2
	s_waitcnt lgkmcnt(2)
	v_fma_f32 v4, -v38, v4, v1
	ds_read2_b32 v[1:2], v34 offset0:71 offset1:72
	v_fma_f32 v3, -v39, v3, v4
	;; [unrolled: 4-line block ×5, first 2 shown]
	s_waitcnt lgkmcnt(1)
	v_fma_f32 v3, -v31, v6, v3
	v_fma_f32 v3, -v32, v5, v3
	ds_read2_b32 v[5:6], v34 offset0:63 offset1:64
	s_waitcnt lgkmcnt(1)
	v_fma_f32 v2, -v33, v2, v3
	v_fma_f32 v9, -v23, v1, v2
	ds_read2_b64 v[1:4], v34 offset0:27 offset1:28
	ds_write2_b32 v17, v15, v23 offset0:80 offset1:100
	s_waitcnt lgkmcnt(2)
	v_fma_f32 v6, -v15, v6, v9
	v_mul_f32_e32 v16, v6, v5
	v_fma_f32 v5, -v35, v8, v20
	v_fma_f32 v5, -v36, v7, v5
	s_waitcnt lgkmcnt(1)
	v_fma_f32 v8, -v37, v4, v5
	ds_read2_b64 v[4:7], v34 offset0:25 offset1:26
	v_fma_f32 v3, -v38, v3, v8
	v_fma_f32 v2, -v39, v2, v3
	;; [unrolled: 1-line block ×3, first 2 shown]
	ds_read2_b64 v[8:11], v34 offset0:23 offset1:24
	s_waitcnt lgkmcnt(1)
	v_fma_f32 v1, -v24, v7, v1
	v_fma_f32 v1, -v25, v6, v1
	;; [unrolled: 1-line block ×4, first 2 shown]
	s_waitcnt lgkmcnt(0)
	v_fma_f32 v5, -v30, v11, v1
	ds_read2_b64 v[1:4], v34 offset0:21 offset1:22
	ds_read_b32 v6, v34 offset:156
	v_fma_f32 v5, -v31, v10, v5
	v_fma_f32 v5, -v32, v9, v5
	;; [unrolled: 1-line block ×3, first 2 shown]
	s_waitcnt lgkmcnt(1)
	v_fma_f32 v4, -v23, v4, v5
	v_fma_f32 v3, -v15, v3, v4
	;; [unrolled: 1-line block ×3, first 2 shown]
	ds_read2_b32 v[2:3], v34 offset0:37 offset1:38
	v_mul_f32_e32 v22, v4, v1
	ds_read2_b32 v[4:5], v34 offset0:35 offset1:36
	s_waitcnt lgkmcnt(2)
	v_fma_f32 v1, -v35, v6, v27
	ds_read2_b32 v[6:7], v34 offset0:33 offset1:34
	s_waitcnt lgkmcnt(2)
	v_fma_f32 v1, -v36, v3, v1
	v_fma_f32 v1, -v37, v2, v1
	s_waitcnt lgkmcnt(1)
	v_fma_f32 v3, -v38, v5, v1
	ds_read2_b32 v[1:2], v34 offset0:31 offset1:32
	v_fma_f32 v3, -v39, v4, v3
	s_waitcnt lgkmcnt(1)
	v_fma_f32 v5, -v40, v7, v3
	ds_read2_b32 v[3:4], v34 offset0:29 offset1:30
	;; [unrolled: 4-line block ×4, first 2 shown]
	v_fma_f32 v3, -v30, v3, v4
	s_waitcnt lgkmcnt(1)
	v_fma_f32 v3, -v31, v6, v3
	v_fma_f32 v3, -v32, v5, v3
	ds_read2_b32 v[5:6], v34 offset0:23 offset1:24
	s_waitcnt lgkmcnt(1)
	v_fma_f32 v2, -v33, v2, v3
	ds_read2_b32 v[7:8], v34 offset0:21 offset1:22
	v_fma_f32 v9, -v23, v1, v2
	ds_read_b128 v[1:4], v34 offset:64
	s_waitcnt lgkmcnt(2)
	v_fma_f32 v6, -v15, v6, v9
	v_fma_f32 v5, -v16, v5, v6
	ds_write2_b32 v17, v22, v16 offset0:40 offset1:60
	s_waitcnt lgkmcnt(2)
	v_fma_f32 v5, -v22, v8, v5
	s_waitcnt lgkmcnt(1)
	v_fma_f32 v4, -v35, v4, v26
	v_mul_f32_e32 v27, v5, v7
	v_fma_f32 v11, -v36, v3, v4
	ds_read_b128 v[3:6], v34 offset:32
	ds_read_b128 v[7:10], v34 offset:48
	v_fma_f32 v2, -v37, v2, v11
	v_fma_f32 v1, -v38, v1, v2
	ds_read_b128 v[11:14], v34
	ds_read_b128 v[18:21], v34 offset:16
	s_waitcnt lgkmcnt(2)
	v_fma_f32 v1, -v39, v10, v1
	v_fma_f32 v1, -v40, v9, v1
	;; [unrolled: 1-line block ×8, first 2 shown]
	s_waitcnt lgkmcnt(0)
	v_fma_f32 v1, -v32, v21, v1
	v_fma_f32 v1, -v33, v20, v1
	v_fma_f32 v1, -v23, v19, v1
	v_fma_f32 v1, -v15, v18, v1
	v_fma_f32 v1, -v16, v14, v1
	v_fma_f32 v1, -v22, v13, v1
	v_fma_f32 v1, -v27, v12, v1
	v_mul_f32_e32 v1, v1, v11
	ds_write2_b32 v17, v1, v27 offset1:20
	s_cmp_gt_i32 s5, -1
	s_cbranch_scc1 .LBB23_13
	s_branch .LBB23_31
.LBB23_12:
	s_mov_b32 s5, s4
	s_cmp_gt_i32 s5, -1
	s_cbranch_scc0 .LBB23_31
.LBB23_13:
	s_cmp_lt_u32 s5, 15
	s_cbranch_scc1 .LBB23_18
; %bb.14:
	s_mul_i32 s8, s5, 0x50
	v_add_u32_e32 v14, s8, v17
	v_add_u32_e32 v1, 0xffffffb0, v14
	;; [unrolled: 1-line block ×8, first 2 shown]
	ds_read_b32 v18, v14
	ds_read_b32 v16, v1
	;; [unrolled: 1-line block ×8, first 2 shown]
	v_add_u32_e32 v1, 0xfffffd80, v14
	v_add_u32_e32 v2, 0xfffffd30, v14
	;; [unrolled: 1-line block ×8, first 2 shown]
	ds_read_b32 v8, v1
	ds_read_b32 v7, v2
	;; [unrolled: 1-line block ×8, first 2 shown]
	s_cmp_le_i32 s4, s5
	s_cbranch_scc1 .LBB23_17
; %bb.15:
	s_mul_i32 s11, s16, 0x50
	v_lshl_add_u32 v19, v0, 2, s11
	s_lshl_b32 s11, s16, 2
	s_add_i32 s11, s8, s11
	v_add_u32_e32 v19, 0x5f0, v19
	s_addk_i32 s11, 0xfb4c
	s_mov_b32 s12, s4
.LBB23_16:                              ; =>This Inner Loop Header: Depth=1
	v_mov_b32_e32 v30, s11
	v_add_u32_e32 v32, 0x400, v30
	v_add_u32_e32 v34, 0x200, v30
	ds_read_b32 v36, v19
	ds_read2_b32 v[20:21], v30 offset0:200 offset1:220
	ds_read2_b32 v[22:23], v30 offset0:160 offset1:180
	;; [unrolled: 1-line block ×5, first 2 shown]
	ds_read2_b32 v[30:31], v30 offset1:20
	ds_read2_b32 v[32:33], v32 offset0:24 offset1:44
	ds_read2_b32 v[34:35], v34 offset0:112 offset1:132
	s_add_i32 s12, s12, -1
	s_add_i32 s11, s11, -4
	v_add_u32_e32 v19, 0xffffffb0, v19
	s_cmp_gt_i32 s12, s5
	s_waitcnt lgkmcnt(7)
	v_fma_f32 v12, -v36, v21, v12
	v_fma_f32 v11, -v36, v20, v11
	s_waitcnt lgkmcnt(6)
	v_fma_f32 v10, -v36, v23, v10
	v_fma_f32 v9, -v36, v22, v9
	;; [unrolled: 3-line block ×8, first 2 shown]
	s_cbranch_scc1 .LBB23_16
.LBB23_17:
	s_mul_i32 s11, s5, 0x54
	v_mov_b32_e32 v19, s11
	s_add_i32 s11, s8, 0xffffffb0
	s_lshl_b32 s8, s5, 2
	s_add_i32 s8, s11, s8
	s_add_i32 s12, s8, -4
	ds_read_b32 v23, v19
	v_mov_b32_e32 v19, s12
	s_add_i32 s12, s8, 0xffffffb0
	v_mov_b32_e32 v21, s12
	s_add_i32 s12, s8, 0xffffffa8
	v_mov_b32_e32 v22, s12
	ds_read2_b32 v[19:20], v19 offset1:1
	ds_read_b32 v24, v21
	ds_read2_b32 v[21:22], v22 offset1:1
	s_waitcnt lgkmcnt(3)
	v_mul_f32_e32 v23, v18, v23
	ds_write_b32 v14, v23
	s_waitcnt lgkmcnt(3)
	v_fma_f32 v14, -v23, v20, v16
	v_mul_f32_e32 v25, v14, v19
	s_waitcnt lgkmcnt(2)
	v_fma_f32 v14, -v23, v24, v15
	v_add_u32_e32 v26, s11, v17
	s_waitcnt lgkmcnt(1)
	v_fma_f32 v14, -v25, v22, v14
	v_mul_f32_e32 v22, v14, v21
	v_add_u32_e32 v14, 0xffffffb0, v26
	s_add_i32 s11, s8, 0xffffff5c
	ds_write_b32 v14, v22
	v_mov_b32_e32 v14, s11
	s_add_i32 s11, s8, 0xffffff54
	v_mov_b32_e32 v16, s11
	s_add_i32 s11, s8, 0xffffff10
	;; [unrolled: 2-line block ×3, first 2 shown]
	ds_write_b32 v26, v25
	v_mov_b32_e32 v21, s11
	ds_read2_b32 v[14:15], v14 offset1:1
	ds_read2_b32 v[18:19], v16 offset1:1
	ds_read_b32 v16, v20
	ds_read2_b32 v[20:21], v21 offset1:1
	s_add_i32 s11, s8, 0xffffff00
	s_add_i32 s5, s5, -16
	s_waitcnt lgkmcnt(1)
	v_fma_f32 v12, -v23, v16, v12
	v_fma_f32 v13, -v23, v15, v13
	s_waitcnt lgkmcnt(0)
	v_fma_f32 v12, -v25, v21, v12
	v_fma_f32 v13, -v25, v14, v13
	;; [unrolled: 1-line block ×3, first 2 shown]
	v_mov_b32_e32 v12, s11
	s_add_i32 s11, s8, 0xfffffebc
	v_fma_f32 v13, -v22, v19, v13
	v_mov_b32_e32 v14, s11
	s_add_i32 s11, s8, 0xfffffeb4
	v_mul_f32_e32 v24, v13, v18
	v_add_u32_e32 v13, 0xffffff60, v26
	v_mov_b32_e32 v18, s11
	s_add_i32 s11, s8, 0xfffffeac
	ds_write_b32 v13, v24
	v_mov_b32_e32 v20, s11
	ds_read2_b32 v[12:13], v12 offset1:1
	ds_read2_b32 v[14:15], v14 offset1:1
	;; [unrolled: 1-line block ×4, first 2 shown]
	s_add_i32 s11, s8, 0xfffffe70
	s_waitcnt lgkmcnt(2)
	v_fma_f32 v11, -v23, v15, v11
	v_fma_f32 v11, -v25, v14, v11
	;; [unrolled: 1-line block ×3, first 2 shown]
	s_waitcnt lgkmcnt(1)
	v_fma_f32 v11, -v22, v19, v11
	v_mul_f32_e32 v27, v13, v12
	v_fma_f32 v11, -v24, v18, v11
	s_waitcnt lgkmcnt(0)
	v_fma_f32 v11, -v27, v21, v11
	v_mul_f32_e32 v20, v11, v20
	v_add_u32_e32 v11, 0xfffffec0, v26
	v_add_u32_e32 v12, 0xffffff10, v26
	ds_write_b32 v11, v20
	v_mov_b32_e32 v11, s11
	s_add_i32 s11, s8, 0xfffffe68
	ds_write_b32 v12, v27
	v_mov_b32_e32 v12, s11
	ds_read_b32 v18, v11
	ds_read2_b32 v[11:12], v12 offset1:1
	s_add_i32 s11, s8, 0xfffffe60
	v_mov_b32_e32 v13, s11
	s_add_i32 s11, s8, 0xfffffe58
	v_mov_b32_e32 v15, s11
	ds_read2_b32 v[13:14], v13 offset1:1
	ds_read2_b32 v[15:16], v15 offset1:1
	s_waitcnt lgkmcnt(3)
	v_fma_f32 v10, -v23, v18, v10
	s_waitcnt lgkmcnt(2)
	v_fma_f32 v10, -v25, v12, v10
	v_fma_f32 v10, -v22, v11, v10
	s_waitcnt lgkmcnt(1)
	v_fma_f32 v10, -v24, v14, v10
	;; [unrolled: 3-line block ×3, first 2 shown]
	v_mul_f32_e32 v16, v10, v15
	v_add_u32_e32 v10, 0xfffffe70, v26
	s_add_i32 s11, s8, 0xfffffe1c
	ds_write_b32 v10, v16
	v_mov_b32_e32 v10, s11
	ds_read2_b32 v[10:11], v10 offset1:1
	s_add_i32 s11, s8, 0xfffffe14
	v_mov_b32_e32 v12, s11
	s_add_i32 s11, s8, 0xfffffe0c
	v_mov_b32_e32 v14, s11
	;; [unrolled: 2-line block ×3, first 2 shown]
	ds_read2_b32 v[12:13], v12 offset1:1
	ds_read2_b32 v[14:15], v14 offset1:1
	ds_read2_b32 v[18:19], v18 offset1:1
	s_waitcnt lgkmcnt(3)
	v_fma_f32 v9, -v23, v11, v9
	v_fma_f32 v9, -v25, v10, v9
	s_waitcnt lgkmcnt(2)
	v_fma_f32 v9, -v22, v13, v9
	v_fma_f32 v9, -v24, v12, v9
	;; [unrolled: 3-line block ×3, first 2 shown]
	s_waitcnt lgkmcnt(0)
	v_fma_f32 v9, -v16, v19, v9
	v_mul_f32_e32 v18, v9, v18
	v_add_u32_e32 v9, 0xfffffe20, v26
	s_add_i32 s11, s8, 0xfffffdd0
	ds_write_b32 v9, v18
	v_mov_b32_e32 v9, s11
	s_add_i32 s11, s8, 0xfffffdc8
	v_mov_b32_e32 v10, s11
	ds_read_b32 v15, v9
	ds_read2_b32 v[9:10], v10 offset1:1
	s_add_i32 s11, s8, 0xfffffdc0
	v_mov_b32_e32 v11, s11
	s_add_i32 s11, s8, 0xfffffdb8
	v_mov_b32_e32 v13, s11
	ds_read2_b32 v[11:12], v11 offset1:1
	ds_read2_b32 v[13:14], v13 offset1:1
	s_waitcnt lgkmcnt(3)
	v_fma_f32 v8, -v23, v15, v8
	s_waitcnt lgkmcnt(2)
	v_fma_f32 v8, -v25, v10, v8
	s_add_i32 s11, s8, 0xfffffdb0
	v_fma_f32 v10, -v22, v9, v8
	v_mov_b32_e32 v8, s11
	ds_read2_b32 v[8:9], v8 offset1:1
	s_waitcnt lgkmcnt(2)
	v_fma_f32 v10, -v24, v12, v10
	v_fma_f32 v10, -v27, v11, v10
	s_waitcnt lgkmcnt(1)
	v_fma_f32 v10, -v20, v14, v10
	v_fma_f32 v10, -v16, v13, v10
	s_waitcnt lgkmcnt(0)
	v_fma_f32 v9, -v18, v9, v10
	v_mul_f32_e32 v19, v9, v8
	v_add_u32_e32 v8, 0xfffffdd0, v26
	s_add_i32 s11, s8, 0xfffffd7c
	ds_write_b32 v8, v19
	v_mov_b32_e32 v8, s11
	ds_read2_b32 v[8:9], v8 offset1:1
	s_add_i32 s11, s8, 0xfffffd74
	v_mov_b32_e32 v10, s11
	s_add_i32 s11, s8, 0xfffffd6c
	v_mov_b32_e32 v12, s11
	;; [unrolled: 2-line block ×3, first 2 shown]
	ds_read2_b32 v[10:11], v10 offset1:1
	ds_read2_b32 v[12:13], v12 offset1:1
	;; [unrolled: 1-line block ×3, first 2 shown]
	s_waitcnt lgkmcnt(3)
	v_fma_f32 v7, -v23, v9, v7
	v_fma_f32 v7, -v25, v8, v7
	s_waitcnt lgkmcnt(2)
	v_fma_f32 v7, -v22, v11, v7
	v_fma_f32 v7, -v24, v10, v7
	;; [unrolled: 3-line block ×3, first 2 shown]
	s_add_i32 s11, s8, 0xfffffd5c
	s_waitcnt lgkmcnt(0)
	v_fma_f32 v9, -v16, v15, v7
	v_mov_b32_e32 v7, s11
	s_add_i32 s11, s8, 0xfffffd30
	ds_read2_b32 v[7:8], v7 offset1:1
	v_mov_b32_e32 v10, s11
	ds_read_b32 v10, v10
	v_fma_f32 v9, -v18, v14, v9
	s_add_i32 s11, s8, 0xfffffd28
	s_waitcnt lgkmcnt(1)
	v_fma_f32 v8, -v19, v8, v9
	v_mul_f32_e32 v14, v8, v7
	v_add_u32_e32 v7, 0xfffffd80, v26
	s_waitcnt lgkmcnt(0)
	v_fma_f32 v15, -v23, v10, v6
	v_mov_b32_e32 v6, s11
	ds_write_b32 v7, v14
	ds_read2_b32 v[6:7], v6 offset1:1
	s_add_i32 s11, s8, 0xfffffd20
	v_mov_b32_e32 v8, s11
	s_add_i32 s11, s8, 0xfffffd18
	v_mov_b32_e32 v10, s11
	;; [unrolled: 2-line block ×3, first 2 shown]
	ds_read2_b32 v[8:9], v8 offset1:1
	ds_read2_b32 v[10:11], v10 offset1:1
	;; [unrolled: 1-line block ×3, first 2 shown]
	s_waitcnt lgkmcnt(3)
	v_fma_f32 v7, -v25, v7, v15
	v_fma_f32 v6, -v22, v6, v7
	s_waitcnt lgkmcnt(2)
	v_fma_f32 v6, -v24, v9, v6
	s_add_i32 s11, s8, 0xfffffd08
	v_fma_f32 v8, -v27, v8, v6
	v_mov_b32_e32 v6, s11
	ds_read2_b32 v[6:7], v6 offset1:1
	s_waitcnt lgkmcnt(2)
	v_fma_f32 v8, -v20, v11, v8
	v_fma_f32 v8, -v16, v10, v8
	s_waitcnt lgkmcnt(1)
	v_fma_f32 v8, -v18, v13, v8
	v_fma_f32 v8, -v19, v12, v8
	s_waitcnt lgkmcnt(0)
	v_fma_f32 v7, -v14, v7, v8
	v_mul_f32_e32 v15, v7, v6
	v_add_u32_e32 v6, 0xfffffd30, v26
	s_add_i32 s11, s8, 0xfffffcdc
	ds_write_b32 v6, v15
	v_mov_b32_e32 v6, s11
	ds_read2_b32 v[6:7], v6 offset1:1
	s_add_i32 s11, s8, 0xfffffcd4
	v_mov_b32_e32 v8, s11
	s_add_i32 s11, s8, 0xfffffccc
	v_mov_b32_e32 v10, s11
	;; [unrolled: 2-line block ×3, first 2 shown]
	ds_read2_b32 v[8:9], v8 offset1:1
	ds_read2_b32 v[10:11], v10 offset1:1
	;; [unrolled: 1-line block ×3, first 2 shown]
	s_waitcnt lgkmcnt(3)
	v_fma_f32 v5, -v23, v7, v5
	v_fma_f32 v5, -v25, v6, v5
	s_waitcnt lgkmcnt(2)
	v_fma_f32 v5, -v22, v9, v5
	s_add_i32 s11, s8, 0xfffffcbc
	v_fma_f32 v7, -v24, v8, v5
	v_mov_b32_e32 v5, s11
	ds_read2_b32 v[5:6], v5 offset1:1
	s_waitcnt lgkmcnt(2)
	v_fma_f32 v7, -v27, v11, v7
	v_fma_f32 v7, -v20, v10, v7
	s_waitcnt lgkmcnt(1)
	v_fma_f32 v7, -v16, v13, v7
	v_fma_f32 v7, -v18, v12, v7
	s_add_i32 s11, s8, 0xfffffcb4
	s_waitcnt lgkmcnt(0)
	v_fma_f32 v8, -v19, v6, v7
	v_mov_b32_e32 v6, s11
	s_add_i32 s11, s8, 0xfffffc90
	ds_read2_b32 v[6:7], v6 offset1:1
	v_fma_f32 v5, -v14, v5, v8
	v_mov_b32_e32 v8, s11
	ds_read_b32 v8, v8
	s_add_i32 s11, s8, 0xfffffc88
	s_waitcnt lgkmcnt(1)
	v_fma_f32 v5, -v15, v7, v5
	v_mul_f32_e32 v12, v5, v6
	v_add_u32_e32 v5, 0xfffffce0, v26
	s_waitcnt lgkmcnt(0)
	v_fma_f32 v13, -v23, v8, v4
	v_mov_b32_e32 v4, s11
	ds_write_b32 v5, v12
	ds_read2_b32 v[4:5], v4 offset1:1
	s_add_i32 s11, s8, 0xfffffc80
	v_mov_b32_e32 v6, s11
	s_add_i32 s11, s8, 0xfffffc78
	v_mov_b32_e32 v8, s11
	;; [unrolled: 2-line block ×3, first 2 shown]
	ds_read2_b32 v[6:7], v6 offset1:1
	ds_read2_b32 v[8:9], v8 offset1:1
	;; [unrolled: 1-line block ×3, first 2 shown]
	s_waitcnt lgkmcnt(3)
	v_fma_f32 v5, -v25, v5, v13
	v_fma_f32 v4, -v22, v4, v5
	s_waitcnt lgkmcnt(2)
	v_fma_f32 v4, -v24, v7, v4
	v_fma_f32 v4, -v27, v6, v4
	s_waitcnt lgkmcnt(1)
	v_fma_f32 v4, -v20, v9, v4
	s_add_i32 s11, s8, 0xfffffc68
	v_fma_f32 v8, -v16, v8, v4
	v_mov_b32_e32 v4, s11
	ds_read2_b32 v[4:5], v4 offset1:1
	s_add_i32 s11, s8, 0xfffffc60
	v_mov_b32_e32 v6, s11
	ds_read2_b32 v[6:7], v6 offset1:1
	s_waitcnt lgkmcnt(2)
	v_fma_f32 v8, -v18, v11, v8
	v_fma_f32 v8, -v19, v10, v8
	s_waitcnt lgkmcnt(1)
	v_fma_f32 v5, -v14, v5, v8
	v_fma_f32 v4, -v15, v4, v5
	s_waitcnt lgkmcnt(0)
	v_fma_f32 v4, -v12, v7, v4
	v_mul_f32_e32 v13, v4, v6
	v_add_u32_e32 v4, 0xfffffc90, v26
	s_add_i32 s11, s8, 0xfffffc3c
	ds_write_b32 v4, v13
	v_mov_b32_e32 v4, s11
	ds_read2_b32 v[4:5], v4 offset1:1
	s_add_i32 s11, s8, 0xfffffc34
	v_mov_b32_e32 v6, s11
	s_add_i32 s11, s8, 0xfffffc2c
	v_mov_b32_e32 v8, s11
	;; [unrolled: 2-line block ×3, first 2 shown]
	ds_read2_b32 v[6:7], v6 offset1:1
	ds_read2_b32 v[8:9], v8 offset1:1
	ds_read2_b32 v[10:11], v10 offset1:1
	s_waitcnt lgkmcnt(3)
	v_fma_f32 v3, -v23, v5, v3
	v_fma_f32 v3, -v25, v4, v3
	s_waitcnt lgkmcnt(2)
	v_fma_f32 v3, -v22, v7, v3
	v_fma_f32 v3, -v24, v6, v3
	s_waitcnt lgkmcnt(1)
	v_fma_f32 v3, -v27, v9, v3
	s_add_i32 s11, s8, 0xfffffc1c
	v_fma_f32 v7, -v20, v8, v3
	v_mov_b32_e32 v3, s11
	ds_read2_b32 v[3:4], v3 offset1:1
	s_add_i32 s11, s8, 0xfffffc14
	v_mov_b32_e32 v5, s11
	ds_read2_b32 v[5:6], v5 offset1:1
	s_waitcnt lgkmcnt(2)
	v_fma_f32 v7, -v16, v11, v7
	v_fma_f32 v7, -v18, v10, v7
	s_waitcnt lgkmcnt(1)
	v_fma_f32 v4, -v19, v4, v7
	v_fma_f32 v3, -v14, v3, v4
	s_add_i32 s11, s8, 0xfffffc0c
	s_waitcnt lgkmcnt(0)
	v_fma_f32 v6, -v15, v6, v3
	v_mov_b32_e32 v3, s11
	s_add_i32 s11, s8, 0xfffffbf0
	ds_read2_b32 v[3:4], v3 offset1:1
	v_fma_f32 v5, -v12, v5, v6
	v_mov_b32_e32 v6, s11
	ds_read_b32 v6, v6
	s_add_i32 s11, s8, 0xfffffbe8
	s_waitcnt lgkmcnt(1)
	v_fma_f32 v4, -v13, v4, v5
	v_mul_f32_e32 v10, v4, v3
	v_add_u32_e32 v3, 0xfffffc40, v26
	s_waitcnt lgkmcnt(0)
	v_fma_f32 v11, -v23, v6, v2
	v_mov_b32_e32 v2, s11
	ds_write_b32 v3, v10
	ds_read2_b32 v[2:3], v2 offset1:1
	s_add_i32 s11, s8, 0xfffffbe0
	v_mov_b32_e32 v4, s11
	s_add_i32 s11, s8, 0xfffffbd8
	v_mov_b32_e32 v6, s11
	s_add_i32 s11, s8, 0xfffffbd0
	v_mov_b32_e32 v8, s11
	ds_read2_b32 v[4:5], v4 offset1:1
	ds_read2_b32 v[6:7], v6 offset1:1
	;; [unrolled: 1-line block ×3, first 2 shown]
	s_waitcnt lgkmcnt(3)
	v_fma_f32 v3, -v25, v3, v11
	v_fma_f32 v2, -v22, v2, v3
	s_waitcnt lgkmcnt(2)
	v_fma_f32 v2, -v24, v5, v2
	v_fma_f32 v2, -v27, v4, v2
	;; [unrolled: 3-line block ×3, first 2 shown]
	s_waitcnt lgkmcnt(0)
	v_fma_f32 v2, -v18, v9, v2
	s_add_i32 s11, s8, 0xfffffbc8
	v_fma_f32 v8, -v19, v8, v2
	v_mov_b32_e32 v2, s11
	s_add_i32 s11, s8, 0xfffffbc0
	v_mov_b32_e32 v4, s11
	ds_read2_b32 v[2:3], v2 offset1:1
	ds_read2_b32 v[4:5], v4 offset1:1
	s_add_i32 s11, s8, 0xfffffbb8
	v_mov_b32_e32 v6, s11
	ds_read2_b32 v[6:7], v6 offset1:1
	s_waitcnt lgkmcnt(2)
	v_fma_f32 v3, -v14, v3, v8
	v_fma_f32 v2, -v15, v2, v3
	s_waitcnt lgkmcnt(1)
	v_fma_f32 v2, -v12, v5, v2
	v_fma_f32 v2, -v13, v4, v2
	s_waitcnt lgkmcnt(0)
	v_fma_f32 v2, -v10, v7, v2
	v_mul_f32_e32 v11, v2, v6
	v_add_u32_e32 v2, 0xfffffbf0, v26
	s_add_i32 s11, s8, 0xfffffb9c
	ds_write_b32 v2, v11
	v_mov_b32_e32 v2, s11
	ds_read2_b32 v[2:3], v2 offset1:1
	s_add_i32 s11, s8, 0xfffffb94
	v_mov_b32_e32 v4, s11
	s_add_i32 s11, s8, 0xfffffb8c
	v_mov_b32_e32 v6, s11
	;; [unrolled: 2-line block ×3, first 2 shown]
	ds_read2_b32 v[4:5], v4 offset1:1
	ds_read2_b32 v[6:7], v6 offset1:1
	ds_read2_b32 v[8:9], v8 offset1:1
	s_waitcnt lgkmcnt(3)
	v_fma_f32 v1, -v23, v3, v1
	v_fma_f32 v1, -v25, v2, v1
	s_waitcnt lgkmcnt(2)
	v_fma_f32 v1, -v22, v5, v1
	v_fma_f32 v1, -v24, v4, v1
	;; [unrolled: 3-line block ×3, first 2 shown]
	s_waitcnt lgkmcnt(0)
	v_fma_f32 v1, -v16, v9, v1
	s_add_i32 s11, s8, 0xfffffb7c
	v_fma_f32 v7, -v18, v8, v1
	v_mov_b32_e32 v1, s11
	ds_read2_b32 v[1:2], v1 offset1:1
	s_add_i32 s11, s8, 0xfffffb74
	v_mov_b32_e32 v3, s11
	s_add_i32 s11, s8, 0xfffffb6c
	v_mov_b32_e32 v5, s11
	ds_read2_b32 v[3:4], v3 offset1:1
	ds_read2_b32 v[5:6], v5 offset1:1
	s_waitcnt lgkmcnt(2)
	v_fma_f32 v2, -v19, v2, v7
	s_addk_i32 s8, 0xfb64
	v_fma_f32 v7, -v14, v1, v2
	v_mov_b32_e32 v1, s8
	ds_read2_b32 v[1:2], v1 offset1:1
	s_waitcnt lgkmcnt(2)
	v_fma_f32 v4, -v15, v4, v7
	v_fma_f32 v3, -v12, v3, v4
	s_waitcnt lgkmcnt(1)
	v_fma_f32 v3, -v13, v6, v3
	v_fma_f32 v3, -v10, v5, v3
	s_waitcnt lgkmcnt(0)
	v_fma_f32 v2, -v11, v2, v3
	v_mul_f32_e32 v1, v2, v1
	v_add_u32_e32 v2, 0xfffffba0, v26
	ds_write_b32 v2, v1
.LBB23_18:
	s_cmp_lt_i32 s5, 0
	s_cbranch_scc1 .LBB23_31
; %bb.19:
	s_bitcmp1_b32 s5, 0
	s_cselect_b64 s[12:13], -1, 0
	s_and_b64 vcc, exec, s[12:13]
	s_mov_b32 s8, s5
	s_cbranch_vccnz .LBB23_24
; %bb.20:
	s_mul_i32 s8, s5, 0x50
	v_add_u32_e32 v1, s8, v17
	ds_read_b32 v2, v1
	s_cmp_le_i32 s4, s5
	s_cbranch_scc1 .LBB23_23
; %bb.21:
	s_lshl_b32 s11, s16, 2
	s_add_i32 s8, s8, s11
	s_mul_i32 s11, s16, 0x50
	v_lshl_add_u32 v3, v0, 2, s11
	s_add_i32 s8, s8, -4
	v_add_u32_e32 v3, 0x5f0, v3
	s_mov_b32 s11, s4
.LBB23_22:                              ; =>This Inner Loop Header: Depth=1
	v_mov_b32_e32 v5, s8
	ds_read_b32 v4, v3
	ds_read_b32 v5, v5
	s_add_i32 s11, s11, -1
	s_add_i32 s8, s8, -4
	v_add_u32_e32 v3, 0xffffffb0, v3
	s_cmp_gt_i32 s11, s5
	s_waitcnt lgkmcnt(0)
	v_fma_f32 v2, -v4, v5, v2
	s_cbranch_scc1 .LBB23_22
.LBB23_23:
	s_mul_i32 s8, s5, 0x54
	v_mov_b32_e32 v3, s8
	ds_read_b32 v3, v3
	s_add_i32 s8, s5, -1
	s_waitcnt lgkmcnt(0)
	v_mul_f32_e32 v2, v2, v3
	ds_write_b32 v1, v2
.LBB23_24:
	s_cmp_eq_u32 s5, 0
	s_cbranch_scc1 .LBB23_31
; %bb.25:
	s_mul_i32 s5, s8, 0x50
	s_lshl_b32 s11, s16, 2
	s_mul_i32 s12, s16, 0x50
	s_add_i32 s11, s5, s11
	v_lshl_add_u32 v1, v0, 2, s12
	s_add_i32 s5, s11, -4
	v_add_u32_e32 v1, 0x5f0, v1
	s_addk_i32 s11, 0xffac
	s_branch .LBB23_27
.LBB23_26:                              ;   in Loop: Header=BB23_27 Depth=1
	s_addk_i32 s12, 0xffac
	v_mov_b32_e32 v3, s12
	ds_read_b32 v3, v3
	s_add_i32 s12, s8, -2
	s_addk_i32 s5, 0xff60
	s_addk_i32 s11, 0xff60
	s_cmp_lt_i32 s8, 2
	s_waitcnt lgkmcnt(0)
	v_mul_f32_e32 v3, v5, v3
	s_mov_b32 s8, s12
	ds_write_b32 v2, v3
	s_cbranch_scc1 .LBB23_31
.LBB23_27:                              ; =>This Loop Header: Depth=1
                                        ;     Child Loop BB23_28 Depth 2
                                        ;     Child Loop BB23_30 Depth 2
	s_mul_i32 s13, s8, 0x50
	v_add_u32_e32 v3, s13, v17
	ds_read_b32 v4, v3
	s_cmp_le_i32 s4, s8
	v_mov_b32_e32 v2, v1
	s_mov_b32 s12, s5
	s_mov_b32 s14, s4
	s_cbranch_scc1 .LBB23_29
.LBB23_28:                              ;   Parent Loop BB23_27 Depth=1
                                        ; =>  This Inner Loop Header: Depth=2
	v_mov_b32_e32 v6, s12
	ds_read_b32 v5, v2
	ds_read_b32 v6, v6
	s_add_i32 s14, s14, -1
	s_add_i32 s12, s12, -4
	v_add_u32_e32 v2, 0xffffffb0, v2
	s_cmp_gt_i32 s14, s8
	s_waitcnt lgkmcnt(0)
	v_fma_f32 v4, -v5, v6, v4
	s_cbranch_scc1 .LBB23_28
.LBB23_29:                              ;   in Loop: Header=BB23_27 Depth=1
	s_mul_i32 s12, s8, 0x54
	v_mov_b32_e32 v2, s12
	ds_read_b32 v6, v2
	s_addk_i32 s13, 0xffb0
	v_add_u32_e32 v2, s13, v17
	ds_read_b32 v5, v2
	s_cmp_le_i32 s16, s8
	s_waitcnt lgkmcnt(1)
	v_mul_f32_e32 v4, v4, v6
	ds_write_b32 v3, v4
	v_mov_b32_e32 v3, v1
	s_mov_b32 s13, s11
	s_mov_b32 s14, s16
	s_cbranch_scc1 .LBB23_26
.LBB23_30:                              ;   Parent Loop BB23_27 Depth=1
                                        ; =>  This Inner Loop Header: Depth=2
	v_mov_b32_e32 v6, s13
	ds_read_b32 v4, v3
	ds_read_b32 v6, v6
	s_add_i32 s14, s14, -1
	s_add_i32 s13, s13, -4
	v_add_u32_e32 v3, 0xffffffb0, v3
	s_cmp_gt_i32 s14, s8
	s_waitcnt lgkmcnt(0)
	v_fma_f32 v5, -v4, v6, v5
	s_cbranch_scc1 .LBB23_30
	s_branch .LBB23_26
.LBB23_31:
	s_mov_b64 s[4:5], 0
.LBB23_32:
	s_and_b64 vcc, exec, s[4:5]
	s_cbranch_vccz .LBB23_46
; %bb.33:
	s_cmp_gt_i32 s10, 19
	s_cselect_b64 s[4:5], -1, 0
	s_and_b64 vcc, exec, s[4:5]
	s_cbranch_vccz .LBB23_35
; %bb.34:
	v_add_u32_e32 v40, 0x200, v17
	v_add_u32_e32 v1, 0x400, v17
	v_mov_b32_e32 v2, 0
	ds_read2_b32 v[7:8], v17 offset1:20
	ds_read2_b32 v[10:11], v17 offset0:40 offset1:60
	ds_read2_b32 v[15:16], v17 offset0:80 offset1:100
	;; [unrolled: 1-line block ×9, first 2 shown]
	ds_read_b128 v[3:6], v2
	ds_read2_b32 v[18:19], v2 offset0:105 offset1:106
	ds_read2_b32 v[25:26], v2 offset0:107 offset1:108
	s_movk_i32 s10, 0x200
	s_movk_i32 s8, 0x400
	s_waitcnt lgkmcnt(2)
	v_mul_f32_e32 v49, v7, v3
	v_fma_f32 v7, -v49, v4, v8
	ds_read2_b32 v[3:4], v2 offset0:21 offset1:22
	v_fma_f32 v5, -v49, v5, v10
	s_waitcnt lgkmcnt(0)
	v_mul_f32_e32 v3, v7, v3
	ds_read2_b64 v[7:10], v2 offset0:21 offset1:22
	v_fma_f32 v4, -v3, v4, v5
	ds_write2_b32 v17, v49, v3 offset1:20
	s_waitcnt lgkmcnt(1)
	v_mul_f32_e32 v4, v4, v7
	v_fma_f32 v7, -v49, v6, v11
	ds_read2_b32 v[5:6], v2 offset0:23 offset1:24
	ds_read_b128 v[11:14], v2 offset:16
	s_waitcnt lgkmcnt(1)
	v_fma_f32 v5, -v3, v5, v7
	v_fma_f32 v5, -v4, v8, v5
	ds_read2_b32 v[7:8], v2 offset0:63 offset1:64
	s_waitcnt lgkmcnt(0)
	v_mul_f32_e32 v5, v5, v7
	v_fma_f32 v7, -v49, v11, v15
	v_fma_f32 v6, -v3, v6, v7
	;; [unrolled: 1-line block ×4, first 2 shown]
	ds_read_b128 v[6:9], v2 offset:336
	v_fma_f32 v15, -v49, v12, v16
	ds_write2_b32 v17, v4, v5 offset0:40 offset1:60
	s_waitcnt lgkmcnt(1)
	v_mul_f32_e32 v6, v11, v6
	ds_read2_b32 v[11:12], v2 offset0:25 offset1:26
	s_waitcnt lgkmcnt(0)
	v_fma_f32 v11, -v3, v11, v15
	ds_read2_b32 v[15:16], v2 offset0:65 offset1:66
	v_fma_f32 v10, -v4, v10, v11
	s_waitcnt lgkmcnt(0)
	v_fma_f32 v10, -v5, v15, v10
	v_fma_f32 v7, -v6, v7, v10
	;; [unrolled: 1-line block ×4, first 2 shown]
	ds_read2_b64 v[10:13], v2 offset0:23 offset1:24
	v_mul_f32_e32 v7, v7, v18
	ds_write2_b32 v17, v6, v7 offset0:80 offset1:100
	s_waitcnt lgkmcnt(1)
	v_fma_f32 v10, -v4, v10, v15
	v_fma_f32 v10, -v5, v16, v10
	;; [unrolled: 1-line block ×4, first 2 shown]
	ds_read2_b32 v[14:15], v2 offset0:27 offset1:28
	v_fma_f32 v8, -v7, v19, v8
	ds_read2_b64 v[18:21], v2 offset0:63 offset1:64
	s_waitcnt lgkmcnt(1)
	v_fma_f32 v10, -v3, v14, v10
	v_fma_f32 v14, -v4, v11, v10
	ds_read2_b32 v[10:11], v2 offset0:67 offset1:68
	s_waitcnt lgkmcnt(0)
	v_fma_f32 v10, -v5, v10, v14
	v_fma_f32 v9, -v6, v9, v10
	;; [unrolled: 1-line block ×3, first 2 shown]
	ds_read_b128 v[22:25], v2 offset:32
	v_mul_f32_e32 v8, v8, v18
	v_fma_f32 v9, -v8, v19, v9
	ds_read2_b32 v[18:19], v2 offset0:147 offset1:148
	s_waitcnt lgkmcnt(0)
	v_mul_f32_e32 v50, v9, v18
	v_fma_f32 v9, -v49, v22, v29
	v_fma_f32 v9, -v3, v15, v9
	;; [unrolled: 1-line block ×4, first 2 shown]
	ds_read_b128 v[9:12], v2 offset:352
	ds_write2_b32 v17, v8, v50 offset0:120 offset1:140
	s_waitcnt lgkmcnt(1)
	v_fma_f32 v9, -v6, v9, v14
	v_fma_f32 v9, -v7, v26, v9
	ds_read_b128 v[26:29], v2 offset:672
	ds_read2_b32 v[14:15], v2 offset0:29 offset1:30
	v_fma_f32 v9, -v8, v20, v9
	v_fma_f32 v9, -v50, v19, v9
	ds_read2_b32 v[18:19], v2 offset0:69 offset1:70
	s_waitcnt lgkmcnt(2)
	v_mul_f32_e32 v51, v9, v26
	v_fma_f32 v9, -v49, v23, v30
	s_waitcnt lgkmcnt(1)
	v_fma_f32 v9, -v3, v14, v9
	v_fma_f32 v9, -v4, v13, v9
	s_waitcnt lgkmcnt(0)
	v_fma_f32 v9, -v5, v18, v9
	v_fma_f32 v13, -v6, v10, v9
	ds_read2_b32 v[9:10], v2 offset0:109 offset1:110
	s_waitcnt lgkmcnt(0)
	v_fma_f32 v9, -v7, v9, v13
	v_fma_f32 v9, -v8, v21, v9
	ds_read2_b32 v[21:22], v2 offset0:149 offset1:150
	s_waitcnt lgkmcnt(0)
	v_fma_f32 v9, -v50, v21, v9
	v_fma_f32 v9, -v51, v27, v9
	ds_read2_b32 v[26:27], v2 offset0:189 offset1:190
	s_waitcnt lgkmcnt(0)
	v_mul_f32_e32 v52, v9, v26
	v_fma_f32 v9, -v49, v24, v33
	v_fma_f32 v9, -v3, v15, v9
	ds_read2_b64 v[13:16], v2 offset0:25 offset1:26
	ds_read2_b64 v[30:33], v2 offset0:105 offset1:106
	ds_write2_b32 v17, v51, v52 offset0:160 offset1:180
	s_waitcnt lgkmcnt(2)
	v_fma_f32 v9, -v4, v13, v9
	v_fma_f32 v9, -v5, v19, v9
	ds_read2_b64 v[18:21], v2 offset0:65 offset1:66
	v_fma_f32 v9, -v6, v11, v9
	v_fma_f32 v9, -v7, v10, v9
	s_waitcnt lgkmcnt(0)
	v_fma_f32 v9, -v8, v18, v9
	v_fma_f32 v9, -v50, v22, v9
	ds_read2_b32 v[22:23], v2 offset0:31 offset1:32
	v_fma_f32 v9, -v51, v28, v9
	v_fma_f32 v9, -v52, v27, v9
	v_mul_f32_e32 v53, v9, v30
	v_fma_f32 v9, -v49, v25, v34
	s_waitcnt lgkmcnt(0)
	v_fma_f32 v9, -v3, v22, v9
	v_fma_f32 v9, -v4, v14, v9
	ds_read2_b32 v[13:14], v2 offset0:71 offset1:72
	ds_read2_b32 v[34:35], v2 offset0:231 offset1:232
	s_waitcnt lgkmcnt(1)
	v_fma_f32 v9, -v5, v13, v9
	v_fma_f32 v9, -v6, v12, v9
	ds_read2_b32 v[12:13], v2 offset0:111 offset1:112
	s_waitcnt lgkmcnt(0)
	v_fma_f32 v9, -v7, v12, v9
	v_fma_f32 v9, -v8, v19, v9
	;; [unrolled: 4-line block ×4, first 2 shown]
	v_mul_f32_e32 v54, v9, v34
	ds_read_b128 v[9:12], v2 offset:48
	ds_read_b128 v[26:29], v2 offset:688
	ds_write2_b32 v17, v53, v54 offset0:200 offset1:220
	s_waitcnt lgkmcnt(2)
	v_fma_f32 v9, -v49, v9, v37
	v_fma_f32 v9, -v3, v23, v9
	ds_read_b128 v[22:25], v2 offset:368
	v_fma_f32 v9, -v4, v15, v9
	v_fma_f32 v9, -v5, v14, v9
	s_waitcnt lgkmcnt(0)
	v_fma_f32 v9, -v6, v22, v9
	v_fma_f32 v9, -v7, v13, v9
	;; [unrolled: 1-line block ×8, first 2 shown]
	ds_read_b128 v[34:37], v2 offset:1008
	v_fma_f32 v13, -v49, v10, v38
	ds_read2_b32 v[18:19], v2 offset0:73 offset1:74
	s_waitcnt lgkmcnt(1)
	v_mul_f32_e32 v55, v9, v34
	ds_read2_b32 v[9:10], v2 offset0:33 offset1:34
	s_waitcnt lgkmcnt(0)
	v_fma_f32 v9, -v3, v9, v13
	v_fma_f32 v9, -v4, v16, v9
	;; [unrolled: 1-line block ×4, first 2 shown]
	ds_read2_b32 v[22:23], v2 offset0:113 offset1:114
	v_mov_b32_e32 v13, 0x444
	ds_read2_b32 v[38:39], v13 offset1:1
	ds_read2_b64 v[13:16], v2 offset0:27 offset1:28
	s_waitcnt lgkmcnt(2)
	v_fma_f32 v9, -v7, v22, v9
	v_fma_f32 v9, -v8, v21, v9
	ds_read2_b32 v[21:22], v2 offset0:153 offset1:154
	s_waitcnt lgkmcnt(0)
	v_fma_f32 v9, -v50, v21, v9
	v_fma_f32 v9, -v51, v27, v9
	ds_read2_b32 v[26:27], v2 offset0:193 offset1:194
	;; [unrolled: 4-line block ×3, first 2 shown]
	s_waitcnt lgkmcnt(0)
	v_fma_f32 v9, -v54, v33, v9
	v_fma_f32 v9, -v55, v35, v9
	v_mul_f32_e32 v56, v9, v38
	v_fma_f32 v9, -v49, v11, v41
	v_fma_f32 v9, -v3, v10, v9
	;; [unrolled: 1-line block ×4, first 2 shown]
	ds_read2_b64 v[18:21], v2 offset0:67 offset1:68
	ds_read2_b64 v[30:33], v2 offset0:107 offset1:108
	v_fma_f32 v9, -v6, v24, v9
	v_fma_f32 v9, -v7, v23, v9
	ds_write2_b32 v40, v55, v56 offset0:112 offset1:132
	s_waitcnt lgkmcnt(2)
	v_fma_f32 v9, -v8, v18, v9
	v_fma_f32 v9, -v50, v22, v9
	;; [unrolled: 1-line block ×4, first 2 shown]
	s_waitcnt lgkmcnt(1)
	v_fma_f32 v9, -v53, v30, v9
	v_fma_f32 v9, -v54, v34, v9
	;; [unrolled: 1-line block ×4, first 2 shown]
	ds_read2_b64 v[38:41], v2 offset0:147 offset1:148
	ds_read2_b32 v[22:23], v2 offset0:75 offset1:76
	ds_read2_b32 v[34:35], v2 offset0:235 offset1:236
	v_mov_b32_e32 v10, 0x44c
	s_waitcnt lgkmcnt(2)
	v_mul_f32_e32 v57, v9, v38
	v_fma_f32 v9, -v49, v12, v42
	ds_read2_b32 v[12:13], v2 offset0:35 offset1:36
	s_waitcnt lgkmcnt(0)
	v_fma_f32 v9, -v3, v12, v9
	v_fma_f32 v9, -v4, v14, v9
	;; [unrolled: 1-line block ×4, first 2 shown]
	ds_read2_b32 v[25:26], v2 offset0:115 offset1:116
	s_waitcnt lgkmcnt(0)
	v_fma_f32 v9, -v7, v25, v9
	v_fma_f32 v9, -v8, v19, v9
	ds_read2_b32 v[18:19], v2 offset0:155 offset1:156
	s_waitcnt lgkmcnt(0)
	v_fma_f32 v9, -v50, v18, v9
	v_fma_f32 v9, -v51, v29, v9
	;; [unrolled: 4-line block ×3, first 2 shown]
	v_fma_f32 v9, -v54, v34, v9
	v_fma_f32 v9, -v55, v37, v9
	ds_read2_b32 v[37:38], v10 offset1:1
	v_mov_b32_e32 v10, 0x4ec
	ds_read2_b32 v[42:43], v10 offset1:1
	s_waitcnt lgkmcnt(1)
	v_fma_f32 v9, -v56, v37, v9
	v_fma_f32 v9, -v57, v39, v9
	s_waitcnt lgkmcnt(0)
	v_mul_f32_e32 v39, v9, v42
	ds_read_b128 v[9:12], v2 offset:64
	ds_write2_b32 v1, v57, v39 offset0:24 offset1:44
	s_waitcnt lgkmcnt(1)
	v_fma_f32 v9, -v49, v9, v45
	v_fma_f32 v9, -v3, v13, v9
	;; [unrolled: 1-line block ×4, first 2 shown]
	ds_read_b128 v[22:25], v2 offset:384
	v_fma_f32 v13, -v49, v10, v46
	s_waitcnt lgkmcnt(0)
	v_fma_f32 v9, -v6, v22, v9
	v_fma_f32 v9, -v7, v26, v9
	ds_read_b128 v[26:29], v2 offset:704
	v_fma_f32 v9, -v8, v20, v9
	v_fma_f32 v9, -v50, v19, v9
	ds_read2_b32 v[18:19], v2 offset0:157 offset1:158
	s_waitcnt lgkmcnt(1)
	v_fma_f32 v9, -v51, v26, v9
	v_fma_f32 v9, -v52, v30, v9
	;; [unrolled: 1-line block ×4, first 2 shown]
	ds_read_b128 v[34:37], v2 offset:1024
	s_waitcnt lgkmcnt(0)
	v_fma_f32 v9, -v55, v34, v9
	v_fma_f32 v9, -v56, v38, v9
	;; [unrolled: 1-line block ×4, first 2 shown]
	ds_read_b128 v[42:45], v2 offset:1344
	s_waitcnt lgkmcnt(0)
	v_mul_f32_e32 v34, v9, v42
	ds_read2_b32 v[9:10], v2 offset0:37 offset1:38
	s_waitcnt lgkmcnt(0)
	v_fma_f32 v9, -v3, v9, v13
	ds_read2_b32 v[13:14], v2 offset0:77 offset1:78
	v_fma_f32 v9, -v4, v16, v9
	ds_read2_b32 v[15:16], v2 offset0:117 offset1:118
	s_waitcnt lgkmcnt(1)
	v_fma_f32 v9, -v5, v13, v9
	v_fma_f32 v9, -v6, v23, v9
	s_waitcnt lgkmcnt(0)
	v_fma_f32 v9, -v7, v15, v9
	v_fma_f32 v9, -v8, v21, v9
	ds_read2_b32 v[20:21], v2 offset0:197 offset1:198
	ds_read2_b32 v[22:23], v2 offset0:237 offset1:238
	v_fma_f32 v9, -v50, v18, v9
	v_mov_b32_e32 v13, 0x454
	v_fma_f32 v9, -v51, v27, v9
	ds_read2_b32 v[26:27], v13 offset1:1
	s_waitcnt lgkmcnt(2)
	v_fma_f32 v9, -v52, v20, v9
	v_mov_b32_e32 v13, 0x4f4
	v_fma_f32 v9, -v53, v33, v9
	ds_read2_b32 v[30:31], v13 offset1:1
	s_waitcnt lgkmcnt(2)
	;; [unrolled: 5-line block ×3, first 2 shown]
	v_fma_f32 v9, -v56, v26, v9
	v_fma_f32 v9, -v57, v41, v9
	s_waitcnt lgkmcnt(1)
	v_fma_f32 v9, -v39, v30, v9
	v_fma_f32 v9, -v34, v43, v9
	s_waitcnt lgkmcnt(0)
	v_mul_f32_e32 v22, v9, v32
	v_fma_f32 v9, -v49, v11, v47
	v_fma_f32 v11, -v3, v10, v9
	ds_read_b64 v[9:10], v2 offset:232
	ds_write2_b32 v1, v34, v22 offset0:64 offset1:84
	s_waitcnt lgkmcnt(1)
	v_fma_f32 v9, -v4, v9, v11
	v_fma_f32 v9, -v5, v14, v9
	;; [unrolled: 1-line block ×4, first 2 shown]
	ds_read_b64 v[13:14], v2 offset:552
	ds_read_b64 v[15:16], v2 offset:872
	v_fma_f32 v11, -v49, v12, v48
	ds_read_b32 v12, v2 offset:156
	s_waitcnt lgkmcnt(2)
	v_fma_f32 v9, -v8, v13, v9
	v_fma_f32 v9, -v50, v19, v9
	ds_read_b64 v[18:19], v2 offset:1192
	s_waitcnt lgkmcnt(1)
	v_fma_f32 v3, -v3, v12, v11
	v_fma_f32 v10, -v4, v10, v3
	ds_read2_b32 v[3:4], v2 offset0:79 offset1:119
	v_fma_f32 v9, -v51, v28, v9
	v_fma_f32 v9, -v52, v21, v9
	;; [unrolled: 1-line block ×3, first 2 shown]
	ds_read_b64 v[20:21], v2 offset:1512
	s_waitcnt lgkmcnt(1)
	v_fma_f32 v3, -v5, v3, v10
	v_fma_f32 v3, -v6, v25, v3
	;; [unrolled: 1-line block ×4, first 2 shown]
	ds_read2_b32 v[3:4], v2 offset0:159 offset1:199
	v_fma_f32 v9, -v54, v23, v9
	v_fma_f32 v9, -v55, v36, v9
	;; [unrolled: 1-line block ×4, first 2 shown]
	s_waitcnt lgkmcnt(0)
	v_fma_f32 v3, -v50, v3, v5
	v_fma_f32 v3, -v51, v29, v3
	;; [unrolled: 1-line block ×4, first 2 shown]
	v_add_u32_e64 v3, s10, 0
	ds_read2_b32 v[3:4], v3 offset0:111 offset1:151
	v_fma_f32 v9, -v39, v31, v9
	ds_read_b32 v2, v2 offset:1596
	v_fma_f32 v9, -v34, v44, v9
	v_fma_f32 v9, -v22, v33, v9
	s_waitcnt lgkmcnt(1)
	v_fma_f32 v3, -v54, v3, v5
	v_fma_f32 v3, -v55, v37, v3
	v_fma_f32 v3, -v56, v4, v3
	v_fma_f32 v5, -v57, v19, v3
	v_add_u32_e64 v3, s8, 0
	ds_read2_b32 v[3:4], v3 offset0:63 offset1:103
	v_mul_f32_e32 v9, v9, v20
	s_mov_b32 s8, 20
	s_waitcnt lgkmcnt(0)
	v_fma_f32 v3, -v39, v3, v5
	v_fma_f32 v3, -v34, v45, v3
	;; [unrolled: 1-line block ×4, first 2 shown]
	v_mul_f32_e32 v2, v3, v2
	ds_write2_b32 v1, v9, v2 offset0:104 offset1:124
	s_cmp_lt_i32 s8, s16
	s_cbranch_scc1 .LBB23_36
	s_branch .LBB23_46
.LBB23_35:
	s_mov_b32 s8, 0
	s_cmp_lt_i32 s8, s16
	s_cbranch_scc0 .LBB23_46
.LBB23_36:
	s_add_i32 s10, s8, 15
	s_cmp_ge_u32 s10, s16
	s_cbranch_scc1 .LBB23_41
; %bb.37:
	s_mul_i32 s11, s8, 0x50
	v_add_u32_e32 v18, s11, v17
	ds_read2_b32 v[15:16], v18 offset1:20
	ds_read2_b32 v[13:14], v18 offset0:40 offset1:60
	ds_read2_b32 v[11:12], v18 offset0:80 offset1:100
	;; [unrolled: 1-line block ×5, first 2 shown]
	v_add_u32_e32 v1, 0x200, v18
	ds_read2_b32 v[3:4], v1 offset0:112 offset1:132
	v_add_u32_e32 v1, 0x400, v18
	ds_read2_b32 v[1:2], v1 offset0:24 offset1:44
	s_andn2_b64 vcc, exec, s[4:5]
	s_lshl_b32 s4, s8, 2
	s_cbranch_vccnz .LBB23_40
; %bb.38:
	v_mov_b32_e32 v19, 0x640
	v_lshl_add_u32 v19, v0, 2, v19
	s_mov_b32 s5, s4
	s_mov_b32 s12, s8
.LBB23_39:                              ; =>This Inner Loop Header: Depth=1
	v_mov_b32_e32 v32, s5
	ds_read_b32 v36, v19
	ds_read_b128 v[20:23], v32
	ds_read_b128 v[24:27], v32 offset:16
	ds_read_b128 v[28:31], v32 offset:32
	;; [unrolled: 1-line block ×3, first 2 shown]
	s_add_i32 s12, s12, -1
	s_addk_i32 s5, 0x50
	v_add_u32_e32 v19, 0x50, v19
	s_cmp_lg_u32 s12, 0
	s_waitcnt lgkmcnt(3)
	v_fma_f32 v15, -v36, v20, v15
	v_fma_f32 v16, -v36, v21, v16
	v_fma_f32 v13, -v36, v22, v13
	v_fma_f32 v14, -v36, v23, v14
	s_waitcnt lgkmcnt(2)
	v_fma_f32 v11, -v36, v24, v11
	v_fma_f32 v12, -v36, v25, v12
	v_fma_f32 v9, -v36, v26, v9
	v_fma_f32 v10, -v36, v27, v10
	;; [unrolled: 5-line block ×4, first 2 shown]
	s_cbranch_scc1 .LBB23_39
.LBB23_40:
	s_add_i32 s5, s4, s11
	v_mov_b32_e32 v30, s5
	ds_read_b128 v[19:22], v30
	ds_read_b128 v[23:26], v30 offset:16
	s_add_i32 s12, s11, 0x50
	s_add_i32 s13, s11, 0xa0
	;; [unrolled: 1-line block ×3, first 2 shown]
	s_waitcnt lgkmcnt(1)
	v_mul_f32_e32 v31, v15, v19
	ds_write_b32 v18, v31
	v_fma_f32 v18, -v31, v20, v16
	ds_read2_b32 v[15:16], v30 offset0:21 offset1:22
	v_fma_f32 v13, -v31, v21, v13
	s_waitcnt lgkmcnt(2)
	v_fma_f32 v11, -v31, v23, v11
	v_fma_f32 v9, -v31, v25, v9
	s_addk_i32 s5, 0x444
	s_waitcnt lgkmcnt(0)
	v_mul_f32_e32 v32, v18, v15
	ds_read2_b64 v[18:21], v30 offset0:21 offset1:22
	v_add_u32_e32 v15, s12, v17
	s_add_i32 s12, s4, s12
	v_fma_f32 v13, -v32, v16, v13
	v_mov_b32_e32 v34, s12
	ds_write_b32 v15, v32
	v_fma_f32 v15, -v31, v22, v14
	ds_read2_b32 v[22:23], v34 offset0:7 offset1:8
	s_waitcnt lgkmcnt(2)
	v_mul_f32_e32 v33, v13, v18
	v_add_u32_e32 v13, s13, v17
	ds_write_b32 v13, v33
	ds_read2_b32 v[13:14], v34 offset0:3 offset1:4
	s_add_i32 s12, s4, s13
	s_add_i32 s13, s11, 0xf0
	v_mov_b32_e32 v39, s12
	s_waitcnt lgkmcnt(0)
	v_fma_f32 v13, -v32, v13, v15
	ds_read2_b32 v[15:16], v30 offset0:63 offset1:64
	v_fma_f32 v13, -v33, v19, v13
	v_fma_f32 v11, -v32, v14, v11
	;; [unrolled: 1-line block ×3, first 2 shown]
	s_waitcnt lgkmcnt(0)
	v_mul_f32_e32 v35, v13, v15
	v_add_u32_e32 v13, s13, v17
	ds_write_b32 v13, v35
	v_fma_f32 v11, -v35, v16, v11
	ds_read_b128 v[13:16], v30 offset:336
	s_add_i32 s13, s4, s13
	v_mov_b32_e32 v37, s13
	ds_read2_b32 v[18:19], v37 offset0:5 offset1:6
	s_add_i32 s13, s4, s14
	s_waitcnt lgkmcnt(1)
	v_mul_f32_e32 v36, v11, v13
	v_add_u32_e32 v11, s14, v17
	ds_write_b32 v11, v36
	v_fma_f32 v13, -v31, v24, v12
	ds_read2_b32 v[11:12], v34 offset0:5 offset1:6
	s_add_i32 s14, s11, 0x190
	ds_read2_b32 v[24:25], v37 offset0:7 offset1:8
	s_add_i32 s12, s4, s14
	v_mov_b32_e32 v41, s12
	s_waitcnt lgkmcnt(1)
	v_fma_f32 v11, -v32, v11, v13
	v_fma_f32 v11, -v33, v21, v11
	ds_read2_b32 v[20:21], v30 offset0:105 offset1:106
	v_fma_f32 v11, -v35, v18, v11
	v_fma_f32 v11, -v36, v14, v11
	;; [unrolled: 1-line block ×3, first 2 shown]
	v_mov_b32_e32 v43, s13
	s_waitcnt lgkmcnt(0)
	v_mul_f32_e32 v38, v11, v20
	v_add_u32_e32 v11, s14, v17
	ds_write_b32 v11, v38
	ds_read2_b64 v[11:14], v39 offset0:3 offset1:4
	s_add_i32 s14, s11, 0x1e0
	s_add_i32 s12, s4, s14
	v_mov_b32_e32 v47, s12
	s_waitcnt lgkmcnt(0)
	v_fma_f32 v9, -v33, v11, v9
	v_fma_f32 v9, -v35, v19, v9
	;; [unrolled: 1-line block ×4, first 2 shown]
	ds_read2_b64 v[18:21], v30 offset0:63 offset1:64
	s_waitcnt lgkmcnt(0)
	v_mul_f32_e32 v40, v9, v18
	v_add_u32_e32 v9, s14, v17
	ds_write_b32 v9, v40
	v_fma_f32 v9, -v31, v26, v10
	v_fma_f32 v9, -v32, v22, v9
	;; [unrolled: 1-line block ×5, first 2 shown]
	ds_read2_b32 v[15:16], v41 offset0:7 offset1:8
	s_add_i32 s14, s11, 0x230
	ds_read_b128 v[26:29], v30 offset:672
	s_add_i32 s13, s4, s14
	v_mov_b32_e32 v45, s13
	s_waitcnt lgkmcnt(1)
	v_fma_f32 v9, -v38, v15, v9
	v_fma_f32 v9, -v40, v19, v9
	ds_read2_b32 v[18:19], v30 offset0:147 offset1:148
	s_waitcnt lgkmcnt(0)
	v_mul_f32_e32 v42, v9, v18
	v_add_u32_e32 v9, s14, v17
	ds_write_b32 v9, v42
	ds_read_b128 v[9:12], v30 offset:32
	s_add_i32 s14, s11, 0x280
	s_add_i32 s13, s4, s14
	s_waitcnt lgkmcnt(0)
	v_fma_f32 v7, -v31, v9, v7
	v_fma_f32 v7, -v32, v23, v7
	v_fma_f32 v7, -v33, v13, v7
	v_fma_f32 v7, -v35, v25, v7
	ds_read_b128 v[22:25], v43 offset:32
	v_fma_f32 v9, -v31, v10, v8
	v_fma_f32 v5, -v31, v11, v5
	s_waitcnt lgkmcnt(0)
	v_fma_f32 v7, -v36, v22, v7
	v_fma_f32 v7, -v38, v16, v7
	;; [unrolled: 1-line block ×4, first 2 shown]
	v_mul_f32_e32 v44, v7, v26
	v_add_u32_e32 v7, s14, v17
	ds_write_b32 v7, v44
	ds_read2_b32 v[7:8], v34 offset0:9 offset1:10
	ds_read2_b32 v[15:16], v41 offset0:9 offset1:10
	;; [unrolled: 1-line block ×3, first 2 shown]
	s_add_i32 s14, s11, 0x2d0
	s_add_i32 s12, s4, s14
	s_waitcnt lgkmcnt(2)
	v_fma_f32 v7, -v32, v7, v9
	v_fma_f32 v7, -v33, v14, v7
	ds_read2_b32 v[13:14], v37 offset0:9 offset1:10
	v_fma_f32 v5, -v32, v8, v5
	v_mov_b32_e32 v49, s12
	s_waitcnt lgkmcnt(0)
	v_fma_f32 v7, -v35, v13, v7
	v_fma_f32 v7, -v36, v23, v7
	;; [unrolled: 1-line block ×4, first 2 shown]
	ds_read2_b32 v[20:21], v30 offset0:189 offset1:190
	v_fma_f32 v7, -v42, v18, v7
	v_fma_f32 v7, -v44, v27, v7
	ds_read2_b32 v[22:23], v37 offset0:11 offset1:12
	ds_read2_b32 v[26:27], v45 offset0:11 offset1:12
	s_waitcnt lgkmcnt(2)
	v_mul_f32_e32 v46, v7, v20
	v_add_u32_e32 v7, s14, v17
	ds_write_b32 v7, v46
	ds_read2_b64 v[7:10], v39 offset0:5 offset1:6
	s_add_i32 s14, s11, 0x320
	s_add_i32 s12, s4, s14
	s_waitcnt lgkmcnt(0)
	v_fma_f32 v5, -v33, v7, v5
	v_fma_f32 v5, -v35, v14, v5
	;; [unrolled: 1-line block ×4, first 2 shown]
	ds_read2_b64 v[13:16], v47 offset0:5 offset1:6
	s_waitcnt lgkmcnt(0)
	v_fma_f32 v5, -v40, v13, v5
	v_fma_f32 v5, -v42, v19, v5
	;; [unrolled: 1-line block ×4, first 2 shown]
	ds_read2_b64 v[18:21], v30 offset0:105 offset1:106
	s_waitcnt lgkmcnt(0)
	v_mul_f32_e32 v48, v5, v18
	v_add_u32_e32 v5, s14, v17
	ds_write_b32 v5, v48
	v_fma_f32 v5, -v31, v12, v6
	ds_read2_b32 v[11:12], v34 offset0:11 offset1:12
	s_add_i32 s14, s11, 0x370
	s_addk_i32 s11, 0x410
	s_waitcnt lgkmcnt(0)
	v_fma_f32 v5, -v32, v11, v5
	v_fma_f32 v5, -v33, v8, v5
	;; [unrolled: 1-line block ×4, first 2 shown]
	ds_read2_b32 v[24:25], v41 offset0:11 offset1:12
	s_waitcnt lgkmcnt(0)
	v_fma_f32 v5, -v38, v24, v5
	v_fma_f32 v5, -v40, v14, v5
	;; [unrolled: 1-line block ×4, first 2 shown]
	ds_read2_b32 v[28:29], v49 offset0:11 offset1:12
	s_waitcnt lgkmcnt(0)
	v_fma_f32 v5, -v46, v28, v5
	v_fma_f32 v5, -v48, v19, v5
	ds_read2_b32 v[18:19], v30 offset0:231 offset1:232
	s_waitcnt lgkmcnt(0)
	v_mul_f32_e32 v50, v5, v18
	ds_read_b128 v[5:8], v30 offset:48
	v_add_u32_e32 v18, s14, v17
	s_waitcnt lgkmcnt(0)
	v_fma_f32 v3, -v31, v5, v3
	v_fma_f32 v3, -v32, v12, v3
	ds_read_b128 v[11:14], v43 offset:48
	v_fma_f32 v3, -v33, v9, v3
	v_fma_f32 v3, -v35, v23, v3
	v_mov_b32_e32 v5, s13
	s_add_i32 s13, s4, s14
	s_waitcnt lgkmcnt(0)
	v_fma_f32 v3, -v36, v11, v3
	v_fma_f32 v3, -v38, v25, v3
	ds_read_b128 v[22:25], v5 offset:48
	v_fma_f32 v3, -v40, v15, v3
	v_fma_f32 v3, -v42, v27, v3
	;; [unrolled: 1-line block ×4, first 2 shown]
	s_waitcnt lgkmcnt(0)
	v_fma_f32 v3, -v44, v22, v3
	v_fma_f32 v3, -v46, v29, v3
	ds_read_b128 v[26:29], v30 offset:1008
	v_fma_f32 v3, -v48, v20, v3
	v_fma_f32 v3, -v50, v19, v3
	s_add_i32 s4, s4, s11
	v_fma_f32 v2, -v31, v8, v2
	s_waitcnt lgkmcnt(0)
	v_mul_f32_e32 v22, v3, v26
	ds_read2_b32 v[3:4], v34 offset0:13 offset1:14
	ds_write2_b32 v18, v50, v22 offset1:20
	s_waitcnt lgkmcnt(1)
	v_fma_f32 v3, -v32, v3, v5
	ds_read2_b32 v[5:6], v37 offset0:13 offset1:14
	v_fma_f32 v3, -v33, v10, v3
	ds_read2_b32 v[9:10], v41 offset0:13 offset1:14
	v_fma_f32 v1, -v32, v4, v1
	s_waitcnt lgkmcnt(1)
	v_fma_f32 v3, -v35, v5, v3
	v_fma_f32 v3, -v36, v12, v3
	ds_read2_b32 v[11:12], v45 offset0:13 offset1:14
	s_waitcnt lgkmcnt(1)
	v_fma_f32 v3, -v38, v9, v3
	v_fma_f32 v3, -v40, v16, v3
	ds_read2_b32 v[15:16], v49 offset0:13 offset1:14
	v_mov_b32_e32 v5, s5
	s_waitcnt lgkmcnt(1)
	v_fma_f32 v3, -v42, v11, v3
	v_fma_f32 v3, -v44, v23, v3
	s_add_i32 s5, s8, 14
	s_waitcnt lgkmcnt(0)
	v_fma_f32 v3, -v46, v15, v3
	v_mov_b32_e32 v15, s13
	ds_read2_b32 v[18:19], v15 offset0:13 offset1:14
	v_fma_f32 v3, -v48, v21, v3
	ds_read2_b32 v[20:21], v5 offset1:1
	s_add_i32 s8, s8, 16
	s_waitcnt lgkmcnt(1)
	v_fma_f32 v3, -v50, v18, v3
	v_fma_f32 v3, -v22, v27, v3
	s_waitcnt lgkmcnt(0)
	v_mul_f32_e32 v18, v3, v20
	v_add_u32_e32 v3, s11, v17
	ds_write_b32 v3, v18
	ds_read_b64 v[3:4], v39 offset:56
	s_mul_i32 s11, s5, 0x54
	s_mulk_i32 s5, 0x50
	s_waitcnt lgkmcnt(0)
	v_fma_f32 v1, -v33, v3, v1
	v_fma_f32 v1, -v35, v6, v1
	ds_read_b64 v[5:6], v47 offset:56
	v_fma_f32 v1, -v36, v13, v1
	v_mov_b32_e32 v3, s12
	v_fma_f32 v1, -v38, v10, v1
	ds_read_b64 v[9:10], v3 offset:56
	s_waitcnt lgkmcnt(1)
	v_fma_f32 v1, -v40, v5, v1
	v_fma_f32 v1, -v42, v12, v1
	;; [unrolled: 1-line block ×3, first 2 shown]
	v_mov_b32_e32 v3, s11
	v_fma_f32 v1, -v46, v16, v1
	ds_read_b64 v[11:12], v3
	s_waitcnt lgkmcnt(1)
	v_fma_f32 v1, -v48, v9, v1
	v_fma_f32 v1, -v50, v19, v1
	;; [unrolled: 1-line block ×4, first 2 shown]
	s_waitcnt lgkmcnt(0)
	v_mul_f32_e32 v1, v1, v11
	v_add_u32_e32 v3, s5, v17
	ds_write_b32 v3, v1
	ds_read_b32 v3, v34 offset:60
	s_waitcnt lgkmcnt(0)
	v_fma_f32 v2, -v32, v3, v2
	ds_read_b32 v3, v37 offset:60
	v_fma_f32 v2, -v33, v4, v2
	s_waitcnt lgkmcnt(0)
	v_fma_f32 v2, -v35, v3, v2
	ds_read_b32 v3, v41 offset:60
	v_fma_f32 v2, -v36, v14, v2
	;; [unrolled: 4-line block ×5, first 2 shown]
	s_waitcnt lgkmcnt(0)
	v_fma_f32 v2, -v50, v3, v2
	v_mov_b32_e32 v3, s4
	ds_read_b32 v3, v3 offset:60
	v_fma_f32 v2, -v22, v29, v2
	s_mul_i32 s4, s10, 0x54
	s_mulk_i32 s10, 0x50
	s_waitcnt lgkmcnt(0)
	v_fma_f32 v2, -v18, v3, v2
	v_fma_f32 v1, -v1, v12, v2
	v_mov_b32_e32 v2, s4
	ds_read_b32 v2, v2
	s_waitcnt lgkmcnt(0)
	v_mul_f32_e32 v1, v1, v2
	v_add_u32_e32 v2, s10, v17
	ds_write_b32 v2, v1
.LBB23_41:
	s_cmp_ge_i32 s8, s16
	s_cbranch_scc1 .LBB23_46
; %bb.42:
	v_mov_b32_e32 v1, 0x640
	s_lshl_b32 s4, s8, 2
	v_lshl_add_u32 v1, v0, 2, v1
	s_branch .LBB23_44
.LBB23_43:                              ;   in Loop: Header=BB23_44 Depth=1
	s_lshl_b32 s10, s8, 2
	s_add_i32 s5, s10, s5
	v_mov_b32_e32 v4, s5
	ds_read_b32 v4, v4
	s_add_i32 s8, s8, 1
	s_add_i32 s4, s4, 4
	s_cmp_ge_i32 s8, s16
	s_waitcnt lgkmcnt(0)
	v_mul_f32_e32 v3, v3, v4
	ds_write_b32 v2, v3
	s_cbranch_scc1 .LBB23_46
.LBB23_44:                              ; =>This Loop Header: Depth=1
                                        ;     Child Loop BB23_45 Depth 2
	s_mul_i32 s5, s8, 0x50
	v_add_u32_e32 v2, s5, v17
	ds_read_b32 v3, v2
	s_cmp_eq_u32 s8, 0
	v_mov_b32_e32 v4, v1
	s_mov_b32 s10, s4
	s_mov_b32 s11, s8
	s_cbranch_scc1 .LBB23_43
.LBB23_45:                              ;   Parent Loop BB23_44 Depth=1
                                        ; =>  This Inner Loop Header: Depth=2
	v_mov_b32_e32 v6, s10
	ds_read_b32 v5, v4
	ds_read_b32 v6, v6
	s_add_i32 s11, s11, -1
	s_addk_i32 s10, 0x50
	v_add_u32_e32 v4, 0x50, v4
	s_cmp_lg_u32 s11, 0
	s_waitcnt lgkmcnt(0)
	v_fma_f32 v3, -v5, v6, v3
	s_cbranch_scc1 .LBB23_45
	s_branch .LBB23_43
.LBB23_46:
	s_waitcnt lgkmcnt(0)
	; wave barrier
	s_and_saveexec_b64 s[4:5], s[0:1]
	s_cbranch_execz .LBB23_50
; %bb.47:
	s_andn2_b64 vcc, exec, s[2:3]
	s_cbranch_vccnz .LBB23_50
; %bb.48:
	v_mad_i64_i32 v[1:2], s[0:1], s9, v0, 0
	v_mov_b32_e32 v3, s7
	v_lshlrev_b64 v[1:2], 2, v[1:2]
	v_add_co_u32_e32 v1, vcc, s6, v1
	v_addc_co_u32_e32 v2, vcc, v3, v2, vcc
	v_mov_b32_e32 v3, 0x640
	v_lshl_add_u32 v0, v0, 2, v3
.LBB23_49:                              ; =>This Inner Loop Header: Depth=1
	ds_read_b32 v3, v0
	s_add_i32 s16, s16, -1
	v_add_u32_e32 v0, 0x50, v0
	s_cmp_lg_u32 s16, 0
	s_waitcnt lgkmcnt(0)
	global_store_dword v[1:2], v3, off
	v_add_co_u32_e32 v1, vcc, 4, v1
	v_addc_co_u32_e32 v2, vcc, 0, v2, vcc
	s_cbranch_scc1 .LBB23_49
.LBB23_50:
	s_endpgm
	.section	.rodata,"a",@progbits
	.p2align	6, 0x0
	.amdhsa_kernel _ZL38rocblas_trsm_small_left_device_sharedBILi20ELi20ELb1EffPKfPfEv13rocblas_fill_18rocblas_operation_17rocblas_diagonal_iiT3_T4_lilT5_lili
		.amdhsa_group_segment_fixed_size 3200
		.amdhsa_private_segment_fixed_size 0
		.amdhsa_kernarg_size 352
		.amdhsa_user_sgpr_count 6
		.amdhsa_user_sgpr_private_segment_buffer 1
		.amdhsa_user_sgpr_dispatch_ptr 0
		.amdhsa_user_sgpr_queue_ptr 0
		.amdhsa_user_sgpr_kernarg_segment_ptr 1
		.amdhsa_user_sgpr_dispatch_id 0
		.amdhsa_user_sgpr_flat_scratch_init 0
		.amdhsa_user_sgpr_private_segment_size 0
		.amdhsa_uses_dynamic_stack 0
		.amdhsa_system_sgpr_private_segment_wavefront_offset 0
		.amdhsa_system_sgpr_workgroup_id_x 1
		.amdhsa_system_sgpr_workgroup_id_y 0
		.amdhsa_system_sgpr_workgroup_id_z 1
		.amdhsa_system_sgpr_workgroup_info 0
		.amdhsa_system_vgpr_workitem_id 0
		.amdhsa_next_free_vgpr 58
		.amdhsa_next_free_sgpr 98
		.amdhsa_reserve_vcc 1
		.amdhsa_reserve_flat_scratch 0
		.amdhsa_float_round_mode_32 0
		.amdhsa_float_round_mode_16_64 0
		.amdhsa_float_denorm_mode_32 3
		.amdhsa_float_denorm_mode_16_64 3
		.amdhsa_dx10_clamp 1
		.amdhsa_ieee_mode 1
		.amdhsa_fp16_overflow 0
		.amdhsa_exception_fp_ieee_invalid_op 0
		.amdhsa_exception_fp_denorm_src 0
		.amdhsa_exception_fp_ieee_div_zero 0
		.amdhsa_exception_fp_ieee_overflow 0
		.amdhsa_exception_fp_ieee_underflow 0
		.amdhsa_exception_fp_ieee_inexact 0
		.amdhsa_exception_int_div_zero 0
	.end_amdhsa_kernel
	.section	.text._ZL38rocblas_trsm_small_left_device_sharedBILi20ELi20ELb1EffPKfPfEv13rocblas_fill_18rocblas_operation_17rocblas_diagonal_iiT3_T4_lilT5_lili,"axG",@progbits,_ZL38rocblas_trsm_small_left_device_sharedBILi20ELi20ELb1EffPKfPfEv13rocblas_fill_18rocblas_operation_17rocblas_diagonal_iiT3_T4_lilT5_lili,comdat
.Lfunc_end23:
	.size	_ZL38rocblas_trsm_small_left_device_sharedBILi20ELi20ELb1EffPKfPfEv13rocblas_fill_18rocblas_operation_17rocblas_diagonal_iiT3_T4_lilT5_lili, .Lfunc_end23-_ZL38rocblas_trsm_small_left_device_sharedBILi20ELi20ELb1EffPKfPfEv13rocblas_fill_18rocblas_operation_17rocblas_diagonal_iiT3_T4_lilT5_lili
                                        ; -- End function
	.set _ZL38rocblas_trsm_small_left_device_sharedBILi20ELi20ELb1EffPKfPfEv13rocblas_fill_18rocblas_operation_17rocblas_diagonal_iiT3_T4_lilT5_lili.num_vgpr, 58
	.set _ZL38rocblas_trsm_small_left_device_sharedBILi20ELi20ELb1EffPKfPfEv13rocblas_fill_18rocblas_operation_17rocblas_diagonal_iiT3_T4_lilT5_lili.num_agpr, 0
	.set _ZL38rocblas_trsm_small_left_device_sharedBILi20ELi20ELb1EffPKfPfEv13rocblas_fill_18rocblas_operation_17rocblas_diagonal_iiT3_T4_lilT5_lili.numbered_sgpr, 24
	.set _ZL38rocblas_trsm_small_left_device_sharedBILi20ELi20ELb1EffPKfPfEv13rocblas_fill_18rocblas_operation_17rocblas_diagonal_iiT3_T4_lilT5_lili.num_named_barrier, 0
	.set _ZL38rocblas_trsm_small_left_device_sharedBILi20ELi20ELb1EffPKfPfEv13rocblas_fill_18rocblas_operation_17rocblas_diagonal_iiT3_T4_lilT5_lili.private_seg_size, 0
	.set _ZL38rocblas_trsm_small_left_device_sharedBILi20ELi20ELb1EffPKfPfEv13rocblas_fill_18rocblas_operation_17rocblas_diagonal_iiT3_T4_lilT5_lili.uses_vcc, 1
	.set _ZL38rocblas_trsm_small_left_device_sharedBILi20ELi20ELb1EffPKfPfEv13rocblas_fill_18rocblas_operation_17rocblas_diagonal_iiT3_T4_lilT5_lili.uses_flat_scratch, 0
	.set _ZL38rocblas_trsm_small_left_device_sharedBILi20ELi20ELb1EffPKfPfEv13rocblas_fill_18rocblas_operation_17rocblas_diagonal_iiT3_T4_lilT5_lili.has_dyn_sized_stack, 0
	.set _ZL38rocblas_trsm_small_left_device_sharedBILi20ELi20ELb1EffPKfPfEv13rocblas_fill_18rocblas_operation_17rocblas_diagonal_iiT3_T4_lilT5_lili.has_recursion, 0
	.set _ZL38rocblas_trsm_small_left_device_sharedBILi20ELi20ELb1EffPKfPfEv13rocblas_fill_18rocblas_operation_17rocblas_diagonal_iiT3_T4_lilT5_lili.has_indirect_call, 0
	.section	.AMDGPU.csdata,"",@progbits
; Kernel info:
; codeLenInByte = 13068
; TotalNumSgprs: 28
; NumVgprs: 58
; ScratchSize: 0
; MemoryBound: 0
; FloatMode: 240
; IeeeMode: 1
; LDSByteSize: 3200 bytes/workgroup (compile time only)
; SGPRBlocks: 12
; VGPRBlocks: 14
; NumSGPRsForWavesPerEU: 102
; NumVGPRsForWavesPerEU: 58
; Occupancy: 4
; WaveLimiterHint : 0
; COMPUTE_PGM_RSRC2:SCRATCH_EN: 0
; COMPUTE_PGM_RSRC2:USER_SGPR: 6
; COMPUTE_PGM_RSRC2:TRAP_HANDLER: 0
; COMPUTE_PGM_RSRC2:TGID_X_EN: 1
; COMPUTE_PGM_RSRC2:TGID_Y_EN: 0
; COMPUTE_PGM_RSRC2:TGID_Z_EN: 1
; COMPUTE_PGM_RSRC2:TIDIG_COMP_CNT: 0
	.section	.text._ZL30rocblas_trsm_small_left_deviceILi20ELi20ELb1EffPKfPfEv13rocblas_fill_18rocblas_operation_17rocblas_diagonal_iiT3_T4_lilT5_lili,"axG",@progbits,_ZL30rocblas_trsm_small_left_deviceILi20ELi20ELb1EffPKfPfEv13rocblas_fill_18rocblas_operation_17rocblas_diagonal_iiT3_T4_lilT5_lili,comdat
	.globl	_ZL30rocblas_trsm_small_left_deviceILi20ELi20ELb1EffPKfPfEv13rocblas_fill_18rocblas_operation_17rocblas_diagonal_iiT3_T4_lilT5_lili ; -- Begin function _ZL30rocblas_trsm_small_left_deviceILi20ELi20ELb1EffPKfPfEv13rocblas_fill_18rocblas_operation_17rocblas_diagonal_iiT3_T4_lilT5_lili
	.p2align	8
	.type	_ZL30rocblas_trsm_small_left_deviceILi20ELi20ELb1EffPKfPfEv13rocblas_fill_18rocblas_operation_17rocblas_diagonal_iiT3_T4_lilT5_lili,@function
_ZL30rocblas_trsm_small_left_deviceILi20ELi20ELb1EffPKfPfEv13rocblas_fill_18rocblas_operation_17rocblas_diagonal_iiT3_T4_lilT5_lili: ; @_ZL30rocblas_trsm_small_left_deviceILi20ELi20ELb1EffPKfPfEv13rocblas_fill_18rocblas_operation_17rocblas_diagonal_iiT3_T4_lilT5_lili
; %bb.0:
	s_load_dwordx4 s[0:3], s[4:5], 0x4
	s_load_dword s16, s[4:5], 0x14
	s_load_dwordx4 s[8:11], s[4:5], 0x30
	s_load_dwordx2 s[12:13], s[4:5], 0x40
	s_waitcnt lgkmcnt(0)
	s_min_i32 s17, s2, 20
	v_cmp_gt_i32_e32 vcc, s17, v0
	s_and_saveexec_b64 s[14:15], vcc
	s_cbranch_execz .LBB24_6
; %bb.1:
	s_load_dword s18, s[4:5], 0x28
	s_load_dwordx4 s[20:23], s[4:5], 0x18
	s_mul_i32 s9, s9, s7
	s_mul_hi_u32 s19, s8, s7
	s_add_i32 s9, s19, s9
	s_mul_i32 s8, s8, s7
	s_waitcnt lgkmcnt(0)
	s_ashr_i32 s19, s18, 31
	s_lshl_b64 s[8:9], s[8:9], 2
	s_add_u32 s20, s20, s8
	s_addc_u32 s21, s21, s9
	s_lshl_b64 s[8:9], s[22:23], 2
	s_add_u32 s8, s20, s8
	s_addc_u32 s9, s21, s9
	v_lshlrev_b32_e32 v3, 2, v0
	v_mov_b32_e32 v2, s9
	v_add_co_u32_e32 v1, vcc, s8, v3
	s_lshl_b64 s[8:9], s[18:19], 2
	v_addc_co_u32_e32 v2, vcc, 0, v2, vcc
	v_mov_b32_e32 v4, s9
	v_mov_b32_e32 v5, v3
	s_mov_b32 s9, s17
.LBB24_2:                               ; =>This Inner Loop Header: Depth=1
	global_load_dword v6, v[1:2], off
	v_add_co_u32_e32 v1, vcc, s8, v1
	s_add_i32 s9, s9, -1
	v_addc_co_u32_e32 v2, vcc, v2, v4, vcc
	s_cmp_eq_u32 s9, 0
	s_waitcnt vmcnt(0)
	ds_write_b32 v5, v6
	v_add_u32_e32 v5, 0x50, v5
	s_cbranch_scc0 .LBB24_2
; %bb.3:
	v_mul_u32_u24_e32 v1, 0x50, v0
	s_cmpk_lg_i32 s1, 0x84
	v_mov_b32_e32 v2, 1.0
	v_add_u32_e32 v1, v3, v1
	s_cbranch_scc0 .LBB24_5
; %bb.4:
	ds_read_b32 v2, v1
	s_waitcnt lgkmcnt(0)
	v_div_scale_f32 v3, s[8:9], v2, v2, 1.0
	v_div_scale_f32 v4, vcc, 1.0, v2, 1.0
	v_rcp_f32_e32 v5, v3
	v_fma_f32 v6, -v3, v5, 1.0
	v_fmac_f32_e32 v5, v6, v5
	v_mul_f32_e32 v6, v4, v5
	v_fma_f32 v7, -v3, v6, v4
	v_fmac_f32_e32 v6, v7, v5
	v_fma_f32 v3, -v3, v6, v4
	v_div_fmas_f32 v3, v3, v5, v6
	v_div_fixup_f32 v2, v3, v2, 1.0
.LBB24_5:
	ds_write_b32 v1, v2
.LBB24_6:
	s_or_b64 exec, exec, s[14:15]
	s_load_dword s1, s[4:5], 0x60
	s_mul_i32 s8, s6, 0xffffffec
	s_add_i32 s3, s3, s8
	s_waitcnt lgkmcnt(0)
	; wave barrier
	s_add_i32 s1, s1, -1
	s_cmp_ge_u32 s6, s1
	s_cselect_b32 s1, s3, 20
	v_cmp_gt_i32_e32 vcc, s1, v0
	s_and_saveexec_b64 s[8:9], vcc
	s_cbranch_execz .LBB24_48
; %bb.7:
	s_load_dwordx2 s[8:9], s[4:5], 0x50
	s_load_dword s1, s[4:5], 0x48
	s_waitcnt lgkmcnt(0)
	s_mul_i32 s3, s9, s7
	s_mul_hi_u32 s5, s8, s7
	s_mul_i32 s4, s8, s7
	v_mad_u64_u32 v[0:1], s[6:7], s6, 20, v[0:1]
	s_add_i32 s5, s5, s3
	s_lshl_b64 s[4:5], s[4:5], 2
	s_add_u32 s3, s10, s4
	s_addc_u32 s6, s11, s5
	v_mad_i64_i32 v[0:1], s[4:5], s1, v0, 0
	s_lshl_b64 s[4:5], s[12:13], 2
	s_add_u32 s1, s3, s4
	v_lshlrev_b64 v[0:1], 2, v[0:1]
	s_addc_u32 s3, s6, s5
	v_mov_b32_e32 v2, s3
	v_add_co_u32_e32 v15, vcc, s1, v0
	v_addc_co_u32_e32 v16, vcc, v2, v1, vcc
	s_cmpk_eq_i32 s0, 0x6f
	s_mov_b64 s[0:1], -1
	s_cbranch_scc1 .LBB24_34
; %bb.8:
	s_add_i32 s3, s17, -1
	s_cmp_gt_i32 s2, 19
	s_mov_b32 s0, -1
	s_cbranch_scc0 .LBB24_10
; %bb.9:
	global_load_dwordx4 v[1:4], v[15:16], off offset:64
	global_load_dwordx4 v[5:8], v[15:16], off offset:48
	;; [unrolled: 1-line block ×3, first 2 shown]
	v_mov_b32_e32 v0, 0
	s_movk_i32 s1, 0x400
	v_mov_b32_e32 v13, 0x594
	v_mov_b32_e32 v17, 0x4f4
	s_movk_i32 s4, 0x200
	ds_read_b32 v21, v0 offset:1596
	ds_read2_b32 v[13:14], v13 offset1:1
	ds_read2_b32 v[32:33], v17 offset1:1
	ds_read_b64 v[28:29], v0 offset:1512
	v_add_u32_e64 v22, s1, 0
	ds_read_b128 v[17:20], v0 offset:1344
	ds_read_b64 v[34:35], v0 offset:1192
	v_add_u32_e64 v23, s4, 0
	ds_read2_b32 v[30:31], v22 offset0:63 offset1:103
	ds_read2_b32 v[36:37], v23 offset0:111 offset1:151
	v_mov_b32_e32 v43, 0x454
	v_mov_b32_e32 v42, 0x4ec
	;; [unrolled: 1-line block ×4, first 2 shown]
	s_waitcnt vmcnt(2)
	v_mul_f32_e32 v4, s16, v4
	s_waitcnt lgkmcnt(7)
	v_mul_f32_e32 v4, v4, v21
	s_waitcnt lgkmcnt(4)
	;; [unrolled: 2-line block ×3, first 2 shown]
	v_mul_f32_e32 v22, v4, v31
	v_mul_f32_e32 v20, v4, v20
	v_fma_f32 v3, s16, v3, -v21
	v_fma_f32 v2, s16, v2, -v22
	;; [unrolled: 1-line block ×3, first 2 shown]
	ds_read_b128 v[20:23], v0 offset:1024
	ds_read2_b64 v[24:27], v0 offset0:147 offset1:148
	v_mul_f32_e32 v29, v4, v30
	v_mul_f32_e32 v30, v4, v35
	s_waitcnt lgkmcnt(2)
	v_mul_f32_e32 v31, v4, v37
	s_waitcnt lgkmcnt(1)
	v_mul_f32_e32 v23, v4, v23
	s_waitcnt vmcnt(1)
	v_fma_f32 v35, s16, v8, -v29
	v_fma_f32 v39, s16, v7, -v30
	;; [unrolled: 1-line block ×4, first 2 shown]
	v_mul_f32_e32 v3, v3, v28
	ds_read_b64 v[37:38], v0 offset:872
	global_load_dwordx4 v[5:8], v[15:16], off
	global_load_dwordx4 v[28:31], v[15:16], off offset:16
	v_fma_f32 v2, -v3, v14, v2
	v_mul_f32_e32 v2, v2, v13
	v_fma_f32 v46, -v3, v34, v39
	s_waitcnt lgkmcnt(0)
	v_mul_f32_e32 v13, v4, v38
	ds_read2_b32 v[39:40], v0 offset0:231 offset1:232
	s_waitcnt vmcnt(2)
	v_fma_f32 v11, s16, v11, -v13
	ds_read2_b32 v[13:14], v43 offset1:1
	v_fma_f32 v1, -v3, v19, v1
	v_fma_f32 v1, -v2, v18, v1
	v_mul_f32_e32 v1, v1, v17
	v_fma_f32 v17, -v3, v33, v35
	s_waitcnt lgkmcnt(0)
	v_fma_f32 v14, -v3, v14, v41
	v_fma_f32 v11, -v3, v37, v11
	;; [unrolled: 1-line block ×3, first 2 shown]
	ds_read2_b32 v[32:33], v42 offset1:1
	ds_read2_b32 v[34:35], v44 offset1:1
	;; [unrolled: 1-line block ×3, first 2 shown]
	v_fma_f32 v41, -v2, v13, v14
	ds_read2_b32 v[13:14], v0 offset0:237 offset1:238
	v_fma_f32 v17, -v3, v22, v23
	v_fma_f32 v17, -v2, v21, v17
	v_mul_f32_e32 v21, v4, v36
	v_fma_f32 v12, s16, v12, -v21
	s_waitcnt lgkmcnt(0)
	v_fma_f32 v12, -v3, v14, v12
	v_fma_f32 v36, -v2, v13, v12
	;; [unrolled: 1-line block ×4, first 2 shown]
	v_mul_f32_e32 v14, v12, v32
	v_fma_f32 v44, -v1, v20, v17
	ds_read_b128 v[17:20], v0 offset:1008
	v_fma_f32 v12, -v14, v34, v13
	ds_read2_b64 v[32:35], v0 offset0:107 offset1:108
	v_fma_f32 v13, -v2, v27, v46
	v_fma_f32 v13, -v1, v26, v13
	;; [unrolled: 1-line block ×3, first 2 shown]
	ds_read2_b32 v[25:26], v0 offset0:235 offset1:236
	ds_read2_b32 v[41:42], v0 offset0:233 offset1:234
	v_mul_f32_e32 v13, v13, v24
	s_waitcnt lgkmcnt(2)
	v_fma_f32 v11, -v2, v35, v11
	v_fma_f32 v12, -v13, v38, v12
	s_waitcnt lgkmcnt(1)
	v_fma_f32 v26, -v1, v26, v36
	v_fma_f32 v27, -v1, v34, v11
	v_fma_f32 v11, -v14, v20, v44
	v_mul_f32_e32 v12, v12, v37
	v_fma_f32 v20, -v14, v25, v26
	v_fma_f32 v11, -v13, v19, v11
	ds_read2_b64 v[21:24], v0 offset0:105 offset1:106
	s_waitcnt lgkmcnt(1)
	v_fma_f32 v19, -v13, v42, v20
	v_fma_f32 v11, -v12, v18, v11
	v_fma_f32 v18, -v12, v41, v19
	v_mul_f32_e32 v11, v11, v17
	v_fma_f32 v17, -v11, v40, v18
	v_mul_f32_e32 v20, v17, v39
	v_fma_f32 v17, -v14, v33, v27
	v_fma_f32 v17, -v13, v32, v17
	s_waitcnt lgkmcnt(0)
	v_fma_f32 v17, -v12, v24, v17
	ds_read2_b32 v[25:26], v0 offset0:159 offset1:199
	v_fma_f32 v17, -v11, v23, v17
	v_fma_f32 v19, -v20, v22, v17
	ds_read2_b32 v[17:18], v0 offset0:197 offset1:198
	v_mul_f32_e32 v19, v19, v21
	ds_read2_b32 v[21:22], v0 offset0:195 offset1:196
	s_waitcnt lgkmcnt(2)
	v_mul_f32_e32 v23, v4, v26
	v_fma_f32 v10, s16, v10, -v23
	ds_read2_b32 v[23:24], v0 offset0:193 offset1:194
	s_waitcnt lgkmcnt(2)
	v_fma_f32 v10, -v3, v18, v10
	v_fma_f32 v10, -v2, v17, v10
	s_waitcnt lgkmcnt(1)
	v_fma_f32 v10, -v1, v22, v10
	ds_read2_b32 v[17:18], v0 offset0:191 offset1:192
	v_fma_f32 v10, -v14, v21, v10
	s_waitcnt lgkmcnt(1)
	v_fma_f32 v10, -v13, v24, v10
	ds_read2_b32 v[26:27], v0 offset0:189 offset1:190
	v_fma_f32 v10, -v12, v23, v10
	ds_read_b128 v[21:24], v0 offset:704
	s_waitcnt lgkmcnt(2)
	v_fma_f32 v10, -v11, v18, v10
	v_fma_f32 v10, -v20, v17, v10
	global_store_dwordx4 v[15:16], v[1:4], off offset:64
	global_store_dwordx4 v[15:16], v[11:14], off offset:48
	s_waitcnt lgkmcnt(1)
	v_fma_f32 v10, -v19, v27, v10
	v_mul_f32_e32 v18, v10, v26
	ds_read_b128 v[32:35], v0 offset:672
	ds_read_b128 v[36:39], v0 offset:688
	s_waitcnt lgkmcnt(2)
	v_mul_f32_e32 v10, v4, v24
	v_fma_f32 v9, s16, v9, -v10
	v_fma_f32 v9, -v3, v23, v9
	v_fma_f32 v9, -v2, v22, v9
	;; [unrolled: 1-line block ×3, first 2 shown]
	s_waitcnt lgkmcnt(0)
	v_fma_f32 v9, -v14, v39, v9
	v_fma_f32 v9, -v13, v38, v9
	;; [unrolled: 1-line block ×7, first 2 shown]
	v_mul_f32_e32 v17, v9, v32
	ds_read2_b32 v[9:10], v0 offset0:157 offset1:158
	ds_read2_b32 v[21:22], v0 offset0:155 offset1:156
	v_mul_f32_e32 v23, v4, v25
	s_waitcnt vmcnt(2)
	v_fma_f32 v23, s16, v31, -v23
	ds_read2_b32 v[25:26], v0 offset0:147 offset1:148
	s_waitcnt lgkmcnt(2)
	v_fma_f32 v10, -v3, v10, v23
	ds_read2_b32 v[23:24], v0 offset0:153 offset1:154
	v_fma_f32 v9, -v2, v9, v10
	s_waitcnt lgkmcnt(2)
	v_fma_f32 v22, -v1, v22, v9
	ds_read2_b32 v[9:10], v0 offset0:151 offset1:152
	v_fma_f32 v21, -v14, v21, v22
	;; [unrolled: 4-line block ×3, first 2 shown]
	s_waitcnt lgkmcnt(1)
	v_fma_f32 v10, -v11, v10, v23
	v_fma_f32 v9, -v20, v9, v10
	global_store_dwordx4 v[15:16], v[17:20], off offset:32
	s_waitcnt lgkmcnt(0)
	v_fma_f32 v22, -v19, v22, v9
	ds_read_b64 v[9:10], v0 offset:552
	v_fma_f32 v21, -v18, v21, v22
	v_fma_f32 v26, -v17, v26, v21
	ds_read2_b64 v[21:24], v0 offset0:67 offset1:68
	v_mul_f32_e32 v25, v26, v25
	s_waitcnt lgkmcnt(1)
	v_mul_f32_e32 v10, v4, v10
	v_fma_f32 v10, s16, v30, -v10
	v_fma_f32 v9, -v3, v9, v10
	ds_read2_b64 v[30:33], v0 offset0:65 offset1:66
	s_waitcnt lgkmcnt(1)
	v_fma_f32 v9, -v2, v24, v9
	v_fma_f32 v9, -v1, v23, v9
	;; [unrolled: 1-line block ×4, first 2 shown]
	ds_read2_b64 v[21:24], v0 offset0:63 offset1:64
	s_waitcnt lgkmcnt(1)
	v_fma_f32 v9, -v12, v33, v9
	v_fma_f32 v9, -v11, v32, v9
	;; [unrolled: 1-line block ×4, first 2 shown]
	s_waitcnt lgkmcnt(0)
	v_fma_f32 v24, -v18, v24, v9
	ds_read2_b32 v[9:10], v0 offset0:79 offset1:119
	v_fma_f32 v23, -v17, v23, v24
	v_fma_f32 v24, -v25, v22, v23
	ds_read2_b32 v[22:23], v0 offset0:117 offset1:118
	ds_read2_b32 v[26:27], v0 offset0:115 offset1:116
	s_waitcnt lgkmcnt(2)
	v_mul_f32_e32 v10, v4, v10
	v_fma_f32 v10, s16, v29, -v10
	ds_read2_b32 v[29:30], v0 offset0:113 offset1:114
	s_waitcnt lgkmcnt(2)
	v_fma_f32 v10, -v3, v23, v10
	v_mul_f32_e32 v24, v24, v21
	v_fma_f32 v10, -v2, v22, v10
	ds_read2_b32 v[21:22], v0 offset0:111 offset1:112
	s_waitcnt lgkmcnt(2)
	v_fma_f32 v10, -v1, v27, v10
	v_fma_f32 v10, -v14, v26, v10
	s_waitcnt lgkmcnt(1)
	v_fma_f32 v10, -v13, v30, v10
	ds_read2_b32 v[26:27], v0 offset0:109 offset1:110
	v_fma_f32 v10, -v12, v29, v10
	s_waitcnt lgkmcnt(1)
	v_fma_f32 v10, -v11, v22, v10
	v_fma_f32 v10, -v20, v21, v10
	ds_read2_b32 v[21:22], v0 offset0:107 offset1:108
	s_waitcnt lgkmcnt(1)
	v_fma_f32 v10, -v19, v27, v10
	v_fma_f32 v10, -v18, v26, v10
	ds_read2_b32 v[26:27], v0 offset0:105 offset1:106
	ds_read_b128 v[29:32], v0 offset:368
	ds_read_b128 v[33:36], v0 offset:384
	s_waitcnt lgkmcnt(3)
	v_fma_f32 v10, -v17, v22, v10
	v_fma_f32 v10, -v25, v21, v10
	s_waitcnt lgkmcnt(2)
	v_fma_f32 v10, -v24, v27, v10
	v_mul_f32_e32 v23, v10, v26
	s_waitcnt lgkmcnt(0)
	v_mul_f32_e32 v10, v4, v36
	v_fma_f32 v10, s16, v28, -v10
	v_fma_f32 v10, -v3, v35, v10
	v_fma_f32 v10, -v2, v34, v10
	ds_read_b128 v[36:39], v0 offset:336
	ds_read_b128 v[40:43], v0 offset:352
	v_fma_f32 v10, -v1, v33, v10
	v_fma_f32 v10, -v14, v32, v10
	;; [unrolled: 1-line block ×5, first 2 shown]
	s_waitcnt lgkmcnt(0)
	v_fma_f32 v10, -v20, v43, v10
	v_fma_f32 v10, -v19, v42, v10
	;; [unrolled: 1-line block ×5, first 2 shown]
	ds_read2_b32 v[26:27], v0 offset0:77 offset1:78
	ds_read2_b32 v[29:30], v0 offset0:71 offset1:72
	v_fma_f32 v10, -v24, v38, v10
	v_fma_f32 v10, -v23, v37, v10
	v_mul_f32_e32 v22, v10, v36
	v_mul_f32_e32 v21, v4, v9
	ds_read2_b32 v[9:10], v0 offset0:75 offset1:76
	v_fma_f32 v8, s16, v8, -v21
	s_waitcnt lgkmcnt(2)
	v_fma_f32 v8, -v3, v27, v8
	ds_read2_b32 v[27:28], v0 offset0:73 offset1:74
	v_fma_f32 v8, -v2, v26, v8
	s_waitcnt lgkmcnt(1)
	v_fma_f32 v8, -v1, v10, v8
	v_fma_f32 v8, -v14, v9, v8
	ds_read_b64 v[32:33], v0 offset:232
	s_waitcnt lgkmcnt(1)
	v_fma_f32 v10, -v13, v28, v8
	ds_read2_b32 v[8:9], v0 offset0:69 offset1:70
	v_fma_f32 v10, -v12, v27, v10
	v_fma_f32 v10, -v11, v30, v10
	ds_read2_b32 v[26:27], v0 offset0:67 offset1:68
	ds_read2_b32 v[30:31], v0 offset0:63 offset1:64
	v_fma_f32 v10, -v20, v29, v10
	s_waitcnt lgkmcnt(2)
	v_fma_f32 v21, -v19, v9, v10
	ds_read2_b32 v[9:10], v0 offset0:65 offset1:66
	v_fma_f32 v8, -v18, v8, v21
	s_waitcnt lgkmcnt(2)
	v_fma_f32 v8, -v17, v27, v8
	v_fma_f32 v8, -v25, v26, v8
	ds_read2_b64 v[26:29], v0 offset0:27 offset1:28
	s_waitcnt lgkmcnt(1)
	v_fma_f32 v8, -v24, v10, v8
	v_fma_f32 v8, -v23, v9, v8
	v_mul_f32_e32 v9, v4, v33
	v_fma_f32 v7, s16, v7, -v9
	v_fma_f32 v8, -v22, v31, v8
	v_fma_f32 v7, -v3, v32, v7
	v_mul_f32_e32 v8, v8, v30
	s_waitcnt lgkmcnt(0)
	v_fma_f32 v7, -v2, v29, v7
	ds_read2_b64 v[29:32], v0 offset0:25 offset1:26
	ds_read2_b64 v[33:36], v0 offset0:23 offset1:24
	v_fma_f32 v7, -v1, v28, v7
	v_fma_f32 v7, -v14, v27, v7
	v_fma_f32 v7, -v13, v26, v7
	s_waitcnt lgkmcnt(1)
	v_fma_f32 v7, -v12, v32, v7
	v_fma_f32 v7, -v11, v31, v7
	;; [unrolled: 1-line block ×4, first 2 shown]
	ds_read2_b64 v[26:29], v0 offset0:21 offset1:22
	ds_read_b32 v21, v0 offset:156
	s_waitcnt lgkmcnt(2)
	v_fma_f32 v7, -v18, v36, v7
	v_fma_f32 v7, -v17, v35, v7
	;; [unrolled: 1-line block ×4, first 2 shown]
	s_waitcnt lgkmcnt(1)
	v_fma_f32 v7, -v23, v29, v7
	v_fma_f32 v7, -v22, v28, v7
	ds_read2_b32 v[9:10], v0 offset0:37 offset1:38
	ds_read2_b32 v[28:29], v0 offset0:33 offset1:34
	v_fma_f32 v7, -v8, v27, v7
	v_mul_f32_e32 v7, v7, v26
	ds_read2_b32 v[26:27], v0 offset0:35 offset1:36
	s_waitcnt lgkmcnt(3)
	v_mul_f32_e32 v21, v4, v21
	v_fma_f32 v6, s16, v6, -v21
	s_waitcnt lgkmcnt(2)
	v_fma_f32 v6, -v3, v10, v6
	v_fma_f32 v6, -v2, v9, v6
	ds_read2_b32 v[9:10], v0 offset0:31 offset1:32
	s_waitcnt lgkmcnt(1)
	v_fma_f32 v6, -v1, v27, v6
	v_fma_f32 v6, -v14, v26, v6
	ds_read2_b32 v[26:27], v0 offset0:29 offset1:30
	ds_read2_b32 v[30:31], v0 offset0:23 offset1:24
	v_fma_f32 v6, -v13, v29, v6
	v_fma_f32 v6, -v12, v28, v6
	ds_read2_b32 v[28:29], v0 offset0:27 offset1:28
	s_waitcnt lgkmcnt(3)
	v_fma_f32 v6, -v11, v10, v6
	v_fma_f32 v6, -v20, v9, v6
	s_waitcnt lgkmcnt(2)
	v_fma_f32 v6, -v19, v27, v6
	ds_read2_b32 v[9:10], v0 offset0:25 offset1:26
	v_fma_f32 v6, -v18, v26, v6
	s_waitcnt lgkmcnt(1)
	v_fma_f32 v6, -v17, v29, v6
	v_fma_f32 v6, -v25, v28, v6
	ds_read2_b32 v[32:33], v0 offset0:21 offset1:22
	ds_read_b128 v[26:29], v0 offset:64
	s_waitcnt lgkmcnt(2)
	v_fma_f32 v6, -v24, v10, v6
	v_fma_f32 v6, -v23, v9, v6
	v_fma_f32 v6, -v22, v31, v6
	v_fma_f32 v6, -v8, v30, v6
	s_waitcnt lgkmcnt(0)
	v_mul_f32_e32 v4, v4, v29
	global_store_dwordx4 v[15:16], v[22:25], off offset:16
	v_fma_f32 v6, -v7, v33, v6
	v_fma_f32 v4, s16, v5, -v4
	v_mul_f32_e32 v6, v6, v32
	v_fma_f32 v3, -v3, v28, v4
	ds_read_b128 v[28:31], v0 offset:32
	ds_read_b128 v[32:35], v0 offset:48
	v_fma_f32 v2, -v2, v27, v3
	v_fma_f32 v5, -v1, v26, v2
	ds_read_b128 v[1:4], v0
	ds_read_b128 v[36:39], v0 offset:16
	s_waitcnt lgkmcnt(2)
	v_fma_f32 v0, -v14, v35, v5
	v_fma_f32 v0, -v13, v34, v0
	;; [unrolled: 1-line block ×8, first 2 shown]
	s_waitcnt lgkmcnt(0)
	v_fma_f32 v0, -v25, v39, v0
	v_fma_f32 v0, -v24, v38, v0
	;; [unrolled: 1-line block ×7, first 2 shown]
	v_mul_f32_e32 v5, v0, v1
	global_store_dwordx4 v[15:16], v[5:8], off
	s_cmp_gt_i32 s0, -1
	s_cbranch_scc1 .LBB24_11
	s_branch .LBB24_33
.LBB24_10:
	s_mov_b32 s0, s3
	s_cmp_gt_i32 s0, -1
	s_cbranch_scc0 .LBB24_33
.LBB24_11:
	s_cmp_lt_u32 s0, 15
	s_cbranch_scc1 .LBB24_16
; %bb.12:
	s_mov_b32 s5, 0
	s_mov_b32 s1, s5
	s_lshl_b64 s[6:7], s[0:1], 2
	v_mov_b32_e32 v1, s7
	v_add_co_u32_e32 v0, vcc, s6, v15
	v_addc_co_u32_e32 v1, vcc, v16, v1, vcc
	global_load_dwordx4 v[2:5], v[0:1], off offset:-12
	global_load_dwordx4 v[11:14], v[0:1], off offset:-28
	;; [unrolled: 1-line block ×4, first 2 shown]
	s_cmp_le_i32 s3, s0
	s_waitcnt vmcnt(3)
	v_mul_f32_e32 v5, s16, v5
	v_mul_f32_e32 v19, s16, v4
	v_mul_f32_e32 v18, s16, v3
	v_mul_f32_e32 v6, s16, v2
	s_waitcnt vmcnt(2)
	v_mul_f32_e32 v9, s16, v14
	v_mul_f32_e32 v10, s16, v13
	v_mul_f32_e32 v17, s16, v12
	v_mul_f32_e32 v14, s16, v11
	;; [unrolled: 5-line block ×4, first 2 shown]
	s_cbranch_scc1 .LBB24_15
; %bb.13:
	s_mul_i32 s1, s0, 0x50
	s_lshl_b32 s4, s17, 2
	s_add_i32 s1, s1, s4
	s_addk_i32 s1, 0xfb4c
	s_mov_b32 s4, s3
.LBB24_14:                              ; =>This Inner Loop Header: Depth=1
	s_lshl_b64 s[6:7], s[4:5], 2
	v_mov_b32_e32 v21, s7
	v_add_co_u32_e32 v20, vcc, s6, v15
	v_addc_co_u32_e32 v21, vcc, v16, v21, vcc
	global_load_dword v36, v[20:21], off
	v_mov_b32_e32 v30, s1
	v_add_u32_e32 v32, 0x400, v30
	v_add_u32_e32 v34, 0x200, v30
	ds_read2_b32 v[20:21], v30 offset0:200 offset1:220
	ds_read2_b32 v[22:23], v30 offset0:160 offset1:180
	;; [unrolled: 1-line block ×5, first 2 shown]
	ds_read2_b32 v[30:31], v30 offset1:20
	ds_read2_b32 v[32:33], v32 offset0:24 offset1:44
	ds_read2_b32 v[34:35], v34 offset0:112 offset1:132
	s_add_i32 s4, s4, -1
	s_add_i32 s1, s1, -4
	s_cmp_gt_i32 s4, s0
	s_waitcnt vmcnt(0) lgkmcnt(1)
	v_fma_f32 v5, -v36, v33, v5
	v_fma_f32 v19, -v36, v32, v19
	s_waitcnt lgkmcnt(0)
	v_fma_f32 v18, -v36, v35, v18
	v_fma_f32 v6, -v36, v34, v6
	;; [unrolled: 1-line block ×14, first 2 shown]
	s_cbranch_scc1 .LBB24_14
.LBB24_15:
	s_mul_i32 s1, s0, 0x54
	s_add_i32 s4, s0, -1
	v_mov_b32_e32 v20, s1
	s_mul_i32 s1, s4, 0x50
	s_lshl_b32 s5, s4, 2
	s_add_i32 s5, s1, s5
	ds_read_b32 v24, v20
	v_mov_b32_e32 v20, s5
	s_mov_b32 s5, 0
	s_add_i32 s7, s1, 0xffffffb0
	s_lshl_b32 s6, s0, 2
	s_lshl_b64 s[8:9], s[4:5], 2
	s_add_i32 s4, s0, -2
	s_add_i32 s10, s7, s6
	v_mov_b32_e32 v22, s10
	s_lshl_b32 s10, s4, 2
	s_add_i32 s7, s7, s10
	v_mov_b32_e32 v23, s7
	ds_read2_b32 v[20:21], v20 offset1:1
	ds_read_b32 v25, v22
	ds_read2_b32 v[22:23], v23 offset1:1
	s_waitcnt lgkmcnt(3)
	v_mul_f32_e32 v5, v5, v24
	global_store_dword v[0:1], v5, off
	s_waitcnt lgkmcnt(2)
	v_fma_f32 v0, -v5, v21, v19
	v_mov_b32_e32 v1, s9
	v_add_co_u32_e32 v19, vcc, s8, v15
	v_mul_f32_e32 v0, v0, v20
	v_addc_co_u32_e32 v20, vcc, v16, v1, vcc
	s_waitcnt lgkmcnt(1)
	v_fma_f32 v1, -v5, v25, v18
	s_lshl_b64 s[8:9], s[4:5], 2
	s_add_i32 s7, s1, 0xffffff60
	global_store_dword v[19:20], v0, off
	s_waitcnt lgkmcnt(0)
	v_fma_f32 v1, -v0, v23, v1
	v_mov_b32_e32 v19, s9
	v_add_co_u32_e32 v18, vcc, s8, v15
	s_add_i32 s8, s7, s6
	v_mul_f32_e32 v1, v1, v22
	v_addc_co_u32_e32 v19, vcc, v16, v19, vcc
	s_add_i32 s4, s0, -3
	s_add_i32 s8, s8, -4
	global_store_dword v[18:19], v1, off
	v_mov_b32_e32 v18, s8
	s_lshl_b32 s8, s4, 2
	s_add_i32 s7, s7, s8
	ds_read2_b32 v[18:19], v18 offset1:1
	v_mov_b32_e32 v20, s7
	s_add_i32 s7, s1, 0xffffff10
	s_add_i32 s8, s7, s6
	v_mov_b32_e32 v22, s8
	s_add_i32 s8, s8, -8
	v_mov_b32_e32 v23, s8
	ds_read2_b32 v[20:21], v20 offset1:1
	ds_read_b32 v24, v22
	ds_read2_b32 v[22:23], v23 offset1:1
	s_waitcnt lgkmcnt(3)
	v_fma_f32 v6, -v5, v19, v6
	v_fma_f32 v6, -v0, v18, v6
	s_lshl_b64 s[8:9], s[4:5], 2
	s_add_i32 s4, s0, -4
	s_waitcnt lgkmcnt(2)
	v_fma_f32 v6, -v1, v21, v6
	v_mov_b32_e32 v19, s9
	v_add_co_u32_e32 v18, vcc, s8, v15
	s_lshl_b32 s8, s4, 2
	v_mul_f32_e32 v6, v6, v20
	v_addc_co_u32_e32 v19, vcc, v16, v19, vcc
	s_add_i32 s7, s7, s8
	global_store_dword v[18:19], v6, off
	v_mov_b32_e32 v18, s7
	s_add_i32 s7, s1, 0xfffffec0
	s_waitcnt lgkmcnt(1)
	v_fma_f32 v9, -v5, v24, v9
	s_add_i32 s10, s7, s6
	s_waitcnt lgkmcnt(0)
	v_fma_f32 v9, -v0, v23, v9
	s_lshl_b64 s[8:9], s[4:5], 2
	s_add_i32 s4, s0, -5
	s_add_i32 s11, s10, -4
	;; [unrolled: 1-line block ×3, first 2 shown]
	v_fma_f32 v9, -v1, v22, v9
	v_mov_b32_e32 v22, s10
	s_lshl_b32 s10, s4, 2
	s_add_i32 s7, s7, s10
	ds_read2_b32 v[18:19], v18 offset1:1
	v_mov_b32_e32 v20, s11
	v_mov_b32_e32 v24, s7
	ds_read2_b32 v[20:21], v20 offset1:1
	ds_read2_b32 v[22:23], v22 offset1:1
	;; [unrolled: 1-line block ×3, first 2 shown]
	s_add_i32 s7, s1, 0xfffffe70
	s_waitcnt lgkmcnt(3)
	v_fma_f32 v9, -v6, v19, v9
	s_waitcnt lgkmcnt(2)
	v_fma_f32 v10, -v5, v21, v10
	v_fma_f32 v10, -v0, v20, v10
	v_mul_f32_e32 v9, v9, v18
	v_mov_b32_e32 v19, s9
	v_add_co_u32_e32 v18, vcc, s8, v15
	s_waitcnt lgkmcnt(1)
	v_fma_f32 v10, -v1, v23, v10
	v_addc_co_u32_e32 v19, vcc, v16, v19, vcc
	v_fma_f32 v10, -v6, v22, v10
	s_lshl_b64 s[8:9], s[4:5], 2
	global_store_dword v[18:19], v9, off
	s_waitcnt lgkmcnt(0)
	v_fma_f32 v10, -v9, v25, v10
	v_mov_b32_e32 v19, s9
	v_add_co_u32_e32 v18, vcc, s8, v15
	s_add_i32 s8, s7, s6
	v_mul_f32_e32 v10, v10, v24
	v_addc_co_u32_e32 v19, vcc, v16, v19, vcc
	s_add_i32 s9, s8, -8
	global_store_dword v[18:19], v10, off
	s_add_i32 s4, s0, -6
	v_mov_b32_e32 v18, s8
	v_mov_b32_e32 v19, s9
	s_add_i32 s8, s8, -16
	ds_read_b32 v24, v18
	ds_read2_b32 v[18:19], v19 offset1:1
	v_mov_b32_e32 v20, s8
	s_lshl_b32 s8, s4, 2
	s_add_i32 s7, s7, s8
	v_mov_b32_e32 v22, s7
	ds_read2_b32 v[20:21], v20 offset1:1
	ds_read2_b32 v[22:23], v22 offset1:1
	s_waitcnt lgkmcnt(3)
	v_fma_f32 v17, -v5, v24, v17
	s_waitcnt lgkmcnt(2)
	v_fma_f32 v17, -v0, v19, v17
	v_fma_f32 v17, -v1, v18, v17
	s_waitcnt lgkmcnt(1)
	v_fma_f32 v17, -v6, v21, v17
	;; [unrolled: 3-line block ×3, first 2 shown]
	s_lshl_b64 s[8:9], s[4:5], 2
	s_add_i32 s7, s1, 0xfffffe20
	v_mul_f32_e32 v25, v17, v22
	v_mov_b32_e32 v18, s9
	v_add_co_u32_e32 v17, vcc, s8, v15
	s_add_i32 s8, s7, s6
	v_addc_co_u32_e32 v18, vcc, v16, v18, vcc
	s_add_i32 s9, s8, -4
	global_store_dword v[17:18], v25, off
	v_mov_b32_e32 v17, s9
	s_add_i32 s4, s0, -7
	ds_read2_b32 v[17:18], v17 offset1:1
	s_add_i32 s9, s8, -12
	s_sub_i32 s8, s8, 20
	v_mov_b32_e32 v21, s8
	s_lshl_b32 s8, s4, 2
	s_add_i32 s7, s7, s8
	v_mov_b32_e32 v19, s9
	v_mov_b32_e32 v23, s7
	ds_read2_b32 v[19:20], v19 offset1:1
	ds_read2_b32 v[21:22], v21 offset1:1
	;; [unrolled: 1-line block ×3, first 2 shown]
	s_waitcnt lgkmcnt(3)
	v_fma_f32 v14, -v5, v18, v14
	v_fma_f32 v14, -v0, v17, v14
	s_waitcnt lgkmcnt(2)
	v_fma_f32 v14, -v1, v20, v14
	v_fma_f32 v14, -v6, v19, v14
	;; [unrolled: 3-line block ×3, first 2 shown]
	s_waitcnt lgkmcnt(0)
	v_fma_f32 v14, -v25, v24, v14
	s_lshl_b64 s[8:9], s[4:5], 2
	s_add_i32 s7, s1, 0xfffffdd0
	v_mul_f32_e32 v23, v14, v23
	v_mov_b32_e32 v14, s9
	v_add_co_u32_e32 v17, vcc, s8, v15
	s_add_i32 s8, s7, s6
	v_addc_co_u32_e32 v18, vcc, v16, v14, vcc
	s_add_i32 s9, s8, -8
	global_store_dword v[17:18], v23, off
	v_mov_b32_e32 v14, s8
	v_mov_b32_e32 v17, s9
	ds_read_b32 v14, v14
	ds_read2_b32 v[17:18], v17 offset1:1
	s_add_i32 s9, s8, -16
	s_sub_i32 s8, s8, 24
	s_add_i32 s4, s0, -8
	v_mov_b32_e32 v19, s9
	v_mov_b32_e32 v21, s8
	ds_read2_b32 v[19:20], v19 offset1:1
	ds_read2_b32 v[21:22], v21 offset1:1
	s_waitcnt lgkmcnt(3)
	v_fma_f32 v13, -v5, v14, v13
	s_lshl_b32 s8, s4, 2
	s_waitcnt lgkmcnt(2)
	v_fma_f32 v13, -v0, v18, v13
	s_add_i32 s7, s7, s8
	v_fma_f32 v17, -v1, v17, v13
	v_mov_b32_e32 v13, s7
	ds_read2_b32 v[13:14], v13 offset1:1
	s_waitcnt lgkmcnt(2)
	v_fma_f32 v17, -v6, v20, v17
	v_fma_f32 v17, -v9, v19, v17
	s_waitcnt lgkmcnt(1)
	v_fma_f32 v17, -v10, v22, v17
	v_fma_f32 v17, -v25, v21, v17
	s_waitcnt lgkmcnt(0)
	v_fma_f32 v14, -v23, v14, v17
	s_lshl_b64 s[8:9], s[4:5], 2
	s_add_i32 s7, s1, 0xfffffd80
	v_mul_f32_e32 v24, v14, v13
	v_mov_b32_e32 v14, s9
	v_add_co_u32_e32 v13, vcc, s8, v15
	s_add_i32 s8, s7, s6
	v_addc_co_u32_e32 v14, vcc, v16, v14, vcc
	s_add_i32 s9, s8, -4
	global_store_dword v[13:14], v24, off
	v_mov_b32_e32 v13, s9
	ds_read2_b32 v[13:14], v13 offset1:1
	s_add_i32 s9, s8, -12
	v_mov_b32_e32 v17, s9
	s_sub_i32 s9, s8, 20
	s_sub_i32 s8, s8, 28
	v_mov_b32_e32 v19, s9
	v_mov_b32_e32 v21, s8
	ds_read2_b32 v[17:18], v17 offset1:1
	ds_read2_b32 v[19:20], v19 offset1:1
	;; [unrolled: 1-line block ×3, first 2 shown]
	s_add_i32 s4, s0, -9
	s_waitcnt lgkmcnt(3)
	v_fma_f32 v12, -v5, v14, v12
	v_fma_f32 v12, -v0, v13, v12
	s_lshl_b32 s8, s4, 2
	s_waitcnt lgkmcnt(2)
	v_fma_f32 v12, -v1, v18, v12
	s_add_i32 s7, s7, s8
	v_fma_f32 v14, -v6, v17, v12
	v_mov_b32_e32 v12, s7
	ds_read2_b32 v[12:13], v12 offset1:1
	s_waitcnt lgkmcnt(2)
	v_fma_f32 v14, -v9, v20, v14
	v_fma_f32 v14, -v10, v19, v14
	s_waitcnt lgkmcnt(1)
	v_fma_f32 v14, -v25, v22, v14
	v_fma_f32 v14, -v23, v21, v14
	s_waitcnt lgkmcnt(0)
	v_fma_f32 v13, -v24, v13, v14
	s_lshl_b64 s[8:9], s[4:5], 2
	s_add_i32 s7, s1, 0xfffffd30
	v_mul_f32_e32 v21, v13, v12
	v_mov_b32_e32 v13, s9
	s_add_i32 s9, s7, s6
	v_mov_b32_e32 v12, s9
	ds_read_b32 v14, v12
	v_add_co_u32_e32 v12, vcc, s8, v15
	s_add_i32 s8, s9, -8
	v_addc_co_u32_e32 v13, vcc, v16, v13, vcc
	s_waitcnt lgkmcnt(0)
	v_fma_f32 v22, -v5, v14, v11
	v_mov_b32_e32 v11, s8
	global_store_dword v[12:13], v21, off
	ds_read2_b32 v[11:12], v11 offset1:1
	s_add_i32 s8, s9, -16
	v_mov_b32_e32 v13, s8
	s_sub_i32 s8, s9, 24
	v_mov_b32_e32 v17, s8
	s_sub_i32 s8, s9, 32
	v_mov_b32_e32 v19, s8
	ds_read2_b32 v[13:14], v13 offset1:1
	ds_read2_b32 v[17:18], v17 offset1:1
	;; [unrolled: 1-line block ×3, first 2 shown]
	s_add_i32 s4, s0, -10
	s_waitcnt lgkmcnt(3)
	v_fma_f32 v12, -v0, v12, v22
	v_fma_f32 v11, -v1, v11, v12
	s_lshl_b32 s8, s4, 2
	s_waitcnt lgkmcnt(2)
	v_fma_f32 v11, -v6, v14, v11
	s_add_i32 s7, s7, s8
	v_fma_f32 v13, -v9, v13, v11
	v_mov_b32_e32 v11, s7
	ds_read2_b32 v[11:12], v11 offset1:1
	s_waitcnt lgkmcnt(2)
	v_fma_f32 v13, -v10, v18, v13
	v_fma_f32 v13, -v25, v17, v13
	s_waitcnt lgkmcnt(1)
	v_fma_f32 v13, -v23, v20, v13
	v_fma_f32 v13, -v24, v19, v13
	s_waitcnt lgkmcnt(0)
	v_fma_f32 v12, -v21, v12, v13
	s_lshl_b64 s[8:9], s[4:5], 2
	s_add_i32 s7, s1, 0xfffffce0
	v_mul_f32_e32 v22, v12, v11
	v_mov_b32_e32 v12, s9
	v_add_co_u32_e32 v11, vcc, s8, v15
	s_add_i32 s8, s7, s6
	v_addc_co_u32_e32 v12, vcc, v16, v12, vcc
	s_add_i32 s9, s8, -4
	global_store_dword v[11:12], v22, off
	v_mov_b32_e32 v11, s9
	ds_read2_b32 v[11:12], v11 offset1:1
	s_add_i32 s9, s8, -12
	v_mov_b32_e32 v13, s9
	s_sub_i32 s9, s8, 20
	v_mov_b32_e32 v17, s9
	s_sub_i32 s9, s8, 28
	v_mov_b32_e32 v19, s9
	ds_read2_b32 v[13:14], v13 offset1:1
	ds_read2_b32 v[17:18], v17 offset1:1
	;; [unrolled: 1-line block ×3, first 2 shown]
	s_waitcnt lgkmcnt(3)
	v_fma_f32 v8, -v5, v12, v8
	s_add_i32 s4, s0, -11
	v_fma_f32 v8, -v0, v11, v8
	s_sub_i32 s8, s8, 36
	s_waitcnt lgkmcnt(2)
	v_fma_f32 v8, -v1, v14, v8
	v_mov_b32_e32 v11, s8
	s_lshl_b32 s8, s4, 2
	v_fma_f32 v8, -v6, v13, v8
	ds_read2_b32 v[11:12], v11 offset1:1
	s_add_i32 s7, s7, s8
	s_waitcnt lgkmcnt(2)
	v_fma_f32 v8, -v9, v18, v8
	v_mov_b32_e32 v13, s7
	v_fma_f32 v8, -v10, v17, v8
	ds_read2_b32 v[13:14], v13 offset1:1
	s_waitcnt lgkmcnt(2)
	v_fma_f32 v8, -v25, v20, v8
	v_fma_f32 v8, -v23, v19, v8
	s_waitcnt lgkmcnt(1)
	v_fma_f32 v8, -v24, v12, v8
	v_fma_f32 v8, -v21, v11, v8
	s_waitcnt lgkmcnt(0)
	v_fma_f32 v8, -v22, v14, v8
	s_lshl_b64 s[8:9], s[4:5], 2
	s_add_i32 s7, s1, 0xfffffc90
	v_mul_f32_e32 v19, v8, v13
	v_mov_b32_e32 v8, s9
	s_add_i32 s9, s7, s6
	v_mov_b32_e32 v11, s9
	ds_read_b32 v13, v11
	v_add_co_u32_e32 v11, vcc, s8, v15
	s_add_i32 s8, s9, -8
	v_addc_co_u32_e32 v12, vcc, v16, v8, vcc
	s_waitcnt lgkmcnt(0)
	v_fma_f32 v20, -v5, v13, v7
	v_mov_b32_e32 v7, s8
	ds_read2_b32 v[7:8], v7 offset1:1
	s_add_i32 s8, s9, -16
	global_store_dword v[11:12], v19, off
	v_mov_b32_e32 v11, s8
	s_sub_i32 s8, s9, 24
	v_mov_b32_e32 v13, s8
	s_sub_i32 s8, s9, 32
	v_mov_b32_e32 v17, s8
	ds_read2_b32 v[11:12], v11 offset1:1
	ds_read2_b32 v[13:14], v13 offset1:1
	;; [unrolled: 1-line block ×3, first 2 shown]
	s_waitcnt lgkmcnt(3)
	v_fma_f32 v8, -v0, v8, v20
	v_fma_f32 v7, -v1, v7, v8
	s_waitcnt lgkmcnt(2)
	v_fma_f32 v7, -v6, v12, v7
	v_fma_f32 v7, -v9, v11, v7
	s_add_i32 s4, s0, -12
	s_waitcnt lgkmcnt(1)
	v_fma_f32 v7, -v10, v14, v7
	s_sub_i32 s8, s9, 40
	v_fma_f32 v13, -v25, v13, v7
	v_mov_b32_e32 v7, s8
	s_lshl_b32 s8, s4, 2
	ds_read2_b32 v[7:8], v7 offset1:1
	s_add_i32 s7, s7, s8
	v_mov_b32_e32 v11, s7
	ds_read2_b32 v[11:12], v11 offset1:1
	s_waitcnt lgkmcnt(2)
	v_fma_f32 v13, -v23, v18, v13
	v_fma_f32 v13, -v24, v17, v13
	s_waitcnt lgkmcnt(1)
	v_fma_f32 v8, -v21, v8, v13
	v_fma_f32 v7, -v22, v7, v8
	s_waitcnt lgkmcnt(0)
	v_fma_f32 v7, -v19, v12, v7
	s_lshl_b64 s[8:9], s[4:5], 2
	s_add_i32 s7, s1, 0xfffffc40
	v_mul_f32_e32 v20, v7, v11
	v_mov_b32_e32 v8, s9
	v_add_co_u32_e32 v7, vcc, s8, v15
	s_add_i32 s8, s7, s6
	v_addc_co_u32_e32 v8, vcc, v16, v8, vcc
	s_add_i32 s9, s8, -4
	global_store_dword v[7:8], v20, off
	v_mov_b32_e32 v7, s9
	ds_read2_b32 v[7:8], v7 offset1:1
	s_add_i32 s9, s8, -12
	v_mov_b32_e32 v11, s9
	s_sub_i32 s9, s8, 20
	v_mov_b32_e32 v13, s9
	s_sub_i32 s9, s8, 28
	v_mov_b32_e32 v17, s9
	ds_read2_b32 v[11:12], v11 offset1:1
	ds_read2_b32 v[13:14], v13 offset1:1
	;; [unrolled: 1-line block ×3, first 2 shown]
	s_waitcnt lgkmcnt(3)
	v_fma_f32 v4, -v5, v8, v4
	v_fma_f32 v4, -v0, v7, v4
	s_waitcnt lgkmcnt(2)
	v_fma_f32 v4, -v1, v12, v4
	s_sub_i32 s9, s8, 36
	s_sub_i32 s8, s8, 44
	s_add_i32 s4, s0, -13
	v_fma_f32 v4, -v6, v11, v4
	v_mov_b32_e32 v7, s9
	v_mov_b32_e32 v11, s8
	s_waitcnt lgkmcnt(1)
	v_fma_f32 v4, -v9, v14, v4
	ds_read2_b32 v[7:8], v7 offset1:1
	ds_read2_b32 v[11:12], v11 offset1:1
	s_lshl_b32 s8, s4, 2
	v_fma_f32 v4, -v10, v13, v4
	s_add_i32 s7, s7, s8
	s_waitcnt lgkmcnt(2)
	v_fma_f32 v4, -v25, v18, v4
	v_mov_b32_e32 v13, s7
	v_fma_f32 v4, -v23, v17, v4
	ds_read2_b32 v[13:14], v13 offset1:1
	s_waitcnt lgkmcnt(2)
	v_fma_f32 v4, -v24, v8, v4
	v_fma_f32 v4, -v21, v7, v4
	s_waitcnt lgkmcnt(1)
	v_fma_f32 v4, -v22, v12, v4
	v_fma_f32 v4, -v19, v11, v4
	s_waitcnt lgkmcnt(0)
	v_fma_f32 v4, -v20, v14, v4
	s_lshl_b64 s[8:9], s[4:5], 2
	s_add_i32 s7, s1, 0xfffffbf0
	v_mul_f32_e32 v17, v4, v13
	v_mov_b32_e32 v4, s9
	s_add_i32 s9, s7, s6
	v_mov_b32_e32 v7, s9
	ds_read_b32 v11, v7
	v_add_co_u32_e32 v7, vcc, s8, v15
	s_add_i32 s8, s9, -8
	v_addc_co_u32_e32 v8, vcc, v16, v4, vcc
	s_waitcnt lgkmcnt(0)
	v_fma_f32 v18, -v5, v11, v3
	v_mov_b32_e32 v3, s8
	ds_read2_b32 v[3:4], v3 offset1:1
	s_add_i32 s8, s9, -16
	global_store_dword v[7:8], v17, off
	v_mov_b32_e32 v7, s8
	s_sub_i32 s8, s9, 24
	v_mov_b32_e32 v11, s8
	s_sub_i32 s8, s9, 32
	v_mov_b32_e32 v13, s8
	ds_read2_b32 v[7:8], v7 offset1:1
	ds_read2_b32 v[11:12], v11 offset1:1
	;; [unrolled: 1-line block ×3, first 2 shown]
	s_waitcnt lgkmcnt(3)
	v_fma_f32 v4, -v0, v4, v18
	v_fma_f32 v3, -v1, v3, v4
	s_waitcnt lgkmcnt(2)
	v_fma_f32 v3, -v6, v8, v3
	v_fma_f32 v3, -v9, v7, v3
	;; [unrolled: 3-line block ×3, first 2 shown]
	s_waitcnt lgkmcnt(0)
	v_fma_f32 v3, -v23, v14, v3
	s_sub_i32 s8, s9, 40
	v_fma_f32 v13, -v24, v13, v3
	v_mov_b32_e32 v3, s8
	s_sub_i32 s8, s9, 48
	s_add_i32 s4, s0, -14
	v_mov_b32_e32 v7, s8
	ds_read2_b32 v[3:4], v3 offset1:1
	ds_read2_b32 v[7:8], v7 offset1:1
	s_lshl_b32 s8, s4, 2
	s_add_i32 s7, s7, s8
	v_mov_b32_e32 v11, s7
	ds_read2_b32 v[11:12], v11 offset1:1
	s_waitcnt lgkmcnt(2)
	v_fma_f32 v4, -v21, v4, v13
	v_fma_f32 v3, -v22, v3, v4
	s_waitcnt lgkmcnt(1)
	v_fma_f32 v3, -v19, v8, v3
	v_fma_f32 v3, -v20, v7, v3
	s_waitcnt lgkmcnt(0)
	v_fma_f32 v3, -v17, v12, v3
	s_lshl_b64 s[8:9], s[4:5], 2
	s_addk_i32 s1, 0xfba0
	v_mul_f32_e32 v18, v3, v11
	v_mov_b32_e32 v4, s9
	v_add_co_u32_e32 v3, vcc, s8, v15
	s_add_i32 s6, s1, s6
	v_addc_co_u32_e32 v4, vcc, v16, v4, vcc
	s_add_i32 s7, s6, -4
	global_store_dword v[3:4], v18, off
	v_mov_b32_e32 v3, s7
	ds_read2_b32 v[3:4], v3 offset1:1
	s_add_i32 s7, s6, -12
	v_mov_b32_e32 v7, s7
	s_sub_i32 s7, s6, 20
	v_mov_b32_e32 v11, s7
	s_sub_i32 s7, s6, 28
	v_mov_b32_e32 v13, s7
	ds_read2_b32 v[7:8], v7 offset1:1
	ds_read2_b32 v[11:12], v11 offset1:1
	;; [unrolled: 1-line block ×3, first 2 shown]
	s_waitcnt lgkmcnt(3)
	v_fma_f32 v2, -v5, v4, v2
	v_fma_f32 v0, -v0, v3, v2
	s_waitcnt lgkmcnt(2)
	v_fma_f32 v0, -v1, v8, v0
	v_fma_f32 v0, -v6, v7, v0
	;; [unrolled: 3-line block ×3, first 2 shown]
	s_waitcnt lgkmcnt(0)
	v_fma_f32 v0, -v25, v14, v0
	s_sub_i32 s7, s6, 36
	v_fma_f32 v6, -v23, v13, v0
	v_mov_b32_e32 v0, s7
	ds_read2_b32 v[0:1], v0 offset1:1
	s_sub_i32 s7, s6, 44
	s_sub_i32 s6, s6, 52
	s_add_i32 s4, s0, -15
	v_mov_b32_e32 v2, s7
	v_mov_b32_e32 v4, s6
	ds_read2_b32 v[2:3], v2 offset1:1
	ds_read2_b32 v[4:5], v4 offset1:1
	s_lshl_b32 s6, s4, 2
	s_waitcnt lgkmcnt(2)
	v_fma_f32 v1, -v24, v1, v6
	s_add_i32 s1, s1, s6
	v_fma_f32 v6, -v21, v0, v1
	v_mov_b32_e32 v0, s1
	ds_read2_b32 v[0:1], v0 offset1:1
	s_waitcnt lgkmcnt(2)
	v_fma_f32 v3, -v22, v3, v6
	v_fma_f32 v2, -v19, v2, v3
	s_waitcnt lgkmcnt(1)
	v_fma_f32 v2, -v20, v5, v2
	v_fma_f32 v2, -v17, v4, v2
	s_waitcnt lgkmcnt(0)
	v_fma_f32 v1, -v18, v1, v2
	s_lshl_b64 s[4:5], s[4:5], 2
	v_mul_f32_e32 v2, v1, v0
	v_mov_b32_e32 v1, s5
	v_add_co_u32_e32 v0, vcc, s4, v15
	v_addc_co_u32_e32 v1, vcc, v16, v1, vcc
	s_add_i32 s0, s0, -16
	global_store_dword v[0:1], v2, off
.LBB24_16:
	s_cmp_lt_i32 s0, 0
	s_cbranch_scc1 .LBB24_33
; %bb.17:
	s_and_b32 s1, s0, 3
	s_cmp_eq_u32 s1, 3
	s_mov_b32 s4, s0
	s_cbranch_scc1 .LBB24_22
; %bb.18:
	s_mul_i32 s4, s0, 0x50
	s_lshl_b32 s5, s17, 2
	s_add_i32 s1, s0, 1
	s_add_i32 s4, s4, s5
	s_and_b32 s1, s1, 3
	s_add_i32 s8, s4, -4
	s_mov_b32 s7, 0
	s_mov_b32 s4, s0
	s_mov_b32 s9, 0
	s_branch .LBB24_20
.LBB24_19:                              ;   in Loop: Header=BB24_20 Depth=1
	s_mul_i32 s5, s4, 0x54
	v_mov_b32_e32 v3, s5
	ds_read_b32 v3, v3
	s_add_i32 s4, s4, -1
	s_add_i32 s9, s9, 1
	s_addk_i32 s8, 0xffb0
	s_cmp_lg_u32 s9, s1
	s_waitcnt lgkmcnt(0)
	v_mul_f32_e32 v2, v2, v3
	global_store_dword v[0:1], v2, off
	s_cbranch_scc0 .LBB24_22
.LBB24_20:                              ; =>This Loop Header: Depth=1
                                        ;     Child Loop BB24_21 Depth 2
	s_mov_b32 s5, s7
	s_lshl_b64 s[10:11], s[4:5], 2
	v_mov_b32_e32 v1, s11
	v_add_co_u32_e32 v0, vcc, s10, v15
	v_addc_co_u32_e32 v1, vcc, v16, v1, vcc
	global_load_dword v2, v[0:1], off
	s_mov_b32 s5, s8
	s_cmp_le_i32 s3, s4
	s_mov_b32 s6, s3
	s_waitcnt vmcnt(0)
	v_mul_f32_e32 v2, s16, v2
	s_cbranch_scc1 .LBB24_19
.LBB24_21:                              ;   Parent Loop BB24_20 Depth=1
                                        ; =>  This Inner Loop Header: Depth=2
	s_lshl_b64 s[10:11], s[6:7], 2
	v_mov_b32_e32 v4, s11
	v_add_co_u32_e32 v3, vcc, s10, v15
	v_addc_co_u32_e32 v4, vcc, v16, v4, vcc
	global_load_dword v3, v[3:4], off
	v_mov_b32_e32 v4, s5
	ds_read_b32 v4, v4
	s_add_i32 s6, s6, -1
	s_add_i32 s5, s5, -4
	s_cmp_gt_i32 s6, s4
	s_waitcnt vmcnt(0) lgkmcnt(0)
	v_fma_f32 v2, -v3, v4, v2
	s_cbranch_scc1 .LBB24_21
	s_branch .LBB24_19
.LBB24_22:
	s_cmp_lt_u32 s0, 3
	s_cbranch_scc1 .LBB24_33
; %bb.23:
	s_mul_i32 s0, s4, 0x50
	s_lshl_b32 s1, s17, 2
	s_add_i32 s0, s0, s1
	s_add_i32 s8, s0, -4
	s_add_i32 s9, s0, 0xffffffac
	s_add_i32 s10, s0, 0xffffff5c
	;; [unrolled: 1-line block ×3, first 2 shown]
	s_mov_b32 s1, 0
	s_branch .LBB24_25
.LBB24_24:                              ;   in Loop: Header=BB24_25 Depth=1
	s_add_i32 s0, s5, 0xffffffac
	v_mov_b32_e32 v3, s0
	ds_read_b32 v3, v3
	s_add_i32 s0, s4, -4
	s_addk_i32 s8, 0xfec0
	s_addk_i32 s9, 0xfec0
	;; [unrolled: 1-line block ×4, first 2 shown]
	s_waitcnt lgkmcnt(0)
	v_mul_f32_e32 v2, v2, v3
	s_cmp_lt_i32 s4, 4
	s_mov_b32 s4, s0
	global_store_dword v[0:1], v2, off
	s_cbranch_scc1 .LBB24_33
.LBB24_25:                              ; =>This Loop Header: Depth=1
                                        ;     Child Loop BB24_26 Depth 2
                                        ;     Child Loop BB24_28 Depth 2
	;; [unrolled: 1-line block ×4, first 2 shown]
	s_mov_b32 s5, s1
	s_lshl_b64 s[6:7], s[4:5], 2
	v_mov_b32_e32 v0, s7
	v_add_co_u32_e32 v2, vcc, s6, v15
	v_addc_co_u32_e32 v3, vcc, v16, v0, vcc
	global_load_dword v0, v[2:3], off
	s_mov_b32 s5, s8
	s_cmp_le_i32 s3, s4
	s_mov_b32 s0, s3
	s_waitcnt vmcnt(0)
	v_mul_f32_e32 v4, s16, v0
	s_cbranch_scc1 .LBB24_27
.LBB24_26:                              ;   Parent Loop BB24_25 Depth=1
                                        ; =>  This Inner Loop Header: Depth=2
	s_lshl_b64 s[6:7], s[0:1], 2
	v_mov_b32_e32 v1, s7
	v_add_co_u32_e32 v0, vcc, s6, v15
	v_addc_co_u32_e32 v1, vcc, v16, v1, vcc
	global_load_dword v0, v[0:1], off
	v_mov_b32_e32 v1, s5
	ds_read_b32 v1, v1
	s_add_i32 s0, s0, -1
	s_add_i32 s5, s5, -4
	s_cmp_gt_i32 s0, s4
	s_waitcnt vmcnt(0) lgkmcnt(0)
	v_fma_f32 v4, -v0, v1, v4
	s_cbranch_scc1 .LBB24_26
.LBB24_27:                              ;   in Loop: Header=BB24_25 Depth=1
	s_add_i32 s0, s4, -1
	s_lshl_b64 s[6:7], s[0:1], 2
	v_mov_b32_e32 v1, s7
	v_add_co_u32_e32 v0, vcc, s6, v15
	v_addc_co_u32_e32 v1, vcc, v16, v1, vcc
	global_load_dword v5, v[0:1], off
	s_mul_i32 s5, s4, 0x54
	v_mov_b32_e32 v6, s5
	ds_read_b32 v6, v6
	s_mov_b32 s6, s9
	s_cmp_le_i32 s17, s4
	s_mov_b32 s0, s17
	s_waitcnt lgkmcnt(0)
	v_mul_f32_e32 v4, v4, v6
	global_store_dword v[2:3], v4, off
	s_waitcnt vmcnt(1)
	v_mul_f32_e32 v4, s16, v5
	s_cbranch_scc1 .LBB24_29
.LBB24_28:                              ;   Parent Loop BB24_25 Depth=1
                                        ; =>  This Inner Loop Header: Depth=2
	s_add_i32 s0, s0, -1
	s_lshl_b64 s[12:13], s[0:1], 2
	v_mov_b32_e32 v3, s13
	v_add_co_u32_e32 v2, vcc, s12, v15
	v_addc_co_u32_e32 v3, vcc, v16, v3, vcc
	global_load_dword v2, v[2:3], off
	v_mov_b32_e32 v3, s6
	ds_read_b32 v3, v3
	s_add_i32 s6, s6, -4
	s_cmp_gt_i32 s0, s4
	s_waitcnt vmcnt(0) lgkmcnt(0)
	v_fma_f32 v4, -v2, v3, v4
	s_cbranch_scc1 .LBB24_28
.LBB24_29:                              ;   in Loop: Header=BB24_25 Depth=1
	s_add_i32 s6, s4, -2
	s_mov_b32 s7, s1
	s_lshl_b64 s[12:13], s[6:7], 2
	v_mov_b32_e32 v3, s13
	v_add_co_u32_e32 v2, vcc, s12, v15
	v_addc_co_u32_e32 v3, vcc, v16, v3, vcc
	global_load_dword v5, v[2:3], off
	s_addk_i32 s5, 0xffac
	v_mov_b32_e32 v6, s5
	ds_read_b32 v6, v6
	s_mov_b32 s7, s10
	s_cmp_le_i32 s3, s6
	s_mov_b32 s0, s3
	s_waitcnt lgkmcnt(0)
	v_mul_f32_e32 v4, v4, v6
	global_store_dword v[0:1], v4, off
	s_waitcnt vmcnt(1)
	v_mul_f32_e32 v4, s16, v5
	s_cbranch_scc1 .LBB24_31
.LBB24_30:                              ;   Parent Loop BB24_25 Depth=1
                                        ; =>  This Inner Loop Header: Depth=2
	s_lshl_b64 s[12:13], s[0:1], 2
	v_mov_b32_e32 v1, s13
	v_add_co_u32_e32 v0, vcc, s12, v15
	v_addc_co_u32_e32 v1, vcc, v16, v1, vcc
	global_load_dword v0, v[0:1], off
	v_mov_b32_e32 v1, s7
	ds_read_b32 v1, v1
	s_add_i32 s0, s0, -1
	s_add_i32 s7, s7, -4
	s_cmp_gt_i32 s0, s6
	s_waitcnt vmcnt(0) lgkmcnt(0)
	v_fma_f32 v4, -v0, v1, v4
	s_cbranch_scc1 .LBB24_30
.LBB24_31:                              ;   in Loop: Header=BB24_25 Depth=1
	s_add_i32 s6, s4, -3
	s_mov_b32 s7, s1
	s_lshl_b64 s[12:13], s[6:7], 2
	v_mov_b32_e32 v1, s13
	v_add_co_u32_e32 v0, vcc, s12, v15
	v_addc_co_u32_e32 v1, vcc, v16, v1, vcc
	global_load_dword v5, v[0:1], off
	s_addk_i32 s5, 0xffac
	v_mov_b32_e32 v6, s5
	ds_read_b32 v6, v6
	s_mov_b32 s7, s11
	s_cmp_le_i32 s3, s6
	s_mov_b32 s0, s3
	s_waitcnt lgkmcnt(0)
	v_mul_f32_e32 v4, v4, v6
	global_store_dword v[2:3], v4, off
	s_waitcnt vmcnt(1)
	v_mul_f32_e32 v2, s16, v5
	s_cbranch_scc1 .LBB24_24
.LBB24_32:                              ;   Parent Loop BB24_25 Depth=1
                                        ; =>  This Inner Loop Header: Depth=2
	s_lshl_b64 s[12:13], s[0:1], 2
	v_mov_b32_e32 v4, s13
	v_add_co_u32_e32 v3, vcc, s12, v15
	v_addc_co_u32_e32 v4, vcc, v16, v4, vcc
	global_load_dword v3, v[3:4], off
	v_mov_b32_e32 v4, s7
	ds_read_b32 v4, v4
	s_add_i32 s0, s0, -1
	s_add_i32 s7, s7, -4
	s_cmp_gt_i32 s0, s6
	s_waitcnt vmcnt(0) lgkmcnt(0)
	v_fma_f32 v2, -v3, v4, v2
	s_cbranch_scc1 .LBB24_32
	s_branch .LBB24_24
.LBB24_33:
	s_mov_b64 s[0:1], 0
.LBB24_34:
	s_and_b64 vcc, exec, s[0:1]
	s_cbranch_vccz .LBB24_48
; %bb.35:
	s_cmp_gt_i32 s2, 19
	s_cselect_b64 s[0:1], -1, 0
	s_and_b64 vcc, exec, s[0:1]
	s_cbranch_vccz .LBB24_37
; %bb.36:
	global_load_dwordx4 v[0:3], v[15:16], off
	global_load_dwordx4 v[4:7], v[15:16], off offset:16
	global_load_dwordx4 v[18:21], v[15:16], off offset:32
	v_mov_b32_e32 v17, 0
	ds_read_b128 v[11:14], v17
	ds_read_b128 v[22:25], v17 offset:16
	s_movk_i32 s2, 0x200
	s_waitcnt vmcnt(2)
	v_mul_f32_e32 v0, s16, v0
	s_waitcnt lgkmcnt(1)
	v_mul_f32_e32 v11, v0, v11
	v_mul_f32_e32 v0, v11, v12
	;; [unrolled: 1-line block ×4, first 2 shown]
	v_fma_f32 v10, s16, v1, -v0
	v_fma_f32 v13, s16, v2, -v8
	;; [unrolled: 1-line block ×3, first 2 shown]
	ds_read_b128 v[0:3], v17 offset:32
	ds_read2_b32 v[8:9], v17 offset0:21 offset1:22
	s_waitcnt lgkmcnt(2)
	v_mul_f32_e32 v12, v11, v22
	v_mul_f32_e32 v22, v11, v23
	;; [unrolled: 1-line block ×4, first 2 shown]
	s_waitcnt lgkmcnt(1)
	v_mul_f32_e32 v25, v11, v0
	v_mul_f32_e32 v26, v11, v1
	s_waitcnt vmcnt(1)
	v_fma_f32 v29, s16, v4, -v12
	s_waitcnt lgkmcnt(0)
	v_mul_f32_e32 v12, v10, v8
	v_mul_f32_e32 v27, v11, v2
	;; [unrolled: 1-line block ×3, first 2 shown]
	v_fma_f32 v22, s16, v5, -v22
	v_fma_f32 v23, s16, v6, -v23
	;; [unrolled: 1-line block ×3, first 2 shown]
	ds_read2_b64 v[0:3], v17 offset0:21 offset1:22
	s_waitcnt vmcnt(0)
	v_fma_f32 v25, s16, v18, -v25
	v_fma_f32 v26, s16, v19, -v26
	ds_read2_b32 v[4:5], v17 offset0:23 offset1:24
	ds_read2_b32 v[18:19], v17 offset0:63 offset1:64
	;; [unrolled: 1-line block ×3, first 2 shown]
	v_fma_f32 v10, -v12, v9, v13
	ds_read2_b32 v[8:9], v17 offset0:27 offset1:28
	v_fma_f32 v30, s16, v21, -v28
	s_waitcnt lgkmcnt(3)
	v_fma_f32 v14, -v12, v4, v14
	v_fma_f32 v21, -v12, v5, v29
	s_waitcnt lgkmcnt(1)
	v_fma_f32 v22, -v12, v6, v22
	v_fma_f32 v23, -v12, v7, v23
	ds_read2_b64 v[4:7], v17 offset0:23 offset1:24
	s_waitcnt lgkmcnt(1)
	v_fma_f32 v24, -v12, v8, v24
	v_fma_f32 v25, -v12, v9, v25
	ds_read2_b32 v[8:9], v17 offset0:29 offset1:30
	v_mul_f32_e32 v13, v10, v0
	v_fma_f32 v20, s16, v20, -v27
	v_fma_f32 v10, -v13, v1, v14
	v_fma_f32 v27, -v13, v2, v21
	;; [unrolled: 1-line block ×3, first 2 shown]
	ds_read_b128 v[0:3], v17 offset:336
	s_waitcnt lgkmcnt(1)
	v_fma_f32 v8, -v12, v8, v26
	v_fma_f32 v23, -v13, v4, v23
	;; [unrolled: 1-line block ×5, first 2 shown]
	ds_read2_b32 v[4:5], v17 offset0:65 offset1:66
	ds_read2_b32 v[6:7], v17 offset0:105 offset1:106
	v_fma_f32 v28, -v12, v9, v20
	ds_read2_b32 v[8:9], v17 offset0:67 offset1:68
	ds_read2_b32 v[20:21], v17 offset0:107 offset1:108
	;; [unrolled: 1-line block ×3, first 2 shown]
	v_mul_f32_e32 v14, v10, v18
	v_fma_f32 v10, -v14, v19, v27
	s_waitcnt lgkmcnt(4)
	v_fma_f32 v18, -v14, v4, v22
	v_mul_f32_e32 v4, v10, v0
	v_fma_f32 v5, -v14, v5, v23
	v_fma_f32 v10, -v4, v1, v18
	ds_read2_b32 v[18:19], v17 offset0:69 offset1:70
	s_waitcnt lgkmcnt(3)
	v_fma_f32 v8, -v14, v8, v24
	v_fma_f32 v24, -v4, v2, v5
	;; [unrolled: 1-line block ×3, first 2 shown]
	ds_read_b128 v[0:3], v17 offset:352
	ds_read2_b32 v[22:23], v17 offset0:109 offset1:110
	v_fma_f32 v9, -v14, v9, v25
	v_mul_f32_e32 v5, v10, v6
	v_fma_f32 v10, -v5, v7, v24
	s_waitcnt lgkmcnt(1)
	v_fma_f32 v0, -v4, v0, v9
	v_fma_f32 v20, -v5, v20, v8
	ds_read2_b64 v[6:9], v17 offset0:63 offset1:64
	v_fma_f32 v18, -v14, v18, v26
	v_fma_f32 v1, -v4, v1, v18
	v_fma_f32 v0, -v5, v21, v0
	s_waitcnt lgkmcnt(1)
	v_fma_f32 v1, -v5, v22, v1
	s_waitcnt lgkmcnt(0)
	v_mul_f32_e32 v6, v10, v6
	v_fma_f32 v18, -v6, v7, v20
	v_fma_f32 v20, -v6, v8, v0
	;; [unrolled: 1-line block ×3, first 2 shown]
	ds_read2_b64 v[7:10], v17 offset0:25 offset1:26
	ds_read2_b32 v[25:26], v17 offset0:31 offset1:32
	ds_read2_b32 v[41:42], v17 offset0:157 offset1:158
	global_store_dwordx4 v[15:16], v[11:14], off
	ds_read2_b32 v[39:40], v17 offset0:195 offset1:196
	s_waitcnt lgkmcnt(3)
	v_fma_f32 v0, -v13, v7, v28
	v_fma_f32 v7, -v14, v19, v0
	ds_read2_b32 v[0:1], v17 offset0:147 offset1:148
	ds_read2_b32 v[27:28], v17 offset0:71 offset1:72
	v_fma_f32 v2, -v4, v2, v7
	v_fma_f32 v22, -v5, v23, v2
	s_waitcnt lgkmcnt(1)
	v_mul_f32_e32 v7, v18, v0
	v_fma_f32 v0, -v12, v25, v30
	v_fma_f32 v0, -v13, v8, v0
	ds_read2_b32 v[18:19], v17 offset0:149 offset1:150
	ds_read2_b32 v[29:30], v17 offset0:111 offset1:112
	s_waitcnt lgkmcnt(2)
	v_fma_f32 v0, -v14, v27, v0
	v_fma_f32 v23, -v7, v1, v20
	;; [unrolled: 1-line block ×3, first 2 shown]
	ds_read2_b64 v[0:3], v17 offset0:65 offset1:66
	s_waitcnt lgkmcnt(2)
	v_fma_f32 v24, -v7, v18, v21
	s_waitcnt lgkmcnt(1)
	v_fma_f32 v8, -v5, v29, v8
	global_store_dwordx4 v[15:16], v[4:7], off offset:16
	s_waitcnt lgkmcnt(0)
	v_fma_f32 v0, -v6, v0, v22
	v_fma_f32 v22, -v7, v19, v0
	ds_read_b128 v[18:21], v17 offset:672
	v_fma_f32 v1, -v6, v1, v8
	v_fma_f32 v1, -v7, v31, v1
	s_waitcnt lgkmcnt(0)
	v_mul_f32_e32 v0, v23, v18
	v_fma_f32 v33, -v0, v19, v24
	v_fma_f32 v34, -v0, v20, v22
	global_load_dwordx4 v[22:25], v[15:16], off offset:48
	v_fma_f32 v31, -v0, v21, v1
	ds_read_b128 v[18:21], v17 offset:48
	s_waitcnt lgkmcnt(0)
	v_mul_f32_e32 v1, v11, v18
	v_mul_f32_e32 v8, v11, v19
	s_waitcnt vmcnt(0)
	v_fma_f32 v1, s16, v22, -v1
	v_fma_f32 v1, -v12, v26, v1
	v_fma_f32 v1, -v13, v9, v1
	v_fma_f32 v18, s16, v23, -v8
	ds_read2_b32 v[8:9], v17 offset0:33 offset1:34
	ds_read2_b32 v[22:23], v17 offset0:73 offset1:74
	v_fma_f32 v1, -v14, v28, v1
	ds_read_b128 v[26:29], v17 offset:368
	s_waitcnt lgkmcnt(2)
	v_fma_f32 v8, -v12, v8, v18
	v_fma_f32 v8, -v13, v10, v8
	s_waitcnt lgkmcnt(0)
	v_fma_f32 v1, -v4, v26, v1
	v_fma_f32 v1, -v5, v30, v1
	;; [unrolled: 1-line block ×5, first 2 shown]
	ds_read2_b32 v[26:27], v17 offset0:113 offset1:114
	v_fma_f32 v10, -v7, v32, v10
	s_waitcnt lgkmcnt(0)
	v_fma_f32 v1, -v5, v26, v1
	v_fma_f32 v8, -v6, v3, v1
	ds_read2_b32 v[1:2], v17 offset0:189 offset1:190
	s_waitcnt lgkmcnt(0)
	v_mul_f32_e32 v1, v33, v1
	v_fma_f32 v18, -v1, v2, v34
	ds_read2_b32 v[2:3], v17 offset0:191 offset1:192
	ds_read2_b64 v[34:37], v17 offset0:105 offset1:106
	s_waitcnt lgkmcnt(1)
	v_fma_f32 v19, -v1, v2, v31
	ds_read_b128 v[30:33], v17 offset:688
	s_waitcnt lgkmcnt(0)
	v_fma_f32 v2, -v0, v30, v10
	v_fma_f32 v3, -v1, v3, v2
	v_mul_f32_e32 v2, v18, v34
	v_fma_f32 v10, -v2, v35, v19
	ds_read2_b32 v[34:35], v17 offset0:153 offset1:154
	v_fma_f32 v36, -v2, v36, v3
	s_waitcnt lgkmcnt(0)
	v_fma_f32 v3, -v7, v34, v8
	v_fma_f32 v3, -v0, v31, v3
	ds_read2_b32 v[30:31], v17 offset0:193 offset1:194
	v_mul_f32_e32 v8, v11, v21
	v_fma_f32 v22, s16, v25, -v8
	s_waitcnt lgkmcnt(0)
	v_fma_f32 v3, -v1, v30, v3
	v_fma_f32 v34, -v2, v37, v3
	v_mul_f32_e32 v3, v11, v20
	v_fma_f32 v3, s16, v24, -v3
	v_fma_f32 v3, -v12, v9, v3
	ds_read2_b64 v[18:21], v17 offset0:27 offset1:28
	ds_read2_b32 v[8:9], v17 offset0:35 offset1:36
	ds_read2_b32 v[37:38], v17 offset0:115 offset1:116
	s_waitcnt lgkmcnt(2)
	v_fma_f32 v3, -v13, v18, v3
	s_waitcnt lgkmcnt(1)
	v_fma_f32 v8, -v12, v8, v22
	v_fma_f32 v3, -v14, v23, v3
	;; [unrolled: 1-line block ×3, first 2 shown]
	ds_read2_b32 v[18:19], v17 offset0:75 offset1:76
	ds_read2_b64 v[22:25], v17 offset0:67 offset1:68
	v_fma_f32 v3, -v4, v28, v3
	v_fma_f32 v3, -v5, v27, v3
	ds_read2_b32 v[26:27], v17 offset0:231 offset1:232
	s_waitcnt lgkmcnt(2)
	v_fma_f32 v8, -v14, v18, v8
	s_waitcnt lgkmcnt(1)
	v_fma_f32 v3, -v6, v22, v3
	v_fma_f32 v8, -v4, v29, v8
	;; [unrolled: 1-line block ×6, first 2 shown]
	ds_read2_b32 v[22:23], v17 offset0:155 offset1:156
	ds_read2_b32 v[29:30], v17 offset0:233 offset1:234
	s_waitcnt lgkmcnt(1)
	v_fma_f32 v3, -v7, v22, v3
	v_fma_f32 v22, -v0, v33, v3
	v_mul_f32_e32 v3, v10, v26
	v_fma_f32 v8, -v3, v27, v36
	v_fma_f32 v10, -v1, v31, v18
	s_waitcnt lgkmcnt(0)
	v_fma_f32 v18, -v3, v29, v34
	global_load_dwordx4 v[34:37], v[15:16], off offset:64
	ds_read2_b64 v[26:29], v17 offset0:107 offset1:108
	global_store_dwordx4 v[15:16], v[0:3], off offset:32
	s_waitcnt lgkmcnt(0)
	v_fma_f32 v10, -v2, v26, v10
	v_fma_f32 v10, -v3, v30, v10
	ds_read_b128 v[30:33], v17 offset:1008
	s_waitcnt lgkmcnt(0)
	v_mul_f32_e32 v8, v8, v30
	v_fma_f32 v44, -v8, v32, v10
	v_fma_f32 v10, -v1, v39, v22
	;; [unrolled: 1-line block ×3, first 2 shown]
	ds_read2_b32 v[26:27], v17 offset0:235 offset1:236
	v_fma_f32 v43, -v8, v31, v18
	s_waitcnt lgkmcnt(0)
	v_fma_f32 v10, -v3, v26, v10
	v_fma_f32 v26, -v8, v33, v10
	ds_read_b128 v[30:33], v17 offset:64
	s_waitcnt lgkmcnt(0)
	v_mul_f32_e32 v10, v11, v30
	s_waitcnt vmcnt(1)
	v_fma_f32 v10, s16, v34, -v10
	v_fma_f32 v9, -v12, v9, v10
	v_mul_f32_e32 v10, v11, v31
	ds_read2_b32 v[30:31], v17 offset0:37 offset1:38
	v_fma_f32 v10, s16, v35, -v10
	v_fma_f32 v9, -v13, v20, v9
	ds_read2_b32 v[34:35], v17 offset0:77 offset1:78
	v_fma_f32 v9, -v14, v19, v9
	s_waitcnt lgkmcnt(1)
	v_fma_f32 v10, -v12, v30, v10
	v_fma_f32 v10, -v13, v21, v10
	ds_read_b128 v[18:21], v17 offset:384
	s_waitcnt lgkmcnt(1)
	v_fma_f32 v10, -v14, v34, v10
	s_waitcnt lgkmcnt(0)
	v_fma_f32 v9, -v4, v18, v9
	v_fma_f32 v10, -v4, v19, v10
	ds_read2_b32 v[18:19], v17 offset0:117 offset1:118
	v_fma_f32 v9, -v5, v38, v9
	v_fma_f32 v9, -v6, v24, v9
	;; [unrolled: 1-line block ×3, first 2 shown]
	s_waitcnt lgkmcnt(0)
	v_fma_f32 v10, -v5, v18, v10
	v_fma_f32 v10, -v6, v25, v10
	ds_read_b128 v[22:25], v17 offset:704
	s_waitcnt lgkmcnt(0)
	v_fma_f32 v9, -v0, v22, v9
	v_fma_f32 v9, -v1, v40, v9
	;; [unrolled: 1-line block ×5, first 2 shown]
	ds_read2_b32 v[22:23], v17 offset0:197 offset1:198
	v_fma_f32 v18, -v3, v27, v18
	v_mov_b32_e32 v27, 0x44c
	ds_read2_b64 v[38:41], v17 offset0:147 offset1:148
	s_waitcnt lgkmcnt(1)
	v_fma_f32 v9, -v1, v22, v9
	v_fma_f32 v22, -v2, v29, v9
	v_mov_b32_e32 v9, 0x444
	ds_read2_b32 v[9:10], v9 offset1:1
	ds_read2_b32 v[29:30], v27 offset1:1
	s_waitcnt lgkmcnt(1)
	v_mul_f32_e32 v9, v43, v9
	v_fma_f32 v10, -v9, v10, v44
	s_waitcnt lgkmcnt(0)
	v_fma_f32 v34, -v9, v29, v26
	v_mul_f32_e32 v10, v10, v38
	ds_read_b128 v[26:29], v17 offset:1024
	v_fma_f32 v34, -v10, v39, v34
	ds_read2_b32 v[38:39], v17 offset0:237 offset1:238
	s_waitcnt lgkmcnt(1)
	v_fma_f32 v18, -v8, v26, v18
	v_mov_b32_e32 v26, 0x454
	s_waitcnt lgkmcnt(0)
	v_fma_f32 v22, -v3, v38, v22
	v_fma_f32 v22, -v8, v27, v22
	ds_read2_b32 v[26:27], v26 offset1:1
	v_fma_f32 v18, -v9, v30, v18
	v_mul_f32_e32 v30, v11, v33
	v_fma_f32 v18, -v10, v40, v18
	s_waitcnt lgkmcnt(0)
	v_fma_f32 v22, -v9, v26, v22
	v_mul_f32_e32 v26, v11, v32
	v_fma_f32 v26, s16, v36, -v26
	v_fma_f32 v32, s16, v37, -v30
	v_fma_f32 v26, -v12, v31, v26
	ds_read_b64 v[30:31], v17 offset:232
	v_fma_f32 v22, -v10, v41, v22
	s_waitcnt lgkmcnt(0)
	v_fma_f32 v26, -v13, v30, v26
	ds_read_b32 v30, v17 offset:156
	v_fma_f32 v26, -v14, v35, v26
	s_waitcnt lgkmcnt(0)
	v_fma_f32 v30, -v12, v30, v32
	ds_read2_b32 v[11:12], v17 offset0:79 offset1:119
	v_fma_f32 v30, -v13, v31, v30
	v_fma_f32 v13, -v4, v20, v26
	;; [unrolled: 1-line block ×3, first 2 shown]
	s_waitcnt lgkmcnt(0)
	v_fma_f32 v11, -v14, v11, v30
	ds_read_b64 v[13:14], v17 offset:552
	v_fma_f32 v11, -v4, v21, v11
	v_fma_f32 v11, -v5, v12, v11
	v_mov_b32_e32 v4, 0x4ec
	ds_read2_b32 v[4:5], v4 offset1:1
	s_waitcnt lgkmcnt(1)
	v_fma_f32 v14, -v6, v14, v11
	ds_read2_b32 v[11:12], v17 offset0:159 offset1:199
	v_fma_f32 v13, -v6, v13, v19
	v_fma_f32 v13, -v7, v42, v13
	s_waitcnt lgkmcnt(0)
	v_fma_f32 v6, -v7, v11, v14
	v_mul_f32_e32 v11, v34, v4
	v_fma_f32 v4, -v0, v24, v13
	ds_read_b64 v[13:14], v17 offset:872
	v_fma_f32 v20, -v11, v5, v18
	v_fma_f32 v4, -v1, v23, v4
	v_mov_b32_e32 v18, 0x4f4
	ds_read2_b32 v[18:19], v18 offset1:1
	s_waitcnt lgkmcnt(1)
	v_fma_f32 v4, -v2, v13, v4
	v_fma_f32 v13, -v0, v25, v6
	;; [unrolled: 1-line block ×4, first 2 shown]
	ds_read_b128 v[4:7], v17 offset:1344
	v_fma_f32 v14, -v2, v14, v12
	v_add_u32_e64 v12, s2, 0
	ds_read2_b32 v[12:13], v12 offset0:111 offset1:151
	s_waitcnt lgkmcnt(2)
	v_fma_f32 v1, -v11, v18, v22
	s_waitcnt lgkmcnt(1)
	v_mul_f32_e32 v0, v20, v4
	s_movk_i32 s2, 0x400
	global_store_dwordx4 v[15:16], v[8:11], off offset:48
	s_waitcnt lgkmcnt(0)
	v_fma_f32 v12, -v3, v12, v14
	v_fma_f32 v3, -v0, v5, v1
	v_mov_b32_e32 v1, 0x594
	ds_read2_b32 v[1:2], v1 offset1:1
	s_waitcnt lgkmcnt(0)
	v_mul_f32_e32 v1, v3, v1
	v_fma_f32 v3, -v8, v28, v21
	v_fma_f32 v5, -v9, v27, v3
	ds_read_b64 v[3:4], v17 offset:1192
	s_waitcnt lgkmcnt(0)
	v_fma_f32 v3, -v10, v3, v5
	v_fma_f32 v3, -v11, v19, v3
	;; [unrolled: 1-line block ×4, first 2 shown]
	v_add_u32_e64 v3, s2, 0
	ds_read2_b32 v[5:6], v3 offset0:63 offset1:103
	ds_read_b64 v[18:19], v17 offset:1512
	v_fma_f32 v3, -v8, v29, v12
	v_fma_f32 v3, -v9, v13, v3
	;; [unrolled: 1-line block ×3, first 2 shown]
	ds_read_b32 v4, v17 offset:1596
	s_waitcnt lgkmcnt(2)
	v_fma_f32 v3, -v11, v5, v3
	v_fma_f32 v3, -v0, v7, v3
	s_waitcnt lgkmcnt(1)
	v_mul_f32_e32 v2, v2, v18
	v_fma_f32 v3, -v1, v6, v3
	v_fma_f32 v3, -v2, v19, v3
	s_waitcnt lgkmcnt(0)
	v_mul_f32_e32 v3, v3, v4
	s_mov_b32 s2, 20
	global_store_dwordx4 v[15:16], v[0:3], off offset:64
	s_cmp_lt_i32 s2, s17
	s_cbranch_scc1 .LBB24_38
	s_branch .LBB24_48
.LBB24_37:
	s_mov_b32 s2, 0
	s_cmp_lt_i32 s2, s17
	s_cbranch_scc0 .LBB24_48
.LBB24_38:
	s_add_i32 s3, s2, 15
	s_cmp_ge_u32 s3, s17
	s_cbranch_scc1 .LBB24_43
; %bb.39:
	s_lshl_b32 s4, s2, 2
	v_add_co_u32_e32 v12, vcc, s4, v15
	v_addc_co_u32_e32 v13, vcc, 0, v16, vcc
	global_load_dwordx4 v[0:3], v[12:13], off
	global_load_dwordx4 v[4:7], v[12:13], off offset:16
	global_load_dwordx4 v[8:11], v[12:13], off offset:32
	;; [unrolled: 1-line block ×3, first 2 shown]
	s_andn2_b64 vcc, exec, s[0:1]
	s_waitcnt vmcnt(3)
	v_mul_f32_e32 v21, s16, v0
	v_mul_f32_e32 v22, s16, v1
	v_mul_f32_e32 v2, s16, v2
	v_mul_f32_e32 v3, s16, v3
	s_waitcnt vmcnt(2)
	v_mul_f32_e32 v4, s16, v4
	v_mul_f32_e32 v5, s16, v5
	v_mul_f32_e32 v6, s16, v6
	v_mul_f32_e32 v7, s16, v7
	;; [unrolled: 5-line block ×4, first 2 shown]
	s_cbranch_vccnz .LBB24_42
; %bb.40:
	v_mov_b32_e32 v0, v15
	v_mov_b32_e32 v1, v16
	s_mov_b32 s0, s2
.LBB24_41:                              ; =>This Inner Loop Header: Depth=1
	global_load_dword v11, v[0:1], off
	v_mov_b32_e32 v35, s4
	ds_read_b128 v[23:26], v35
	ds_read_b128 v[27:30], v35 offset:16
	ds_read_b128 v[31:34], v35 offset:32
	;; [unrolled: 1-line block ×3, first 2 shown]
	s_add_i32 s0, s0, -1
	s_addk_i32 s4, 0x50
	v_add_co_u32_e32 v0, vcc, 4, v0
	v_addc_co_u32_e32 v1, vcc, 0, v1, vcc
	s_cmp_lg_u32 s0, 0
	s_waitcnt vmcnt(0) lgkmcnt(3)
	v_fma_f32 v21, -v11, v23, v21
	v_fma_f32 v22, -v11, v24, v22
	v_fma_f32 v2, -v11, v25, v2
	v_fma_f32 v3, -v11, v26, v3
	s_waitcnt lgkmcnt(2)
	v_fma_f32 v4, -v11, v27, v4
	v_fma_f32 v5, -v11, v28, v5
	v_fma_f32 v6, -v11, v29, v6
	v_fma_f32 v7, -v11, v30, v7
	s_waitcnt lgkmcnt(1)
	;; [unrolled: 5-line block ×3, first 2 shown]
	v_fma_f32 v8, -v11, v35, v8
	v_fma_f32 v9, -v11, v36, v9
	;; [unrolled: 1-line block ×4, first 2 shown]
	s_cbranch_scc1 .LBB24_41
.LBB24_42:
	s_lshl_b32 s0, s2, 2
	s_mul_i32 s1, s2, 0x50
	s_add_i32 s0, s0, s1
	v_mov_b32_e32 v11, s0
	ds_read_b128 v[23:26], v11
	ds_read_b128 v[27:30], v11 offset:16
	ds_read_b128 v[31:34], v11 offset:336
	s_or_b32 s0, s2, 9
	s_mulk_i32 s0, 0x54
	s_waitcnt lgkmcnt(2)
	v_mul_f32_e32 v0, v21, v23
	v_fma_f32 v1, -v0, v24, v22
	ds_read2_b32 v[21:22], v11 offset0:21 offset1:22
	v_fma_f32 v2, -v0, v25, v2
	v_fma_f32 v3, -v0, v26, v3
	ds_read2_b32 v[25:26], v11 offset0:23 offset1:24
	ds_read2_b32 v[37:38], v11 offset0:109 offset1:110
	s_waitcnt lgkmcnt(2)
	v_mul_f32_e32 v1, v1, v21
	v_fma_f32 v2, -v1, v22, v2
	ds_read2_b64 v[21:24], v11 offset0:21 offset1:22
	s_waitcnt lgkmcnt(2)
	v_fma_f32 v3, -v1, v25, v3
	v_fma_f32 v4, -v0, v27, v4
	;; [unrolled: 1-line block ×4, first 2 shown]
	s_waitcnt lgkmcnt(0)
	v_mul_f32_e32 v2, v2, v21
	v_fma_f32 v3, -v2, v22, v3
	ds_read2_b32 v[21:22], v11 offset0:63 offset1:64
	v_fma_f32 v4, -v2, v23, v4
	v_fma_f32 v6, -v0, v29, v6
	ds_read2_b32 v[26:27], v11 offset0:105 offset1:106
	v_fma_f32 v7, -v0, v30, v7
	s_waitcnt lgkmcnt(1)
	v_mul_f32_e32 v3, v3, v21
	v_fma_f32 v4, -v3, v22, v4
	ds_read2_b32 v[21:22], v11 offset0:25 offset1:26
	v_mul_f32_e32 v4, v4, v31
	global_store_dwordx4 v[12:13], v[0:3], off
	ds_read2_b32 v[39:40], v11 offset0:149 offset1:150
	ds_read_b128 v[45:48], v11 offset:688
	s_waitcnt lgkmcnt(2)
	v_fma_f32 v5, -v1, v21, v5
	v_fma_f32 v5, -v2, v24, v5
	ds_read2_b32 v[24:25], v11 offset0:65 offset1:66
	v_fma_f32 v6, -v1, v22, v6
	ds_read_b128 v[41:44], v11 offset:368
	s_waitcnt lgkmcnt(1)
	v_fma_f32 v5, -v3, v24, v5
	ds_read2_b64 v[21:24], v11 offset0:23 offset1:24
	v_fma_f32 v5, -v4, v32, v5
	s_waitcnt lgkmcnt(0)
	v_fma_f32 v6, -v2, v21, v6
	v_fma_f32 v6, -v3, v25, v6
	;; [unrolled: 1-line block ×3, first 2 shown]
	ds_read2_b32 v[32:33], v11 offset0:27 offset1:28
	v_mul_f32_e32 v5, v5, v26
	v_fma_f32 v6, -v5, v27, v6
	ds_read2_b64 v[25:28], v11 offset0:63 offset1:64
	s_waitcnt lgkmcnt(1)
	v_fma_f32 v7, -v1, v32, v7
	v_fma_f32 v7, -v2, v22, v7
	ds_read2_b32 v[21:22], v11 offset0:67 offset1:68
	ds_read_b128 v[29:32], v11 offset:32
	s_waitcnt lgkmcnt(1)
	v_fma_f32 v7, -v3, v21, v7
	v_fma_f32 v7, -v4, v34, v7
	ds_read2_b32 v[34:35], v11 offset0:107 offset1:108
	v_mul_f32_e32 v6, v6, v25
	s_waitcnt lgkmcnt(1)
	v_fma_f32 v20, -v0, v29, v20
	v_fma_f32 v20, -v1, v33, v20
	;; [unrolled: 1-line block ×3, first 2 shown]
	s_waitcnt lgkmcnt(0)
	v_fma_f32 v7, -v5, v34, v7
	v_fma_f32 v7, -v6, v26, v7
	ds_read2_b32 v[25:26], v11 offset0:147 offset1:148
	v_fma_f32 v19, -v0, v30, v19
	ds_read2_b32 v[29:30], v11 offset0:69 offset1:70
	v_fma_f32 v18, -v0, v31, v18
	s_waitcnt lgkmcnt(1)
	v_mul_f32_e32 v7, v7, v25
	v_fma_f32 v25, -v3, v22, v20
	ds_read_b128 v[20:23], v11 offset:352
	global_store_dwordx4 v[12:13], v[4:7], off offset:16
	s_waitcnt lgkmcnt(0)
	v_fma_f32 v20, -v4, v20, v25
	v_fma_f32 v20, -v5, v35, v20
	v_fma_f32 v20, -v6, v27, v20
	v_fma_f32 v20, -v7, v26, v20
	ds_read2_b32 v[25:26], v11 offset0:29 offset1:30
	ds_read_b128 v[33:36], v11 offset:672
	s_waitcnt lgkmcnt(1)
	v_fma_f32 v19, -v1, v25, v19
	v_fma_f32 v19, -v2, v24, v19
	;; [unrolled: 1-line block ×3, first 2 shown]
	ds_read2_b64 v[24:27], v11 offset0:25 offset1:26
	v_fma_f32 v19, -v3, v29, v19
	v_fma_f32 v19, -v4, v21, v19
	;; [unrolled: 1-line block ×4, first 2 shown]
	s_waitcnt lgkmcnt(1)
	v_mul_f32_e32 v20, v20, v33
	v_fma_f32 v19, -v7, v39, v19
	v_mov_b32_e32 v21, s0
	s_waitcnt lgkmcnt(0)
	v_fma_f32 v18, -v2, v24, v18
	v_fma_f32 v19, -v20, v34, v19
	ds_read2_b32 v[33:34], v21 offset1:1
	v_fma_f32 v18, -v3, v30, v18
	ds_read2_b64 v[28:31], v11 offset0:65 offset1:66
	v_fma_f32 v18, -v4, v22, v18
	s_or_b32 s0, s2, 10
	v_fma_f32 v18, -v5, v38, v18
	s_mulk_i32 s0, 0x54
	s_waitcnt lgkmcnt(1)
	v_mul_f32_e32 v21, v19, v33
	s_waitcnt lgkmcnt(0)
	v_fma_f32 v18, -v6, v28, v18
	v_mov_b32_e32 v19, s0
	v_fma_f32 v18, -v7, v40, v18
	ds_read2_b64 v[37:40], v19 offset1:1
	v_fma_f32 v18, -v20, v35, v18
	v_fma_f32 v18, -v21, v34, v18
	;; [unrolled: 1-line block ×3, first 2 shown]
	s_or_b32 s0, s2, 11
	s_waitcnt lgkmcnt(0)
	v_mul_f32_e32 v22, v18, v37
	ds_read2_b32 v[17:18], v11 offset0:31 offset1:32
	s_mulk_i32 s0, 0x54
	s_waitcnt lgkmcnt(0)
	v_fma_f32 v17, -v1, v17, v19
	v_fma_f32 v17, -v2, v25, v17
	ds_read2_b32 v[24:25], v11 offset0:71 offset1:72
	v_mov_b32_e32 v19, s0
	s_mul_i32 s0, s2, 0x54
	s_add_i32 s2, s2, 16
	s_waitcnt lgkmcnt(0)
	v_fma_f32 v17, -v3, v24, v17
	v_fma_f32 v17, -v4, v23, v17
	ds_read2_b32 v[23:24], v11 offset0:111 offset1:112
	s_waitcnt lgkmcnt(0)
	v_fma_f32 v17, -v5, v23, v17
	v_fma_f32 v17, -v6, v29, v17
	ds_read2_b32 v[28:29], v11 offset0:151 offset1:152
	;; [unrolled: 4-line block ×3, first 2 shown]
	s_waitcnt lgkmcnt(0)
	v_fma_f32 v17, -v21, v35, v17
	ds_read_b128 v[32:35], v11 offset:48
	v_fma_f32 v17, -v22, v38, v17
	ds_read2_b32 v[37:38], v19 offset1:1
	v_mov_b32_e32 v19, s0
	s_addk_i32 s0, 0x444
	s_waitcnt lgkmcnt(1)
	v_fma_f32 v8, -v0, v32, v8
	v_fma_f32 v8, -v1, v18, v8
	s_waitcnt lgkmcnt(0)
	v_mul_f32_e32 v23, v17, v37
	v_fma_f32 v8, -v2, v26, v8
	ds_read2_b32 v[17:18], v11 offset0:33 offset1:34
	v_fma_f32 v8, -v3, v25, v8
	v_fma_f32 v8, -v4, v41, v8
	;; [unrolled: 1-line block ×5, first 2 shown]
	ds_read2_b32 v[24:25], v11 offset0:73 offset1:74
	v_fma_f32 v8, -v7, v29, v8
	ds_read2_b32 v[28:29], v11 offset0:153 offset1:154
	v_fma_f32 v10, -v0, v34, v10
	v_fma_f32 v0, -v0, v35, v14
	ds_read_b32 v14, v11 offset:140
	s_waitcnt lgkmcnt(3)
	v_fma_f32 v9, -v1, v17, v9
	v_fma_f32 v9, -v2, v27, v9
	ds_read2_b32 v[26:27], v11 offset0:113 offset1:114
	ds_read2_b32 v[32:33], v11 offset0:233 offset1:234
	v_fma_f32 v8, -v20, v45, v8
	s_waitcnt lgkmcnt(4)
	v_fma_f32 v9, -v3, v24, v9
	v_fma_f32 v8, -v21, v36, v8
	v_fma_f32 v9, -v4, v42, v9
	v_fma_f32 v8, -v22, v39, v8
	s_waitcnt lgkmcnt(1)
	v_fma_f32 v9, -v5, v26, v9
	v_fma_f32 v8, -v23, v38, v8
	ds_read_b128 v[36:39], v19 offset:1008
	v_fma_f32 v9, -v6, v31, v9
	ds_read2_b32 v[30:31], v11 offset0:193 offset1:194
	v_fma_f32 v9, -v7, v28, v9
	v_fma_f32 v9, -v20, v46, v9
	s_waitcnt lgkmcnt(1)
	v_mul_f32_e32 v8, v8, v36
	v_mov_b32_e32 v17, s0
	s_waitcnt lgkmcnt(0)
	v_fma_f32 v9, -v21, v30, v9
	v_fma_f32 v9, -v22, v40, v9
	;; [unrolled: 1-line block ×4, first 2 shown]
	ds_read2_b32 v[36:37], v17 offset1:1
	v_fma_f32 v10, -v1, v18, v10
	ds_read_b64 v[17:18], v11 offset:216
	v_fma_f32 v0, -v1, v14, v0
	s_mul_i32 s0, s3, 0x54
	s_waitcnt lgkmcnt(1)
	v_mul_f32_e32 v9, v9, v36
	global_store_dwordx4 v[12:13], v[20:23], off offset:32
	s_waitcnt lgkmcnt(0)
	v_fma_f32 v10, -v2, v17, v10
	v_fma_f32 v2, -v2, v18, v0
	ds_read2_b32 v[0:1], v11 offset0:75 offset1:115
	v_fma_f32 v10, -v3, v25, v10
	ds_read_b64 v[24:25], v11 offset:536
	v_fma_f32 v10, -v4, v43, v10
	v_fma_f32 v10, -v5, v27, v10
	s_waitcnt lgkmcnt(1)
	v_fma_f32 v0, -v3, v0, v2
	v_fma_f32 v0, -v4, v44, v0
	;; [unrolled: 1-line block ×3, first 2 shown]
	ds_read_b64 v[26:27], v11 offset:856
	s_waitcnt lgkmcnt(1)
	v_fma_f32 v2, -v6, v25, v0
	ds_read2_b32 v[0:1], v11 offset0:155 offset1:195
	v_fma_f32 v10, -v6, v24, v10
	v_fma_f32 v10, -v7, v29, v10
	;; [unrolled: 1-line block ×4, first 2 shown]
	s_waitcnt lgkmcnt(0)
	v_fma_f32 v0, -v7, v0, v2
	v_fma_f32 v0, -v20, v48, v0
	;; [unrolled: 1-line block ×4, first 2 shown]
	v_add_u32_e32 v0, 0x200, v11
	ds_read2_b32 v[0:1], v0 offset0:107 offset1:147
	ds_read_b64 v[28:29], v19 offset:1176
	v_fma_f32 v10, -v22, v26, v10
	v_fma_f32 v10, -v23, v33, v10
	;; [unrolled: 1-line block ×3, first 2 shown]
	s_waitcnt lgkmcnt(1)
	v_fma_f32 v0, -v23, v0, v2
	v_fma_f32 v0, -v8, v39, v0
	;; [unrolled: 1-line block ×3, first 2 shown]
	v_mov_b32_e32 v1, s0
	ds_read_b32 v1, v1
	v_fma_f32 v10, -v9, v37, v10
	s_waitcnt lgkmcnt(1)
	v_mul_f32_e32 v10, v10, v28
	v_fma_f32 v0, -v10, v29, v0
	s_waitcnt lgkmcnt(0)
	v_mul_f32_e32 v11, v0, v1
	global_store_dwordx4 v[12:13], v[8:11], off offset:48
.LBB24_43:
	s_cmp_ge_i32 s2, s17
	s_cbranch_scc1 .LBB24_48
; %bb.44:
	s_lshl_b32 s0, s2, 2
	s_mov_b32 s3, 0
	s_branch .LBB24_46
.LBB24_45:                              ;   in Loop: Header=BB24_46 Depth=1
	s_mul_i32 s1, s2, 0x54
	v_mov_b32_e32 v2, s1
	ds_read_b32 v2, v2
	s_add_i32 s2, s2, 1
	s_add_i32 s0, s0, 4
	s_cmp_ge_i32 s2, s17
	s_waitcnt lgkmcnt(0)
	v_mul_f32_e32 v2, v4, v2
	global_store_dword v[0:1], v2, off
	s_cbranch_scc1 .LBB24_48
.LBB24_46:                              ; =>This Loop Header: Depth=1
                                        ;     Child Loop BB24_47 Depth 2
	s_lshl_b64 s[4:5], s[2:3], 2
	v_mov_b32_e32 v1, s5
	v_add_co_u32_e32 v0, vcc, s4, v15
	v_addc_co_u32_e32 v1, vcc, v16, v1, vcc
	global_load_dword v4, v[0:1], off
	v_mov_b32_e32 v2, v15
	v_mov_b32_e32 v3, v16
	s_mov_b32 s1, s0
	s_cmp_eq_u32 s2, 0
	s_mov_b32 s4, s2
	s_waitcnt vmcnt(0)
	v_mul_f32_e32 v4, s16, v4
	s_cbranch_scc1 .LBB24_45
.LBB24_47:                              ;   Parent Loop BB24_46 Depth=1
                                        ; =>  This Inner Loop Header: Depth=2
	global_load_dword v5, v[2:3], off
	v_mov_b32_e32 v6, s1
	ds_read_b32 v6, v6
	s_add_i32 s4, s4, -1
	s_addk_i32 s1, 0x50
	v_add_co_u32_e32 v2, vcc, 4, v2
	v_addc_co_u32_e32 v3, vcc, 0, v3, vcc
	s_cmp_lg_u32 s4, 0
	s_waitcnt vmcnt(0) lgkmcnt(0)
	v_fma_f32 v4, -v5, v6, v4
	s_cbranch_scc1 .LBB24_47
	s_branch .LBB24_45
.LBB24_48:
	s_endpgm
	.section	.rodata,"a",@progbits
	.p2align	6, 0x0
	.amdhsa_kernel _ZL30rocblas_trsm_small_left_deviceILi20ELi20ELb1EffPKfPfEv13rocblas_fill_18rocblas_operation_17rocblas_diagonal_iiT3_T4_lilT5_lili
		.amdhsa_group_segment_fixed_size 1600
		.amdhsa_private_segment_fixed_size 0
		.amdhsa_kernarg_size 352
		.amdhsa_user_sgpr_count 6
		.amdhsa_user_sgpr_private_segment_buffer 1
		.amdhsa_user_sgpr_dispatch_ptr 0
		.amdhsa_user_sgpr_queue_ptr 0
		.amdhsa_user_sgpr_kernarg_segment_ptr 1
		.amdhsa_user_sgpr_dispatch_id 0
		.amdhsa_user_sgpr_flat_scratch_init 0
		.amdhsa_user_sgpr_private_segment_size 0
		.amdhsa_uses_dynamic_stack 0
		.amdhsa_system_sgpr_private_segment_wavefront_offset 0
		.amdhsa_system_sgpr_workgroup_id_x 1
		.amdhsa_system_sgpr_workgroup_id_y 0
		.amdhsa_system_sgpr_workgroup_id_z 1
		.amdhsa_system_sgpr_workgroup_info 0
		.amdhsa_system_vgpr_workitem_id 0
		.amdhsa_next_free_vgpr 49
		.amdhsa_next_free_sgpr 24
		.amdhsa_reserve_vcc 1
		.amdhsa_reserve_flat_scratch 0
		.amdhsa_float_round_mode_32 0
		.amdhsa_float_round_mode_16_64 0
		.amdhsa_float_denorm_mode_32 3
		.amdhsa_float_denorm_mode_16_64 3
		.amdhsa_dx10_clamp 1
		.amdhsa_ieee_mode 1
		.amdhsa_fp16_overflow 0
		.amdhsa_exception_fp_ieee_invalid_op 0
		.amdhsa_exception_fp_denorm_src 0
		.amdhsa_exception_fp_ieee_div_zero 0
		.amdhsa_exception_fp_ieee_overflow 0
		.amdhsa_exception_fp_ieee_underflow 0
		.amdhsa_exception_fp_ieee_inexact 0
		.amdhsa_exception_int_div_zero 0
	.end_amdhsa_kernel
	.section	.text._ZL30rocblas_trsm_small_left_deviceILi20ELi20ELb1EffPKfPfEv13rocblas_fill_18rocblas_operation_17rocblas_diagonal_iiT3_T4_lilT5_lili,"axG",@progbits,_ZL30rocblas_trsm_small_left_deviceILi20ELi20ELb1EffPKfPfEv13rocblas_fill_18rocblas_operation_17rocblas_diagonal_iiT3_T4_lilT5_lili,comdat
.Lfunc_end24:
	.size	_ZL30rocblas_trsm_small_left_deviceILi20ELi20ELb1EffPKfPfEv13rocblas_fill_18rocblas_operation_17rocblas_diagonal_iiT3_T4_lilT5_lili, .Lfunc_end24-_ZL30rocblas_trsm_small_left_deviceILi20ELi20ELb1EffPKfPfEv13rocblas_fill_18rocblas_operation_17rocblas_diagonal_iiT3_T4_lilT5_lili
                                        ; -- End function
	.set _ZL30rocblas_trsm_small_left_deviceILi20ELi20ELb1EffPKfPfEv13rocblas_fill_18rocblas_operation_17rocblas_diagonal_iiT3_T4_lilT5_lili.num_vgpr, 49
	.set _ZL30rocblas_trsm_small_left_deviceILi20ELi20ELb1EffPKfPfEv13rocblas_fill_18rocblas_operation_17rocblas_diagonal_iiT3_T4_lilT5_lili.num_agpr, 0
	.set _ZL30rocblas_trsm_small_left_deviceILi20ELi20ELb1EffPKfPfEv13rocblas_fill_18rocblas_operation_17rocblas_diagonal_iiT3_T4_lilT5_lili.numbered_sgpr, 24
	.set _ZL30rocblas_trsm_small_left_deviceILi20ELi20ELb1EffPKfPfEv13rocblas_fill_18rocblas_operation_17rocblas_diagonal_iiT3_T4_lilT5_lili.num_named_barrier, 0
	.set _ZL30rocblas_trsm_small_left_deviceILi20ELi20ELb1EffPKfPfEv13rocblas_fill_18rocblas_operation_17rocblas_diagonal_iiT3_T4_lilT5_lili.private_seg_size, 0
	.set _ZL30rocblas_trsm_small_left_deviceILi20ELi20ELb1EffPKfPfEv13rocblas_fill_18rocblas_operation_17rocblas_diagonal_iiT3_T4_lilT5_lili.uses_vcc, 1
	.set _ZL30rocblas_trsm_small_left_deviceILi20ELi20ELb1EffPKfPfEv13rocblas_fill_18rocblas_operation_17rocblas_diagonal_iiT3_T4_lilT5_lili.uses_flat_scratch, 0
	.set _ZL30rocblas_trsm_small_left_deviceILi20ELi20ELb1EffPKfPfEv13rocblas_fill_18rocblas_operation_17rocblas_diagonal_iiT3_T4_lilT5_lili.has_dyn_sized_stack, 0
	.set _ZL30rocblas_trsm_small_left_deviceILi20ELi20ELb1EffPKfPfEv13rocblas_fill_18rocblas_operation_17rocblas_diagonal_iiT3_T4_lilT5_lili.has_recursion, 0
	.set _ZL30rocblas_trsm_small_left_deviceILi20ELi20ELb1EffPKfPfEv13rocblas_fill_18rocblas_operation_17rocblas_diagonal_iiT3_T4_lilT5_lili.has_indirect_call, 0
	.section	.AMDGPU.csdata,"",@progbits
; Kernel info:
; codeLenInByte = 12860
; TotalNumSgprs: 28
; NumVgprs: 49
; ScratchSize: 0
; MemoryBound: 0
; FloatMode: 240
; IeeeMode: 1
; LDSByteSize: 1600 bytes/workgroup (compile time only)
; SGPRBlocks: 3
; VGPRBlocks: 12
; NumSGPRsForWavesPerEU: 28
; NumVGPRsForWavesPerEU: 49
; Occupancy: 4
; WaveLimiterHint : 0
; COMPUTE_PGM_RSRC2:SCRATCH_EN: 0
; COMPUTE_PGM_RSRC2:USER_SGPR: 6
; COMPUTE_PGM_RSRC2:TRAP_HANDLER: 0
; COMPUTE_PGM_RSRC2:TGID_X_EN: 1
; COMPUTE_PGM_RSRC2:TGID_Y_EN: 0
; COMPUTE_PGM_RSRC2:TGID_Z_EN: 1
; COMPUTE_PGM_RSRC2:TIDIG_COMP_CNT: 0
	.section	.text._ZL31rocblas_trsm_small_right_deviceIffPKfPfLi20EEv13rocblas_fill_18rocblas_operation_17rocblas_diagonal_iiT0_T1_lilT2_lili,"axG",@progbits,_ZL31rocblas_trsm_small_right_deviceIffPKfPfLi20EEv13rocblas_fill_18rocblas_operation_17rocblas_diagonal_iiT0_T1_lilT2_lili,comdat
	.globl	_ZL31rocblas_trsm_small_right_deviceIffPKfPfLi20EEv13rocblas_fill_18rocblas_operation_17rocblas_diagonal_iiT0_T1_lilT2_lili ; -- Begin function _ZL31rocblas_trsm_small_right_deviceIffPKfPfLi20EEv13rocblas_fill_18rocblas_operation_17rocblas_diagonal_iiT0_T1_lilT2_lili
	.p2align	8
	.type	_ZL31rocblas_trsm_small_right_deviceIffPKfPfLi20EEv13rocblas_fill_18rocblas_operation_17rocblas_diagonal_iiT0_T1_lilT2_lili,@function
_ZL31rocblas_trsm_small_right_deviceIffPKfPfLi20EEv13rocblas_fill_18rocblas_operation_17rocblas_diagonal_iiT0_T1_lilT2_lili: ; @_ZL31rocblas_trsm_small_right_deviceIffPKfPfLi20EEv13rocblas_fill_18rocblas_operation_17rocblas_diagonal_iiT0_T1_lilT2_lili
; %bb.0:
	s_load_dwordx4 s[8:11], s[4:5], 0x0
	s_load_dwordx2 s[12:13], s[4:5], 0x10
	s_load_dwordx4 s[0:3], s[4:5], 0x30
	s_load_dwordx2 s[14:15], s[4:5], 0x40
	s_waitcnt lgkmcnt(0)
	s_min_i32 s18, s12, 20
	v_cmp_gt_i32_e32 vcc, s18, v0
	s_and_saveexec_b64 s[16:17], vcc
	s_cbranch_execz .LBB25_5
; %bb.1:
	s_load_dword s24, s[4:5], 0x28
	s_load_dwordx4 s[20:23], s[4:5], 0x18
	s_mul_i32 s1, s1, s7
	s_mul_hi_u32 s19, s0, s7
	s_add_i32 s1, s19, s1
	s_mul_i32 s0, s0, s7
	s_waitcnt lgkmcnt(0)
	s_ashr_i32 s25, s24, 31
	s_lshl_b64 s[0:1], s[0:1], 2
	s_add_u32 s19, s20, s0
	s_addc_u32 s20, s21, s1
	s_lshl_b64 s[0:1], s[22:23], 2
	s_add_u32 s0, s19, s0
	s_addc_u32 s1, s20, s1
	v_lshlrev_b32_e32 v3, 2, v0
	v_mov_b32_e32 v2, s1
	v_add_co_u32_e32 v1, vcc, s0, v3
	s_lshl_b64 s[0:1], s[24:25], 2
	v_addc_co_u32_e32 v2, vcc, 0, v2, vcc
	v_mov_b32_e32 v4, s1
	v_mov_b32_e32 v5, v3
	s_mov_b32 s1, s18
.LBB25_2:                               ; =>This Inner Loop Header: Depth=1
	global_load_dword v6, v[1:2], off
	v_add_co_u32_e32 v1, vcc, s0, v1
	s_add_i32 s1, s1, -1
	v_addc_co_u32_e32 v2, vcc, v2, v4, vcc
	s_cmp_eq_u32 s1, 0
	s_waitcnt vmcnt(0)
	ds_write_b32 v5, v6
	v_add_u32_e32 v5, 0x50, v5
	s_cbranch_scc0 .LBB25_2
; %bb.3:
	s_cmpk_eq_i32 s10, 0x84
	s_cbranch_scc0 .LBB25_5
; %bb.4:
	s_movk_i32 s0, 0x50
	v_mad_u32_u24 v1, v0, s0, v3
	v_mov_b32_e32 v2, 1.0
	ds_write_b32 v1, v2
.LBB25_5:
	s_or_b64 exec, exec, s[16:17]
	s_load_dword s0, s[4:5], 0x60
	s_load_dwordx2 s[16:17], s[4:5], 0x50
	s_load_dword s10, s[4:5], 0x48
	s_waitcnt lgkmcnt(0)
	s_mul_i32 s1, s17, s7
	s_mul_hi_u32 s5, s16, s7
	s_mul_i32 s4, s16, s7
	s_add_i32 s5, s5, s1
	s_lshl_b64 s[4:5], s[4:5], 2
	s_add_u32 s1, s2, s4
	s_addc_u32 s4, s3, s5
	s_lshl_b64 s[2:3], s[14:15], 2
	s_add_u32 s1, s1, s2
	s_addc_u32 s2, s4, s3
	s_mul_i32 s3, s6, 0xffffffec
	s_add_i32 s0, s0, -1
	s_add_i32 s3, s11, s3
	s_cmp_ge_u32 s6, s0
	s_cselect_b32 s0, s3, 20
	s_mul_hi_i32 s3, s6, 0x50
	s_mulk_i32 s6, 0x50
	s_add_u32 s14, s1, s6
	s_addc_u32 s15, s2, s3
	v_cmp_gt_i32_e64 s[0:1], s0, v0
	s_and_saveexec_b64 s[2:3], s[0:1]
	s_cbranch_execz .LBB25_9
; %bb.6:
	s_cmp_lt_i32 s12, 1
	s_cbranch_scc1 .LBB25_9
; %bb.7:
	s_ashr_i32 s11, s10, 31
	v_lshlrev_b32_e32 v3, 2, v0
	v_mov_b32_e32 v2, s15
	v_add_co_u32_e32 v1, vcc, s14, v3
	s_lshl_b64 s[4:5], s[10:11], 2
	v_addc_co_u32_e32 v2, vcc, 0, v2, vcc
	v_add_u32_e32 v3, 0x640, v3
	v_mov_b32_e32 v4, s5
	s_mov_b32 s5, s12
.LBB25_8:                               ; =>This Inner Loop Header: Depth=1
	global_load_dword v5, v[1:2], off
	s_add_i32 s5, s5, -1
	v_add_co_u32_e32 v1, vcc, s4, v1
	v_addc_co_u32_e32 v2, vcc, v2, v4, vcc
	s_cmp_lg_u32 s5, 0
	s_waitcnt vmcnt(0)
	v_mul_f32_e32 v5, s13, v5
	ds_write_b32 v3, v5
	v_add_u32_e32 v3, 0x50, v3
	s_cbranch_scc1 .LBB25_8
.LBB25_9:
	s_or_b64 exec, exec, s[2:3]
	s_cmpk_eq_i32 s9, 0x6f
	s_cselect_b64 s[2:3], -1, 0
	s_cmpk_lg_i32 s8, 0x79
	s_cselect_b64 s[4:5], -1, 0
	s_cmpk_eq_i32 s8, 0x79
	s_cselect_b64 s[6:7], -1, 0
	s_and_b64 s[6:7], s[6:7], s[2:3]
	s_andn2_b64 vcc, exec, s[6:7]
	s_mov_b64 s[6:7], -1
	s_waitcnt lgkmcnt(0)
	; wave barrier
	s_cbranch_vccz .LBB25_66
; %bb.10:
	s_cmpk_lg_i32 s8, 0x7a
	s_cselect_b64 s[16:17], -1, 0
	s_xor_b64 s[2:3], s[2:3], -1
	s_add_i32 s8, s18, -1
	s_or_b64 s[16:17], s[16:17], s[2:3]
	v_mov_b32_e32 v1, 0x640
	s_cmp_gt_i32 s12, 3
	v_lshl_add_u32 v3, v0, 2, v1
	s_cselect_b64 s[2:3], -1, 0
	s_and_b64 vcc, exec, s[16:17]
	s_cbranch_vccz .LBB25_45
; %bb.11:
	s_andn2_b64 vcc, exec, s[4:5]
	s_mov_b64 s[4:5], -1
	s_cbranch_vccnz .LBB25_24
; %bb.12:
	s_andn2_b64 vcc, exec, s[2:3]
	s_mov_b32 s6, 0
	s_cbranch_vccnz .LBB25_18
; %bb.13:
	v_mov_b32_e32 v1, 0x640
	v_lshl_add_u32 v4, v0, 2, v1
	s_mov_b32 s4, 0
	s_mov_b32 s5, 0
.LBB25_14:                              ; =>This Loop Header: Depth=1
                                        ;     Child Loop BB25_15 Depth 2
	s_or_b32 s7, s5, 3
	s_mul_i32 s6, s5, 0x50
	v_add_u32_e32 v5, s6, v3
	s_mulk_i32 s7, 0x50
	ds_read2_b32 v[1:2], v5 offset1:20
	v_add_u32_e32 v6, s7, v3
	ds_read_b32 v8, v5 offset:160
	ds_read_b32 v7, v6
	s_cmp_eq_u32 s5, 0
	v_mov_b32_e32 v9, v4
	s_mov_b32 s7, s4
	s_mov_b32 s9, s5
	s_cbranch_scc1 .LBB25_16
.LBB25_15:                              ;   Parent Loop BB25_14 Depth=1
                                        ; =>  This Inner Loop Header: Depth=2
	v_mov_b32_e32 v10, s7
	ds_read_b32 v14, v9
	ds_read_b128 v[10:13], v10
	s_add_i32 s9, s9, -1
	s_addk_i32 s7, 0x50
	v_add_u32_e32 v9, 0x50, v9
	s_cmp_eq_u32 s9, 0
	s_waitcnt lgkmcnt(0)
	v_fma_f32 v1, -v14, v10, v1
	v_fma_f32 v2, -v14, v11, v2
	;; [unrolled: 1-line block ×4, first 2 shown]
	s_cbranch_scc0 .LBB25_15
.LBB25_16:                              ;   in Loop: Header=BB25_14 Depth=1
	s_lshl_b32 s9, s5, 2
	s_add_i32 s11, s9, s6
	v_mov_b32_e32 v15, s11
	ds_read_b128 v[9:12], v15
	ds_read2_b32 v[13:14], v15 offset0:21 offset1:22
	s_addk_i32 s11, 0x54
	s_add_i32 s4, s4, 16
	s_waitcnt lgkmcnt(1)
	v_div_scale_f32 v16, s[6:7], v9, v9, v1
	v_div_scale_f32 v17, vcc, v1, v9, v1
	v_rcp_f32_e32 v18, v16
	v_fma_f32 v19, -v16, v18, 1.0
	v_fmac_f32_e32 v18, v19, v18
	v_mul_f32_e32 v19, v17, v18
	v_fma_f32 v20, -v16, v19, v17
	v_fmac_f32_e32 v19, v20, v18
	v_fma_f32 v16, -v16, v19, v17
	v_div_fmas_f32 v16, v16, v18, v19
	v_div_fixup_f32 v9, v16, v9, v1
	v_fma_f32 v10, -v9, v10, v2
	s_waitcnt lgkmcnt(0)
	v_div_scale_f32 v1, s[6:7], v13, v13, v10
	v_div_scale_f32 v2, vcc, v10, v13, v10
	v_fma_f32 v8, -v9, v11, v8
	v_fma_f32 v7, -v9, v12, v7
	v_rcp_f32_e32 v16, v1
	v_fma_f32 v17, -v1, v16, 1.0
	v_fmac_f32_e32 v16, v17, v16
	v_mul_f32_e32 v17, v2, v16
	v_fma_f32 v18, -v1, v17, v2
	v_fmac_f32_e32 v17, v18, v16
	v_fma_f32 v1, -v1, v17, v2
	v_div_fmas_f32 v16, v1, v16, v17
	ds_read_b64 v[1:2], v15 offset:168
	ds_read_b32 v15, v15 offset:252
	v_div_fixup_f32 v10, v16, v13, v10
	v_fma_f32 v8, -v10, v14, v8
	s_waitcnt lgkmcnt(1)
	v_div_scale_f32 v11, s[6:7], v1, v1, v8
	v_div_scale_f32 v13, vcc, v8, v1, v8
	s_or_b32 s6, s9, 4
	s_sub_i32 s6, s11, s6
	s_add_i32 s6, s6, s9
	v_rcp_f32_e32 v14, v11
	v_fma_f32 v16, -v11, v14, 1.0
	v_fmac_f32_e32 v14, v16, v14
	v_mul_f32_e32 v16, v13, v14
	v_fma_f32 v17, -v11, v16, v13
	v_fmac_f32_e32 v16, v17, v14
	v_fma_f32 v11, -v11, v16, v13
	v_div_fmas_f32 v11, v11, v14, v16
	v_mov_b32_e32 v13, s6
	ds_read_b32 v13, v13 offset:12
	s_waitcnt lgkmcnt(0)
	v_fma_f32 v7, -v10, v13, v7
	v_div_fixup_f32 v1, v11, v1, v8
	v_fma_f32 v2, -v1, v2, v7
	v_div_scale_f32 v7, s[6:7], v15, v15, v2
	v_div_scale_f32 v8, vcc, v2, v15, v2
	s_add_i32 s6, s5, 4
	s_add_i32 s5, s5, 7
	ds_write2_b32 v5, v9, v10 offset1:20
	ds_write_b32 v5, v1 offset:160
	s_cmp_ge_i32 s5, s18
	v_rcp_f32_e32 v11, v7
	v_fma_f32 v12, -v7, v11, 1.0
	v_fmac_f32_e32 v11, v12, v11
	v_mul_f32_e32 v12, v8, v11
	v_fma_f32 v13, -v7, v12, v8
	v_fmac_f32_e32 v12, v13, v11
	v_fma_f32 v7, -v7, v12, v8
	v_div_fmas_f32 v7, v7, v11, v12
	v_div_fixup_f32 v1, v7, v15, v2
	ds_write_b32 v6, v1
	s_cbranch_scc1 .LBB25_18
; %bb.17:                               ;   in Loop: Header=BB25_14 Depth=1
	s_mov_b32 s5, s6
	s_branch .LBB25_14
.LBB25_18:
	s_cmp_ge_i32 s6, s18
	s_cbranch_scc1 .LBB25_23
; %bb.19:
	v_mov_b32_e32 v1, 0x640
	s_lshl_b32 s4, s6, 2
	v_lshl_add_u32 v1, v0, 2, v1
	s_branch .LBB25_21
.LBB25_20:                              ;   in Loop: Header=BB25_21 Depth=1
	s_lshl_b32 s7, s6, 2
	s_add_i32 s5, s7, s5
	v_mov_b32_e32 v5, s5
	ds_read_b32 v5, v5
	s_add_i32 s6, s6, 1
	s_add_i32 s4, s4, 4
	s_cmp_ge_i32 s6, s18
	s_waitcnt lgkmcnt(0)
	v_div_scale_f32 v6, s[16:17], v5, v5, v4
	v_div_scale_f32 v7, vcc, v4, v5, v4
	v_rcp_f32_e32 v8, v6
	v_fma_f32 v9, -v6, v8, 1.0
	v_fmac_f32_e32 v8, v9, v8
	v_mul_f32_e32 v9, v7, v8
	v_fma_f32 v10, -v6, v9, v7
	v_fmac_f32_e32 v9, v10, v8
	v_fma_f32 v6, -v6, v9, v7
	v_div_fmas_f32 v6, v6, v8, v9
	v_div_fixup_f32 v4, v6, v5, v4
	ds_write_b32 v2, v4
	s_cbranch_scc1 .LBB25_23
.LBB25_21:                              ; =>This Loop Header: Depth=1
                                        ;     Child Loop BB25_22 Depth 2
	s_mul_i32 s5, s6, 0x50
	v_add_u32_e32 v2, s5, v3
	ds_read_b32 v4, v2
	s_cmp_eq_u32 s6, 0
	v_mov_b32_e32 v5, v1
	s_mov_b32 s7, s4
	s_mov_b32 s9, s6
	s_cbranch_scc1 .LBB25_20
.LBB25_22:                              ;   Parent Loop BB25_21 Depth=1
                                        ; =>  This Inner Loop Header: Depth=2
	v_mov_b32_e32 v7, s7
	ds_read_b32 v6, v5
	ds_read_b32 v7, v7
	s_add_i32 s9, s9, -1
	s_addk_i32 s7, 0x50
	v_add_u32_e32 v5, 0x50, v5
	s_cmp_eq_u32 s9, 0
	s_waitcnt lgkmcnt(0)
	v_fma_f32 v4, -v6, v7, v4
	s_cbranch_scc0 .LBB25_22
	s_branch .LBB25_20
.LBB25_23:
	s_mov_b64 s[4:5], 0
.LBB25_24:
	s_and_b64 vcc, exec, s[4:5]
	s_cbranch_vccz .LBB25_44
; %bb.25:
	s_andn2_b64 vcc, exec, s[2:3]
	s_mov_b32 s6, s8
	s_cbranch_vccnz .LBB25_31
; %bb.26:
	s_mul_i32 s5, s18, 0x50
	s_mul_i32 s4, s18, 0x54
	v_lshl_add_u32 v1, v0, 2, s5
	s_addk_i32 s4, 0xffa0
	v_add_u32_e32 v1, 0x5f0, v1
	s_mov_b32 s5, s8
.LBB25_27:                              ; =>This Loop Header: Depth=1
                                        ;     Child Loop BB25_28 Depth 2
	s_mul_i32 s7, s5, 0x50
	v_add_u32_e32 v2, s7, v3
	s_add_i32 s6, s7, 0xffffff10
	v_add_u32_e32 v4, 0xffffffb0, v2
	v_add_u32_e32 v5, 0xffffff60, v2
	;; [unrolled: 1-line block ×3, first 2 shown]
	ds_read_b32 v10, v2
	ds_read_b32 v9, v4
	;; [unrolled: 1-line block ×4, first 2 shown]
	s_cmp_le_i32 s8, s5
	v_mov_b32_e32 v11, v1
	s_mov_b32 s9, s4
	s_mov_b32 s11, s8
	s_cbranch_scc1 .LBB25_29
.LBB25_28:                              ;   Parent Loop BB25_27 Depth=1
                                        ; =>  This Inner Loop Header: Depth=2
	v_mov_b32_e32 v14, s9
	ds_read_b32 v16, v11
	ds_read2_b32 v[12:13], v14 offset0:2 offset1:3
	ds_read2_b32 v[14:15], v14 offset1:1
	s_add_i32 s11, s11, -1
	s_addk_i32 s9, 0xffb0
	v_add_u32_e32 v11, 0xffffffb0, v11
	s_cmp_le_i32 s11, s5
	s_waitcnt lgkmcnt(1)
	v_fma_f32 v10, -v16, v13, v10
	v_fma_f32 v9, -v16, v12, v9
	s_waitcnt lgkmcnt(0)
	v_fma_f32 v8, -v16, v15, v8
	v_fma_f32 v7, -v16, v14, v7
	s_cbranch_scc0 .LBB25_28
.LBB25_29:                              ;   in Loop: Header=BB25_27 Depth=1
	s_add_i32 s9, s5, -3
	s_lshl_b32 s11, s5, 2
	s_add_i32 s13, s11, s7
	s_lshl_b32 s9, s9, 2
	s_add_i32 s16, s13, -4
	s_add_i32 s7, s7, s9
	v_mov_b32_e32 v11, s16
	s_add_i32 s16, s13, 0xffffffac
	s_add_i32 s13, s13, -12
	s_add_i32 s9, s7, 0xffffffb0
	v_mov_b32_e32 v13, s16
	v_mov_b32_e32 v14, s13
	;; [unrolled: 1-line block ×3, first 2 shown]
	ds_read2_b32 v[11:12], v11 offset1:1
	ds_read_b32 v17, v13
	ds_read2_b32 v[13:14], v14 offset1:1
	ds_read2_b32 v[15:16], v15 offset1:1
	s_add_i32 s6, s11, s6
	s_waitcnt lgkmcnt(3)
	v_div_scale_f32 v18, s[16:17], v12, v12, v10
	v_div_scale_f32 v19, vcc, v10, v12, v10
	s_addk_i32 s7, 0xff60
	s_add_i32 s6, s6, -12
	s_add_i32 s4, s4, -16
	v_rcp_f32_e32 v20, v18
	v_fma_f32 v21, -v18, v20, 1.0
	v_fmac_f32_e32 v20, v21, v20
	v_mul_f32_e32 v21, v19, v20
	v_fma_f32 v22, -v18, v21, v19
	v_fmac_f32_e32 v21, v22, v20
	v_fma_f32 v18, -v18, v21, v19
	v_div_fmas_f32 v18, v18, v20, v21
	v_div_fixup_f32 v12, v18, v12, v10
	v_fma_f32 v11, -v12, v11, v9
	s_waitcnt lgkmcnt(2)
	v_div_scale_f32 v9, s[16:17], v17, v17, v11
	v_div_scale_f32 v10, vcc, v11, v17, v11
	s_waitcnt lgkmcnt(1)
	v_fma_f32 v8, -v12, v14, v8
	v_fma_f32 v7, -v12, v13, v7
	v_rcp_f32_e32 v18, v9
	v_fma_f32 v19, -v9, v18, 1.0
	v_fmac_f32_e32 v18, v19, v18
	v_mul_f32_e32 v19, v10, v18
	v_fma_f32 v20, -v9, v19, v10
	v_fmac_f32_e32 v19, v20, v18
	v_fma_f32 v9, -v9, v19, v10
	v_div_fmas_f32 v18, v9, v18, v19
	v_mov_b32_e32 v9, s7
	v_mov_b32_e32 v19, s6
	ds_read2_b32 v[9:10], v9 offset1:1
	ds_read_b32 v19, v19
	v_div_fixup_f32 v11, v18, v17, v11
	s_waitcnt lgkmcnt(2)
	v_fma_f32 v8, -v11, v16, v8
	s_waitcnt lgkmcnt(1)
	v_div_scale_f32 v14, s[6:7], v10, v10, v8
	v_div_scale_f32 v16, vcc, v8, v10, v8
	v_fma_f32 v7, -v11, v15, v7
	v_rcp_f32_e32 v17, v14
	v_fma_f32 v18, -v14, v17, 1.0
	v_fmac_f32_e32 v17, v18, v17
	v_mul_f32_e32 v18, v16, v17
	v_fma_f32 v20, -v14, v18, v16
	v_fmac_f32_e32 v18, v20, v17
	v_fma_f32 v14, -v14, v18, v16
	v_div_fmas_f32 v14, v14, v17, v18
	v_div_fixup_f32 v8, v14, v10, v8
	v_fma_f32 v7, -v8, v9, v7
	s_waitcnt lgkmcnt(0)
	v_div_scale_f32 v9, s[6:7], v19, v19, v7
	v_div_scale_f32 v10, vcc, v7, v19, v7
	s_add_i32 s6, s5, -4
	ds_write_b32 v2, v12
	ds_write_b32 v4, v11
	;; [unrolled: 1-line block ×3, first 2 shown]
	s_cmp_lt_i32 s5, 7
	v_rcp_f32_e32 v13, v9
	v_fma_f32 v14, -v9, v13, 1.0
	v_fmac_f32_e32 v13, v14, v13
	v_mul_f32_e32 v14, v10, v13
	v_fma_f32 v15, -v9, v14, v10
	v_fmac_f32_e32 v14, v15, v13
	v_fma_f32 v9, -v9, v14, v10
	v_div_fmas_f32 v9, v9, v13, v14
	v_div_fixup_f32 v2, v9, v19, v7
	ds_write_b32 v6, v2
	s_cbranch_scc1 .LBB25_31
; %bb.30:                               ;   in Loop: Header=BB25_27 Depth=1
	s_mov_b32 s5, s6
	s_branch .LBB25_27
.LBB25_31:
	s_cmp_lt_i32 s6, 0
	s_cbranch_scc1 .LBB25_44
; %bb.32:
	s_bitcmp1_b32 s6, 0
	s_cselect_b64 s[4:5], -1, 0
	s_and_b64 vcc, exec, s[4:5]
	s_mov_b32 s4, s6
	s_cbranch_vccnz .LBB25_37
; %bb.33:
	s_mul_i32 s4, s6, 0x50
	v_add_u32_e32 v1, s4, v3
	ds_read_b32 v2, v1
	s_cmp_le_i32 s8, s6
	s_cbranch_scc1 .LBB25_36
; %bb.34:
	s_mul_i32 s7, s18, 0x50
	s_lshl_b32 s5, s6, 2
	s_add_i32 s5, s7, s5
	v_lshl_add_u32 v4, v0, 2, s7
	s_addk_i32 s5, 0xffb0
	v_add_u32_e32 v4, 0x5f0, v4
	s_mov_b32 s7, s8
.LBB25_35:                              ; =>This Inner Loop Header: Depth=1
	v_mov_b32_e32 v6, s5
	ds_read_b32 v5, v4
	ds_read_b32 v6, v6
	s_add_i32 s7, s7, -1
	s_addk_i32 s5, 0xffb0
	v_add_u32_e32 v4, 0xffffffb0, v4
	s_cmp_gt_u32 s7, s6
	s_waitcnt lgkmcnt(0)
	v_fma_f32 v2, -v5, v6, v2
	s_cbranch_scc1 .LBB25_35
.LBB25_36:
	s_lshl_b32 s5, s6, 2
	s_add_i32 s4, s5, s4
	v_mov_b32_e32 v4, s4
	ds_read_b32 v4, v4
	s_waitcnt lgkmcnt(0)
	v_div_scale_f32 v5, s[4:5], v4, v4, v2
	v_div_scale_f32 v6, vcc, v2, v4, v2
	s_add_i32 s4, s6, -1
	v_rcp_f32_e32 v7, v5
	v_fma_f32 v8, -v5, v7, 1.0
	v_fmac_f32_e32 v7, v8, v7
	v_mul_f32_e32 v8, v6, v7
	v_fma_f32 v9, -v5, v8, v6
	v_fmac_f32_e32 v8, v9, v7
	v_fma_f32 v5, -v5, v8, v6
	v_div_fmas_f32 v5, v5, v7, v8
	v_div_fixup_f32 v2, v5, v4, v2
	ds_write_b32 v1, v2
.LBB25_37:
	s_cmp_eq_u32 s6, 0
	s_cbranch_scc1 .LBB25_44
; %bb.38:
	s_mul_i32 s6, s18, 0x50
	s_lshl_b32 s5, s4, 2
	s_add_i32 s7, s6, s5
	v_lshl_add_u32 v1, v0, 2, s6
	s_add_i32 s5, s7, 0xffffffb0
	v_add_u32_e32 v1, 0x5f0, v1
	s_add_i32 s6, s7, 0xffffffac
	s_branch .LBB25_40
.LBB25_39:                              ;   in Loop: Header=BB25_40 Depth=1
	s_mul_i32 s11, s9, 0x50
	s_add_i32 s7, s7, s11
	s_add_i32 s7, s7, -4
	v_mov_b32_e32 v4, s7
	ds_read_b32 v4, v4
	s_add_i32 s4, s4, -2
	s_add_i32 s5, s5, -8
	;; [unrolled: 1-line block ×3, first 2 shown]
	s_cmp_eq_u32 s9, 0
	s_waitcnt lgkmcnt(0)
	v_div_scale_f32 v6, s[16:17], v4, v4, v5
	v_div_scale_f32 v7, vcc, v5, v4, v5
	v_rcp_f32_e32 v8, v6
	v_fma_f32 v9, -v6, v8, 1.0
	v_fmac_f32_e32 v8, v9, v8
	v_mul_f32_e32 v9, v7, v8
	v_fma_f32 v10, -v6, v9, v7
	v_fmac_f32_e32 v9, v10, v8
	v_fma_f32 v6, -v6, v9, v7
	v_div_fmas_f32 v6, v6, v8, v9
	v_div_fixup_f32 v4, v6, v4, v5
	ds_write_b32 v2, v4
	s_cbranch_scc1 .LBB25_44
.LBB25_40:                              ; =>This Loop Header: Depth=1
                                        ;     Child Loop BB25_41 Depth 2
                                        ;     Child Loop BB25_43 Depth 2
	s_mul_i32 s9, s4, 0x50
	v_add_u32_e32 v4, s9, v3
	ds_read_b32 v6, v4
	s_cmp_le_i32 s8, s4
	v_mov_b32_e32 v2, v1
	s_mov_b32 s7, s5
	s_mov_b32 s11, s8
	s_cbranch_scc1 .LBB25_42
.LBB25_41:                              ;   Parent Loop BB25_40 Depth=1
                                        ; =>  This Inner Loop Header: Depth=2
	v_mov_b32_e32 v7, s7
	ds_read_b32 v5, v2
	ds_read_b32 v7, v7
	s_add_i32 s11, s11, -1
	s_addk_i32 s7, 0xffb0
	v_add_u32_e32 v2, 0xffffffb0, v2
	s_cmp_le_u32 s11, s4
	s_waitcnt lgkmcnt(0)
	v_fma_f32 v6, -v5, v7, v6
	s_cbranch_scc0 .LBB25_41
.LBB25_42:                              ;   in Loop: Header=BB25_40 Depth=1
	s_lshl_b32 s7, s4, 2
	s_add_i32 s11, s7, s9
	v_mov_b32_e32 v2, s11
	ds_read_b32 v8, v2
	s_addk_i32 s9, 0xffb0
	v_add_u32_e32 v2, s9, v3
	ds_read_b32 v5, v2
	s_add_i32 s9, s4, -1
	s_waitcnt lgkmcnt(1)
	v_div_scale_f32 v7, s[16:17], v8, v8, v6
	v_div_scale_f32 v9, vcc, v6, v8, v6
	s_mov_b32 s11, s6
	s_cmp_le_i32 s18, s4
	s_mov_b32 s13, s8
	v_rcp_f32_e32 v10, v7
	v_fma_f32 v11, -v7, v10, 1.0
	v_fmac_f32_e32 v10, v11, v10
	v_mul_f32_e32 v11, v9, v10
	v_fma_f32 v12, -v7, v11, v9
	v_fmac_f32_e32 v11, v12, v10
	v_fma_f32 v7, -v7, v11, v9
	v_div_fmas_f32 v9, v7, v10, v11
	v_mov_b32_e32 v7, v1
	v_div_fixup_f32 v6, v9, v8, v6
	ds_write_b32 v4, v6
	s_cbranch_scc1 .LBB25_39
.LBB25_43:                              ;   Parent Loop BB25_40 Depth=1
                                        ; =>  This Inner Loop Header: Depth=2
	v_mov_b32_e32 v6, s11
	ds_read_b32 v4, v7
	ds_read_b32 v6, v6
	s_add_i32 s13, s13, -1
	s_addk_i32 s11, 0xffb0
	v_add_u32_e32 v7, 0xffffffb0, v7
	s_cmp_gt_u32 s13, s9
	s_waitcnt lgkmcnt(0)
	v_fma_f32 v5, -v4, v6, v5
	s_cbranch_scc1 .LBB25_43
	s_branch .LBB25_39
.LBB25_44:
	s_mov_b64 s[6:7], 0
.LBB25_45:
	s_andn2_b64 vcc, exec, s[6:7]
	s_cbranch_vccnz .LBB25_65
; %bb.46:
	s_andn2_b64 vcc, exec, s[2:3]
	s_mov_b32 s4, s8
	s_cbranch_vccnz .LBB25_52
; %bb.47:
	s_mul_i32 s2, s18, 0x50
	v_lshl_add_u32 v1, v0, 2, s2
	s_mul_i32 s2, s18, 0x54
	v_add_u32_e32 v1, 0x5f0, v1
	s_addk_i32 s2, 0xfebc
	s_mov_b32 s3, s8
.LBB25_48:                              ; =>This Loop Header: Depth=1
                                        ;     Child Loop BB25_49 Depth 2
	s_mul_i32 s4, s3, 20
	v_lshl_add_u32 v2, s4, 2, v3
	v_add_u32_e32 v4, 0xffffffb0, v2
	v_add_u32_e32 v6, 0xffffff60, v2
	;; [unrolled: 1-line block ×3, first 2 shown]
	ds_read_b32 v10, v2
	ds_read_b32 v9, v4
	;; [unrolled: 1-line block ×4, first 2 shown]
	s_cmp_le_i32 s8, s3
	s_mov_b32 s5, s2
	v_mov_b32_e32 v11, v1
	s_mov_b32 s6, s8
	s_cbranch_scc1 .LBB25_50
.LBB25_49:                              ;   Parent Loop BB25_48 Depth=1
                                        ; =>  This Inner Loop Header: Depth=2
	v_mov_b32_e32 v14, s5
	ds_read_b32 v16, v11
	ds_read2_b32 v[12:13], v14 offset0:40 offset1:60
	ds_read2_b32 v[14:15], v14 offset1:20
	s_add_i32 s6, s6, -1
	s_add_i32 s5, s5, -4
	v_add_u32_e32 v11, 0xffffffb0, v11
	s_cmp_le_i32 s6, s3
	s_waitcnt lgkmcnt(1)
	v_fma_f32 v10, -v16, v13, v10
	v_fma_f32 v9, -v16, v12, v9
	s_waitcnt lgkmcnt(0)
	v_fma_f32 v8, -v16, v15, v8
	v_fma_f32 v7, -v16, v14, v7
	s_cbranch_scc0 .LBB25_49
.LBB25_50:                              ;   in Loop: Header=BB25_48 Depth=1
	s_mul_i32 s5, s3, 0x54
	s_lshl_b32 s4, s4, 2
	v_mov_b32_e32 v11, s5
	s_lshl_b32 s5, s3, 2
	s_add_i32 s6, s4, s5
	s_add_i32 s4, s6, 0xffffffac
	v_mov_b32_e32 v12, s4
	s_add_i32 s4, s6, 0xffffff60
	v_mov_b32_e32 v13, s4
	;; [unrolled: 2-line block ×3, first 2 shown]
	ds_read_b32 v15, v11
	ds_read2_b32 v[11:12], v12 offset1:1
	ds_read_b32 v16, v13
	ds_read2_b32 v[13:14], v14 offset1:1
	s_addk_i32 s2, 0xfec0
	s_waitcnt lgkmcnt(3)
	v_div_scale_f32 v17, s[4:5], v15, v15, v10
	v_div_scale_f32 v18, vcc, v10, v15, v10
	v_rcp_f32_e32 v19, v17
	v_fma_f32 v20, -v17, v19, 1.0
	v_fmac_f32_e32 v19, v20, v19
	v_mul_f32_e32 v20, v18, v19
	v_fma_f32 v21, -v17, v20, v18
	v_fmac_f32_e32 v20, v21, v19
	v_fma_f32 v17, -v17, v20, v18
	v_div_fmas_f32 v17, v17, v19, v20
	v_div_fixup_f32 v15, v17, v15, v10
	s_waitcnt lgkmcnt(2)
	v_fma_f32 v9, -v15, v12, v9
	v_div_scale_f32 v10, s[4:5], v11, v11, v9
	v_div_scale_f32 v12, vcc, v9, v11, v9
	s_waitcnt lgkmcnt(1)
	v_fma_f32 v8, -v15, v16, v8
	v_rcp_f32_e32 v17, v10
	v_fma_f32 v18, -v10, v17, 1.0
	v_fmac_f32_e32 v17, v18, v17
	v_mul_f32_e32 v18, v12, v17
	v_fma_f32 v19, -v10, v18, v12
	v_fmac_f32_e32 v18, v19, v17
	v_fma_f32 v10, -v10, v18, v12
	v_div_fmas_f32 v10, v10, v17, v18
	v_div_fixup_f32 v12, v10, v11, v9
	s_waitcnt lgkmcnt(0)
	v_fma_f32 v14, -v12, v14, v8
	v_div_scale_f32 v8, s[4:5], v13, v13, v14
	v_div_scale_f32 v9, vcc, v14, v13, v14
	s_add_i32 s4, s6, 0xffffff0c
	v_rcp_f32_e32 v10, v8
	v_fma_f32 v11, -v8, v10, 1.0
	v_fmac_f32_e32 v10, v11, v10
	v_mul_f32_e32 v11, v9, v10
	v_fma_f32 v16, -v8, v11, v9
	v_fmac_f32_e32 v11, v16, v10
	v_fma_f32 v8, -v8, v11, v9
	v_div_fmas_f32 v16, v8, v10, v11
	v_mov_b32_e32 v8, s4
	ds_read2_b32 v[8:9], v8 offset1:1
	s_add_i32 s4, s6, 0xffffff04
	v_mov_b32_e32 v10, s4
	ds_read2_b32 v[10:11], v10 offset1:1
	s_waitcnt lgkmcnt(1)
	v_fma_f32 v7, -v15, v9, v7
	v_fma_f32 v7, -v12, v8, v7
	v_div_fixup_f32 v8, v16, v13, v14
	s_waitcnt lgkmcnt(0)
	v_fma_f32 v7, -v8, v11, v7
	v_div_scale_f32 v9, s[4:5], v10, v10, v7
	v_div_scale_f32 v11, vcc, v7, v10, v7
	s_add_i32 s4, s3, -4
	ds_write_b32 v2, v15
	ds_write_b32 v4, v12
	;; [unrolled: 1-line block ×3, first 2 shown]
	s_cmp_lt_i32 s3, 7
	v_rcp_f32_e32 v13, v9
	v_fma_f32 v14, -v9, v13, 1.0
	v_fmac_f32_e32 v13, v14, v13
	v_mul_f32_e32 v14, v11, v13
	v_fma_f32 v16, -v9, v14, v11
	v_fmac_f32_e32 v14, v16, v13
	v_fma_f32 v9, -v9, v14, v11
	v_div_fmas_f32 v9, v9, v13, v14
	v_div_fixup_f32 v2, v9, v10, v7
	ds_write_b32 v5, v2
	s_cbranch_scc1 .LBB25_52
; %bb.51:                               ;   in Loop: Header=BB25_48 Depth=1
	s_mov_b32 s3, s4
	s_branch .LBB25_48
.LBB25_52:
	s_cmp_lt_i32 s4, 0
	s_cbranch_scc1 .LBB25_65
; %bb.53:
	s_bitcmp1_b32 s4, 0
	s_cselect_b64 s[2:3], -1, 0
	s_and_b64 vcc, exec, s[2:3]
	s_mov_b32 s2, s4
	s_cbranch_vccnz .LBB25_58
; %bb.54:
	s_mul_i32 s2, s4, 0x50
	v_add_u32_e32 v1, s2, v3
	ds_read_b32 v2, v1
	s_cmp_le_i32 s8, s4
	s_cbranch_scc1 .LBB25_57
; %bb.55:
	s_lshl_b32 s3, s18, 2
	s_add_i32 s2, s2, s3
	s_mul_i32 s3, s18, 0x50
	v_lshl_add_u32 v4, v0, 2, s3
	s_add_i32 s2, s2, -4
	v_add_u32_e32 v4, 0x5f0, v4
	s_mov_b32 s3, s8
.LBB25_56:                              ; =>This Inner Loop Header: Depth=1
	v_mov_b32_e32 v6, s2
	ds_read_b32 v5, v4
	ds_read_b32 v6, v6
	s_add_i32 s3, s3, -1
	s_add_i32 s2, s2, -4
	v_add_u32_e32 v4, 0xffffffb0, v4
	s_cmp_gt_u32 s3, s4
	s_waitcnt lgkmcnt(0)
	v_fma_f32 v2, -v5, v6, v2
	s_cbranch_scc1 .LBB25_56
.LBB25_57:
	s_mul_i32 s2, s4, 0x54
	v_mov_b32_e32 v4, s2
	ds_read_b32 v4, v4
	s_waitcnt lgkmcnt(0)
	v_div_scale_f32 v5, s[2:3], v4, v4, v2
	v_div_scale_f32 v6, vcc, v2, v4, v2
	s_add_i32 s2, s4, -1
	v_rcp_f32_e32 v7, v5
	v_fma_f32 v8, -v5, v7, 1.0
	v_fmac_f32_e32 v7, v8, v7
	v_mul_f32_e32 v8, v6, v7
	v_fma_f32 v9, -v5, v8, v6
	v_fmac_f32_e32 v8, v9, v7
	v_fma_f32 v5, -v5, v8, v6
	v_div_fmas_f32 v5, v5, v7, v8
	v_div_fixup_f32 v2, v5, v4, v2
	ds_write_b32 v1, v2
.LBB25_58:
	s_cmp_eq_u32 s4, 0
	s_cbranch_scc1 .LBB25_65
; %bb.59:
	s_mul_i32 s3, s18, 0x50
	v_lshl_add_u32 v1, v0, 2, s3
	s_mul_i32 s3, s2, 0x50
	s_lshl_b32 s4, s18, 2
	s_add_i32 s4, s3, s4
	v_add_u32_e32 v1, 0x5f0, v1
	s_add_i32 s3, s4, -4
	s_addk_i32 s4, 0xffac
	s_branch .LBB25_61
.LBB25_60:                              ;   in Loop: Header=BB25_61 Depth=1
	s_addk_i32 s5, 0xffac
	v_mov_b32_e32 v4, s5
	ds_read_b32 v4, v4
	s_add_i32 s2, s2, -2
	s_addk_i32 s3, 0xff60
	s_addk_i32 s4, 0xff60
	s_cmp_eq_u32 s6, 0
	s_waitcnt lgkmcnt(0)
	v_div_scale_f32 v6, s[16:17], v4, v4, v5
	v_div_scale_f32 v7, vcc, v5, v4, v5
	v_rcp_f32_e32 v8, v6
	v_fma_f32 v9, -v6, v8, 1.0
	v_fmac_f32_e32 v8, v9, v8
	v_mul_f32_e32 v9, v7, v8
	v_fma_f32 v10, -v6, v9, v7
	v_fmac_f32_e32 v9, v10, v8
	v_fma_f32 v6, -v6, v9, v7
	v_div_fmas_f32 v6, v6, v8, v9
	v_div_fixup_f32 v4, v6, v4, v5
	ds_write_b32 v2, v4
	s_cbranch_scc1 .LBB25_65
.LBB25_61:                              ; =>This Loop Header: Depth=1
                                        ;     Child Loop BB25_62 Depth 2
                                        ;     Child Loop BB25_64 Depth 2
	s_mul_i32 s5, s2, 0x50
	v_add_u32_e32 v4, s5, v3
	ds_read_b32 v6, v4
	s_cmp_le_i32 s8, s2
	s_mov_b32 s5, s3
	v_mov_b32_e32 v2, v1
	s_mov_b32 s6, s8
	s_cbranch_scc1 .LBB25_63
.LBB25_62:                              ;   Parent Loop BB25_61 Depth=1
                                        ; =>  This Inner Loop Header: Depth=2
	v_mov_b32_e32 v7, s5
	ds_read_b32 v5, v2
	ds_read_b32 v7, v7
	s_add_i32 s6, s6, -1
	s_add_i32 s5, s5, -4
	v_add_u32_e32 v2, 0xffffffb0, v2
	s_cmp_le_u32 s6, s2
	s_waitcnt lgkmcnt(0)
	v_fma_f32 v6, -v5, v7, v6
	s_cbranch_scc0 .LBB25_62
.LBB25_63:                              ;   in Loop: Header=BB25_61 Depth=1
	s_mul_i32 s5, s2, 0x54
	v_mov_b32_e32 v2, s5
	ds_read_b32 v8, v2
	v_add_u32_e32 v2, 0xffffffb0, v4
	ds_read_b32 v5, v2
	s_mov_b32 s9, s8
	s_waitcnt lgkmcnt(1)
	v_div_scale_f32 v7, s[6:7], v8, v8, v6
	v_div_scale_f32 v9, vcc, v6, v8, v6
	s_add_i32 s6, s2, -1
	s_mov_b32 s7, s4
	s_cmp_le_i32 s18, s2
	v_rcp_f32_e32 v10, v7
	v_fma_f32 v11, -v7, v10, 1.0
	v_fmac_f32_e32 v10, v11, v10
	v_mul_f32_e32 v11, v9, v10
	v_fma_f32 v12, -v7, v11, v9
	v_fmac_f32_e32 v11, v12, v10
	v_fma_f32 v7, -v7, v11, v9
	v_div_fmas_f32 v9, v7, v10, v11
	v_mov_b32_e32 v7, v1
	v_div_fixup_f32 v6, v9, v8, v6
	ds_write_b32 v4, v6
	s_cbranch_scc1 .LBB25_60
.LBB25_64:                              ;   Parent Loop BB25_61 Depth=1
                                        ; =>  This Inner Loop Header: Depth=2
	v_mov_b32_e32 v6, s7
	ds_read_b32 v4, v7
	ds_read_b32 v6, v6
	s_add_i32 s9, s9, -1
	s_add_i32 s7, s7, -4
	v_add_u32_e32 v7, 0xffffffb0, v7
	s_cmp_gt_u32 s9, s6
	s_waitcnt lgkmcnt(0)
	v_fma_f32 v5, -v4, v6, v5
	s_cbranch_scc1 .LBB25_64
	s_branch .LBB25_60
.LBB25_65:
	s_mov_b64 s[6:7], 0
.LBB25_66:
	s_andn2_b64 vcc, exec, s[6:7]
	s_cbranch_vccnz .LBB25_78
; %bb.67:
	v_mov_b32_e32 v1, 0x640
	v_lshl_add_u32 v5, v0, 2, v1
	s_cmp_lt_i32 s12, 4
	s_mov_b32 s4, 0
	s_cbranch_scc1 .LBB25_73
; %bb.68:
	s_mov_b32 s2, 0
	s_mov_b32 s3, 0
.LBB25_69:                              ; =>This Loop Header: Depth=1
                                        ;     Child Loop BB25_70 Depth 2
	s_mul_i32 s4, s3, 20
	v_lshl_add_u32 v6, s4, 2, v5
	ds_read2_b32 v[3:4], v6 offset1:20
	ds_read2_b32 v[1:2], v6 offset0:40 offset1:60
	s_cmp_eq_u32 s3, 0
	s_mov_b32 s5, s2
	v_mov_b32_e32 v7, v5
	s_mov_b32 s6, s3
	s_cbranch_scc1 .LBB25_71
.LBB25_70:                              ;   Parent Loop BB25_69 Depth=1
                                        ; =>  This Inner Loop Header: Depth=2
	v_mov_b32_e32 v10, s5
	ds_read_b32 v12, v7
	ds_read2_b32 v[8:9], v10 offset1:20
	ds_read2_b32 v[10:11], v10 offset0:40 offset1:60
	s_add_i32 s6, s6, -1
	s_add_i32 s5, s5, 4
	v_add_u32_e32 v7, 0x50, v7
	s_cmp_eq_u32 s6, 0
	s_waitcnt lgkmcnt(1)
	v_fma_f32 v3, -v12, v8, v3
	v_fma_f32 v4, -v12, v9, v4
	s_waitcnt lgkmcnt(0)
	v_fma_f32 v1, -v12, v10, v1
	v_fma_f32 v2, -v12, v11, v2
	s_cbranch_scc0 .LBB25_70
.LBB25_71:                              ;   in Loop: Header=BB25_69 Depth=1
	s_mul_i32 s5, s3, 0x54
	v_mov_b32_e32 v7, s5
	ds_read_b32 v12, v7
	s_lshl_b32 s4, s4, 2
	s_lshl_b32 s5, s3, 2
	s_add_i32 s4, s4, s5
	v_mov_b32_e32 v13, s4
	s_waitcnt lgkmcnt(0)
	v_div_scale_f32 v14, s[4:5], v12, v12, v3
	v_div_scale_f32 v15, vcc, v3, v12, v3
	ds_read_b64 v[7:8], v13 offset:80
	ds_read_b96 v[9:11], v13 offset:160
	s_addk_i32 s2, 0x140
	v_rcp_f32_e32 v16, v14
	v_fma_f32 v17, -v14, v16, 1.0
	v_fmac_f32_e32 v16, v17, v16
	v_mul_f32_e32 v17, v15, v16
	v_fma_f32 v18, -v14, v17, v15
	v_fmac_f32_e32 v17, v18, v16
	v_fma_f32 v14, -v14, v17, v15
	v_div_fmas_f32 v14, v14, v16, v17
	v_div_fixup_f32 v3, v14, v12, v3
	s_waitcnt lgkmcnt(1)
	v_fma_f32 v4, -v3, v7, v4
	v_div_scale_f32 v7, s[4:5], v8, v8, v4
	v_div_scale_f32 v12, vcc, v4, v8, v4
	s_waitcnt lgkmcnt(0)
	v_fma_f32 v1, -v3, v9, v1
	v_rcp_f32_e32 v14, v7
	v_fma_f32 v15, -v7, v14, 1.0
	v_fmac_f32_e32 v14, v15, v14
	v_mul_f32_e32 v15, v12, v14
	v_fma_f32 v16, -v7, v15, v12
	v_fmac_f32_e32 v15, v16, v14
	v_fma_f32 v7, -v7, v15, v12
	v_div_fmas_f32 v7, v7, v14, v15
	v_div_fixup_f32 v4, v7, v8, v4
	v_fma_f32 v1, -v4, v10, v1
	v_div_scale_f32 v7, s[4:5], v11, v11, v1
	v_div_scale_f32 v8, vcc, v1, v11, v1
	ds_write2_b32 v6, v3, v4 offset1:20
	v_rcp_f32_e32 v9, v7
	v_fma_f32 v10, -v7, v9, 1.0
	v_fmac_f32_e32 v9, v10, v9
	v_mul_f32_e32 v10, v8, v9
	v_fma_f32 v12, -v7, v10, v8
	v_fmac_f32_e32 v10, v12, v9
	v_fma_f32 v7, -v7, v10, v8
	v_div_fmas_f32 v12, v7, v9, v10
	ds_read_b128 v[7:10], v13 offset:240
	s_waitcnt lgkmcnt(0)
	v_fma_f32 v2, -v3, v7, v2
	v_fma_f32 v2, -v4, v8, v2
	v_div_fixup_f32 v1, v12, v11, v1
	v_fma_f32 v2, -v1, v9, v2
	v_div_scale_f32 v7, s[4:5], v10, v10, v2
	v_div_scale_f32 v8, vcc, v2, v10, v2
	s_add_i32 s4, s3, 4
	s_add_i32 s3, s3, 7
	s_cmp_ge_i32 s3, s18
	v_rcp_f32_e32 v9, v7
	v_fma_f32 v11, -v7, v9, 1.0
	v_fmac_f32_e32 v9, v11, v9
	v_mul_f32_e32 v11, v8, v9
	v_fma_f32 v12, -v7, v11, v8
	v_fmac_f32_e32 v11, v12, v9
	v_fma_f32 v7, -v7, v11, v8
	v_div_fmas_f32 v7, v7, v9, v11
	v_div_fixup_f32 v2, v7, v10, v2
	ds_write2_b32 v6, v1, v2 offset0:40 offset1:60
	s_cbranch_scc1 .LBB25_73
; %bb.72:                               ;   in Loop: Header=BB25_69 Depth=1
	s_mov_b32 s3, s4
	s_branch .LBB25_69
.LBB25_73:
	s_cmp_ge_i32 s4, s18
	s_cbranch_scc1 .LBB25_78
; %bb.74:
	v_mov_b32_e32 v1, 0x640
	v_lshl_add_u32 v1, v0, 2, v1
	s_mul_i32 s2, s4, 0x50
	s_branch .LBB25_76
.LBB25_75:                              ;   in Loop: Header=BB25_76 Depth=1
	s_mul_i32 s3, s4, 0x54
	v_mov_b32_e32 v4, s3
	ds_read_b32 v4, v4
	s_add_i32 s4, s4, 1
	s_addk_i32 s2, 0x50
	s_cmp_ge_i32 s4, s18
	s_waitcnt lgkmcnt(0)
	v_div_scale_f32 v6, s[6:7], v4, v4, v3
	v_div_scale_f32 v7, vcc, v3, v4, v3
	v_rcp_f32_e32 v8, v6
	v_fma_f32 v9, -v6, v8, 1.0
	v_fmac_f32_e32 v8, v9, v8
	v_mul_f32_e32 v9, v7, v8
	v_fma_f32 v10, -v6, v9, v7
	v_fmac_f32_e32 v9, v10, v8
	v_fma_f32 v6, -v6, v9, v7
	v_div_fmas_f32 v6, v6, v8, v9
	v_div_fixup_f32 v3, v6, v4, v3
	ds_write_b32 v2, v3
	s_cbranch_scc1 .LBB25_78
.LBB25_76:                              ; =>This Loop Header: Depth=1
                                        ;     Child Loop BB25_77 Depth 2
	s_mul_i32 s3, s4, 0x50
	v_add_u32_e32 v2, s3, v5
	ds_read_b32 v3, v2
	s_cmp_eq_u32 s4, 0
	s_mov_b32 s3, s2
	v_mov_b32_e32 v4, v1
	s_mov_b32 s5, s4
	s_cbranch_scc1 .LBB25_75
.LBB25_77:                              ;   Parent Loop BB25_76 Depth=1
                                        ; =>  This Inner Loop Header: Depth=2
	v_mov_b32_e32 v7, s3
	ds_read_b32 v6, v4
	ds_read_b32 v7, v7
	s_add_i32 s5, s5, -1
	s_add_i32 s3, s3, 4
	v_add_u32_e32 v4, 0x50, v4
	s_cmp_eq_u32 s5, 0
	s_waitcnt lgkmcnt(0)
	v_fma_f32 v3, -v6, v7, v3
	s_cbranch_scc0 .LBB25_77
	s_branch .LBB25_75
.LBB25_78:
	s_and_saveexec_b64 s[2:3], s[0:1]
	s_cbranch_execz .LBB25_82
; %bb.79:
	s_cmp_lt_i32 s12, 1
	s_cbranch_scc1 .LBB25_82
; %bb.80:
	s_ashr_i32 s11, s10, 31
	v_lshlrev_b32_e32 v2, 2, v0
	v_mov_b32_e32 v1, s15
	v_add_co_u32_e32 v0, vcc, s14, v2
	s_lshl_b64 s[0:1], s[10:11], 2
	v_addc_co_u32_e32 v1, vcc, 0, v1, vcc
	v_add_u32_e32 v2, 0x640, v2
	v_mov_b32_e32 v3, s1
.LBB25_81:                              ; =>This Inner Loop Header: Depth=1
	ds_read_b32 v4, v2
	s_add_i32 s12, s12, -1
	v_add_u32_e32 v2, 0x50, v2
	s_cmp_lg_u32 s12, 0
	s_waitcnt lgkmcnt(0)
	global_store_dword v[0:1], v4, off
	v_add_co_u32_e32 v0, vcc, s0, v0
	v_addc_co_u32_e32 v1, vcc, v1, v3, vcc
	s_cbranch_scc1 .LBB25_81
.LBB25_82:
	s_endpgm
	.section	.rodata,"a",@progbits
	.p2align	6, 0x0
	.amdhsa_kernel _ZL31rocblas_trsm_small_right_deviceIffPKfPfLi20EEv13rocblas_fill_18rocblas_operation_17rocblas_diagonal_iiT0_T1_lilT2_lili
		.amdhsa_group_segment_fixed_size 3200
		.amdhsa_private_segment_fixed_size 0
		.amdhsa_kernarg_size 352
		.amdhsa_user_sgpr_count 6
		.amdhsa_user_sgpr_private_segment_buffer 1
		.amdhsa_user_sgpr_dispatch_ptr 0
		.amdhsa_user_sgpr_queue_ptr 0
		.amdhsa_user_sgpr_kernarg_segment_ptr 1
		.amdhsa_user_sgpr_dispatch_id 0
		.amdhsa_user_sgpr_flat_scratch_init 0
		.amdhsa_user_sgpr_private_segment_size 0
		.amdhsa_uses_dynamic_stack 0
		.amdhsa_system_sgpr_private_segment_wavefront_offset 0
		.amdhsa_system_sgpr_workgroup_id_x 1
		.amdhsa_system_sgpr_workgroup_id_y 0
		.amdhsa_system_sgpr_workgroup_id_z 1
		.amdhsa_system_sgpr_workgroup_info 0
		.amdhsa_system_vgpr_workitem_id 0
		.amdhsa_next_free_vgpr 41
		.amdhsa_next_free_sgpr 98
		.amdhsa_reserve_vcc 1
		.amdhsa_reserve_flat_scratch 0
		.amdhsa_float_round_mode_32 0
		.amdhsa_float_round_mode_16_64 0
		.amdhsa_float_denorm_mode_32 3
		.amdhsa_float_denorm_mode_16_64 3
		.amdhsa_dx10_clamp 1
		.amdhsa_ieee_mode 1
		.amdhsa_fp16_overflow 0
		.amdhsa_exception_fp_ieee_invalid_op 0
		.amdhsa_exception_fp_denorm_src 0
		.amdhsa_exception_fp_ieee_div_zero 0
		.amdhsa_exception_fp_ieee_overflow 0
		.amdhsa_exception_fp_ieee_underflow 0
		.amdhsa_exception_fp_ieee_inexact 0
		.amdhsa_exception_int_div_zero 0
	.end_amdhsa_kernel
	.section	.text._ZL31rocblas_trsm_small_right_deviceIffPKfPfLi20EEv13rocblas_fill_18rocblas_operation_17rocblas_diagonal_iiT0_T1_lilT2_lili,"axG",@progbits,_ZL31rocblas_trsm_small_right_deviceIffPKfPfLi20EEv13rocblas_fill_18rocblas_operation_17rocblas_diagonal_iiT0_T1_lilT2_lili,comdat
.Lfunc_end25:
	.size	_ZL31rocblas_trsm_small_right_deviceIffPKfPfLi20EEv13rocblas_fill_18rocblas_operation_17rocblas_diagonal_iiT0_T1_lilT2_lili, .Lfunc_end25-_ZL31rocblas_trsm_small_right_deviceIffPKfPfLi20EEv13rocblas_fill_18rocblas_operation_17rocblas_diagonal_iiT0_T1_lilT2_lili
                                        ; -- End function
	.set _ZL31rocblas_trsm_small_right_deviceIffPKfPfLi20EEv13rocblas_fill_18rocblas_operation_17rocblas_diagonal_iiT0_T1_lilT2_lili.num_vgpr, 23
	.set _ZL31rocblas_trsm_small_right_deviceIffPKfPfLi20EEv13rocblas_fill_18rocblas_operation_17rocblas_diagonal_iiT0_T1_lilT2_lili.num_agpr, 0
	.set _ZL31rocblas_trsm_small_right_deviceIffPKfPfLi20EEv13rocblas_fill_18rocblas_operation_17rocblas_diagonal_iiT0_T1_lilT2_lili.numbered_sgpr, 26
	.set _ZL31rocblas_trsm_small_right_deviceIffPKfPfLi20EEv13rocblas_fill_18rocblas_operation_17rocblas_diagonal_iiT0_T1_lilT2_lili.num_named_barrier, 0
	.set _ZL31rocblas_trsm_small_right_deviceIffPKfPfLi20EEv13rocblas_fill_18rocblas_operation_17rocblas_diagonal_iiT0_T1_lilT2_lili.private_seg_size, 0
	.set _ZL31rocblas_trsm_small_right_deviceIffPKfPfLi20EEv13rocblas_fill_18rocblas_operation_17rocblas_diagonal_iiT0_T1_lilT2_lili.uses_vcc, 1
	.set _ZL31rocblas_trsm_small_right_deviceIffPKfPfLi20EEv13rocblas_fill_18rocblas_operation_17rocblas_diagonal_iiT0_T1_lilT2_lili.uses_flat_scratch, 0
	.set _ZL31rocblas_trsm_small_right_deviceIffPKfPfLi20EEv13rocblas_fill_18rocblas_operation_17rocblas_diagonal_iiT0_T1_lilT2_lili.has_dyn_sized_stack, 0
	.set _ZL31rocblas_trsm_small_right_deviceIffPKfPfLi20EEv13rocblas_fill_18rocblas_operation_17rocblas_diagonal_iiT0_T1_lilT2_lili.has_recursion, 0
	.set _ZL31rocblas_trsm_small_right_deviceIffPKfPfLi20EEv13rocblas_fill_18rocblas_operation_17rocblas_diagonal_iiT0_T1_lilT2_lili.has_indirect_call, 0
	.section	.AMDGPU.csdata,"",@progbits
; Kernel info:
; codeLenInByte = 5564
; TotalNumSgprs: 30
; NumVgprs: 23
; ScratchSize: 0
; MemoryBound: 0
; FloatMode: 240
; IeeeMode: 1
; LDSByteSize: 3200 bytes/workgroup (compile time only)
; SGPRBlocks: 12
; VGPRBlocks: 10
; NumSGPRsForWavesPerEU: 102
; NumVGPRsForWavesPerEU: 41
; Occupancy: 5
; WaveLimiterHint : 0
; COMPUTE_PGM_RSRC2:SCRATCH_EN: 0
; COMPUTE_PGM_RSRC2:USER_SGPR: 6
; COMPUTE_PGM_RSRC2:TRAP_HANDLER: 0
; COMPUTE_PGM_RSRC2:TGID_X_EN: 1
; COMPUTE_PGM_RSRC2:TGID_Y_EN: 0
; COMPUTE_PGM_RSRC2:TGID_Z_EN: 1
; COMPUTE_PGM_RSRC2:TIDIG_COMP_CNT: 0
	.section	.text._ZL38rocblas_trsm_small_left_device_sharedBILi24ELi24ELb0EffPKfPfEv13rocblas_fill_18rocblas_operation_17rocblas_diagonal_iiT3_T4_lilT5_lili,"axG",@progbits,_ZL38rocblas_trsm_small_left_device_sharedBILi24ELi24ELb0EffPKfPfEv13rocblas_fill_18rocblas_operation_17rocblas_diagonal_iiT3_T4_lilT5_lili,comdat
	.globl	_ZL38rocblas_trsm_small_left_device_sharedBILi24ELi24ELb0EffPKfPfEv13rocblas_fill_18rocblas_operation_17rocblas_diagonal_iiT3_T4_lilT5_lili ; -- Begin function _ZL38rocblas_trsm_small_left_device_sharedBILi24ELi24ELb0EffPKfPfEv13rocblas_fill_18rocblas_operation_17rocblas_diagonal_iiT3_T4_lilT5_lili
	.p2align	8
	.type	_ZL38rocblas_trsm_small_left_device_sharedBILi24ELi24ELb0EffPKfPfEv13rocblas_fill_18rocblas_operation_17rocblas_diagonal_iiT3_T4_lilT5_lili,@function
_ZL38rocblas_trsm_small_left_device_sharedBILi24ELi24ELb0EffPKfPfEv13rocblas_fill_18rocblas_operation_17rocblas_diagonal_iiT3_T4_lilT5_lili: ; @_ZL38rocblas_trsm_small_left_device_sharedBILi24ELi24ELb0EffPKfPfEv13rocblas_fill_18rocblas_operation_17rocblas_diagonal_iiT3_T4_lilT5_lili
; %bb.0:
	s_load_dwordx4 s[8:11], s[4:5], 0x4
	s_load_dword s17, s[4:5], 0x14
	s_load_dwordx4 s[0:3], s[4:5], 0x30
	s_load_dwordx2 s[12:13], s[4:5], 0x40
	s_waitcnt lgkmcnt(0)
	s_min_i32 s16, s10, 24
	v_cmp_gt_i32_e32 vcc, s16, v0
	s_and_saveexec_b64 s[14:15], vcc
	s_cbranch_execz .LBB26_6
; %bb.1:
	s_load_dword s18, s[4:5], 0x28
	s_load_dwordx4 s[20:23], s[4:5], 0x18
	s_mul_i32 s1, s1, s7
	s_mul_hi_u32 s19, s0, s7
	s_add_i32 s1, s19, s1
	s_mul_i32 s0, s0, s7
	s_waitcnt lgkmcnt(0)
	s_ashr_i32 s19, s18, 31
	s_lshl_b64 s[0:1], s[0:1], 2
	s_add_u32 s20, s20, s0
	s_addc_u32 s21, s21, s1
	s_lshl_b64 s[0:1], s[22:23], 2
	s_add_u32 s0, s20, s0
	s_addc_u32 s1, s21, s1
	v_lshlrev_b32_e32 v3, 2, v0
	v_mov_b32_e32 v2, s1
	v_add_co_u32_e32 v1, vcc, s0, v3
	s_lshl_b64 s[0:1], s[18:19], 2
	v_addc_co_u32_e32 v2, vcc, 0, v2, vcc
	v_mov_b32_e32 v4, s1
	v_mov_b32_e32 v5, v3
	s_mov_b32 s1, s16
.LBB26_2:                               ; =>This Inner Loop Header: Depth=1
	global_load_dword v6, v[1:2], off
	v_add_co_u32_e32 v1, vcc, s0, v1
	s_add_i32 s1, s1, -1
	v_addc_co_u32_e32 v2, vcc, v2, v4, vcc
	s_cmp_eq_u32 s1, 0
	s_waitcnt vmcnt(0)
	ds_write_b32 v5, v6
	v_add_u32_e32 v5, 0x60, v5
	s_cbranch_scc0 .LBB26_2
; %bb.3:
	v_mul_u32_u24_e32 v1, 0x60, v0
	s_cmpk_lg_i32 s9, 0x84
	v_mov_b32_e32 v2, 1.0
	v_add_u32_e32 v1, v3, v1
	s_cbranch_scc0 .LBB26_5
; %bb.4:
	ds_read_b32 v2, v1
	s_waitcnt lgkmcnt(0)
	v_div_scale_f32 v3, s[0:1], v2, v2, 1.0
	v_div_scale_f32 v4, vcc, 1.0, v2, 1.0
	v_rcp_f32_e32 v5, v3
	v_fma_f32 v6, -v3, v5, 1.0
	v_fmac_f32_e32 v5, v6, v5
	v_mul_f32_e32 v6, v4, v5
	v_fma_f32 v7, -v3, v6, v4
	v_fmac_f32_e32 v6, v7, v5
	v_fma_f32 v3, -v3, v6, v4
	v_div_fmas_f32 v3, v3, v5, v6
	v_div_fixup_f32 v2, v3, v2, 1.0
.LBB26_5:
	ds_write_b32 v1, v2
.LBB26_6:
	s_or_b64 exec, exec, s[14:15]
	s_load_dword s0, s[4:5], 0x60
	s_load_dwordx2 s[14:15], s[4:5], 0x50
	s_load_dword s9, s[4:5], 0x48
	s_waitcnt lgkmcnt(0)
	s_mul_i32 s1, s15, s7
	s_mul_hi_u32 s5, s14, s7
	s_mul_i32 s4, s14, s7
	s_add_i32 s5, s5, s1
	s_lshl_b64 s[4:5], s[4:5], 2
	s_add_u32 s1, s2, s4
	s_addc_u32 s4, s3, s5
	s_lshl_b64 s[2:3], s[12:13], 2
	s_add_u32 s2, s1, s2
	s_mul_i32 s1, s6, 0xffffffe8
	s_addc_u32 s3, s4, s3
	s_add_i32 s0, s0, -1
	s_add_i32 s1, s11, s1
	s_cmp_ge_u32 s6, s0
	s_mul_i32 s6, s6, 24
	s_cselect_b32 s4, s1, 24
	s_mul_hi_i32 s1, s9, s6
	s_mul_i32 s0, s9, s6
	s_lshl_b64 s[0:1], s[0:1], 2
	s_add_u32 s6, s2, s0
	s_addc_u32 s7, s3, s1
	s_cmp_gt_i32 s10, 0
	v_cmp_gt_i32_e64 s[0:1], s4, v0
	s_cselect_b64 s[2:3], -1, 0
	s_and_b64 s[12:13], s[0:1], s[2:3]
	s_and_saveexec_b64 s[4:5], s[12:13]
	s_cbranch_execz .LBB26_9
; %bb.7:
	v_mad_i64_i32 v[1:2], s[12:13], s9, v0, 0
	v_mov_b32_e32 v3, s7
	s_mov_b32 s11, s16
	v_lshlrev_b64 v[1:2], 2, v[1:2]
	v_add_co_u32_e32 v1, vcc, s6, v1
	v_addc_co_u32_e32 v2, vcc, v3, v2, vcc
	v_mov_b32_e32 v3, 0x900
	v_lshl_or_b32 v3, v0, 2, v3
.LBB26_8:                               ; =>This Inner Loop Header: Depth=1
	global_load_dword v4, v[1:2], off
	s_add_i32 s11, s11, -1
	v_add_co_u32_e32 v1, vcc, 4, v1
	v_addc_co_u32_e32 v2, vcc, 0, v2, vcc
	s_cmp_lg_u32 s11, 0
	s_waitcnt vmcnt(0)
	v_mul_f32_e32 v4, s17, v4
	ds_write_b32 v3, v4
	v_add_u32_e32 v3, 0x60, v3
	s_cbranch_scc1 .LBB26_8
.LBB26_9:
	s_or_b64 exec, exec, s[4:5]
	v_mov_b32_e32 v1, 0x900
	s_cmpk_eq_i32 s8, 0x6f
	v_lshl_or_b32 v21, v0, 2, v1
	s_mov_b64 s[4:5], -1
	s_waitcnt lgkmcnt(0)
	; wave barrier
	s_cbranch_scc1 .LBB26_24
; %bb.10:
	s_cmp_gt_i32 s10, 23
	s_cselect_b64 s[4:5], -1, 0
	s_and_b64 vcc, exec, s[4:5]
	s_cbranch_vccz .LBB26_12
; %bb.11:
	v_add_u32_e32 v40, 0x200, v21
	v_add_u32_e32 v10, 0x400, v21
	v_mov_b32_e32 v4, 0
	ds_read2_b32 v[11:12], v21 offset1:24
	ds_read2_b32 v[18:19], v21 offset0:48 offset1:72
	ds_read2_b32 v[22:23], v21 offset0:96 offset1:120
	;; [unrolled: 1-line block ×10, first 2 shown]
	ds_read_b32 v5, v4
	ds_read_b64 v[13:14], v4 offset:96
	v_add_u32_e32 v3, 0x800, v21
	ds_read2_b32 v[1:2], v3 offset0:16 offset1:40
	ds_read_b96 v[7:9], v4 offset:192
	s_mov_b32 s8, 24
	s_waitcnt lgkmcnt(3)
	v_mul_f32_e32 v6, v11, v5
	s_waitcnt lgkmcnt(2)
	v_fma_f32 v5, -v6, v13, v12
	v_mul_f32_e32 v5, v5, v14
	ds_read_b128 v[11:14], v4 offset:288
	s_waitcnt lgkmcnt(1)
	v_fma_f32 v7, -v6, v7, v18
	v_fma_f32 v7, -v5, v8, v7
	ds_read_b128 v[15:18], v4 offset:384
	v_mul_f32_e32 v7, v7, v9
	s_waitcnt lgkmcnt(1)
	v_fma_f32 v8, -v6, v11, v19
	v_fma_f32 v8, -v5, v12, v8
	;; [unrolled: 1-line block ×3, first 2 shown]
	v_mul_f32_e32 v8, v8, v14
	ds_write2_b32 v21, v6, v5 offset1:24
	ds_write2_b32 v21, v7, v8 offset0:48 offset1:72
	s_waitcnt lgkmcnt(2)
	v_fma_f32 v9, -v6, v15, v22
	ds_read_b32 v15, v4 offset:400
	ds_read_b128 v[11:14], v4 offset:480
	v_fma_f32 v9, -v5, v16, v9
	v_fma_f32 v9, -v7, v17, v9
	;; [unrolled: 1-line block ×3, first 2 shown]
	s_waitcnt lgkmcnt(1)
	v_mul_f32_e32 v9, v9, v15
	ds_read_b64 v[19:20], v4 offset:496
	ds_read_b128 v[15:18], v4 offset:576
	s_waitcnt lgkmcnt(2)
	v_fma_f32 v11, -v6, v11, v23
	v_fma_f32 v11, -v5, v12, v11
	;; [unrolled: 1-line block ×4, first 2 shown]
	s_waitcnt lgkmcnt(0)
	v_fma_f32 v12, -v6, v15, v24
	ds_read_b96 v[22:24], v4 offset:592
	v_fma_f32 v12, -v5, v16, v12
	ds_read_b128 v[13:16], v4 offset:672
	v_fma_f32 v11, -v9, v19, v11
	v_fma_f32 v12, -v7, v17, v12
	v_mul_f32_e32 v11, v11, v20
	v_fma_f32 v12, -v8, v18, v12
	ds_read_b128 v[17:20], v4 offset:688
	s_waitcnt lgkmcnt(1)
	v_fma_f32 v13, -v6, v13, v25
	v_fma_f32 v13, -v5, v14, v13
	;; [unrolled: 1-line block ×6, first 2 shown]
	ds_read_b128 v[13:16], v4 offset:768
	s_waitcnt lgkmcnt(1)
	v_fma_f32 v17, -v9, v17, v22
	v_mul_f32_e32 v12, v12, v24
	v_fma_f32 v17, -v11, v18, v17
	v_fma_f32 v17, -v12, v19, v17
	v_mul_f32_e32 v41, v17, v20
	ds_write2_b32 v21, v9, v11 offset0:96 offset1:120
	ds_write2_b32 v21, v12, v41 offset0:144 offset1:168
	ds_read_b128 v[17:20], v4 offset:784
	ds_read_b32 v22, v4 offset:800
	s_waitcnt lgkmcnt(4)
	v_fma_f32 v13, -v6, v13, v26
	v_fma_f32 v13, -v5, v14, v13
	;; [unrolled: 1-line block ×4, first 2 shown]
	s_waitcnt lgkmcnt(1)
	v_fma_f32 v13, -v9, v17, v13
	v_fma_f32 v17, -v11, v18, v13
	ds_read_b128 v[13:16], v4 offset:864
	v_fma_f32 v17, -v12, v19, v17
	v_fma_f32 v17, -v41, v20, v17
	s_waitcnt lgkmcnt(1)
	v_mul_f32_e32 v42, v17, v22
	ds_read_b128 v[17:20], v4 offset:880
	s_waitcnt lgkmcnt(1)
	v_fma_f32 v13, -v6, v13, v27
	v_fma_f32 v13, -v5, v14, v13
	;; [unrolled: 1-line block ×4, first 2 shown]
	s_waitcnt lgkmcnt(0)
	v_fma_f32 v13, -v9, v17, v13
	ds_read_b64 v[22:23], v4 offset:896
	v_fma_f32 v13, -v11, v18, v13
	v_fma_f32 v17, -v12, v19, v13
	ds_read_b128 v[13:16], v4 offset:960
	v_fma_f32 v17, -v41, v20, v17
	s_waitcnt lgkmcnt(1)
	v_fma_f32 v17, -v42, v22, v17
	v_mul_f32_e32 v43, v17, v23
	ds_read_b128 v[17:20], v4 offset:976
	ds_read_b96 v[22:24], v4 offset:992
	s_waitcnt lgkmcnt(2)
	v_fma_f32 v13, -v6, v13, v28
	v_fma_f32 v13, -v5, v14, v13
	;; [unrolled: 1-line block ×4, first 2 shown]
	s_waitcnt lgkmcnt(1)
	v_fma_f32 v13, -v9, v17, v13
	v_fma_f32 v13, -v11, v18, v13
	;; [unrolled: 1-line block ×4, first 2 shown]
	ds_read_b128 v[13:16], v4 offset:1056
	s_waitcnt lgkmcnt(1)
	v_fma_f32 v17, -v42, v22, v17
	v_fma_f32 v17, -v43, v23, v17
	v_mul_f32_e32 v44, v17, v24
	ds_read_b128 v[17:20], v4 offset:1072
	s_waitcnt lgkmcnt(1)
	v_fma_f32 v13, -v6, v13, v29
	v_fma_f32 v13, -v5, v14, v13
	;; [unrolled: 1-line block ×4, first 2 shown]
	s_waitcnt lgkmcnt(0)
	v_fma_f32 v17, -v9, v17, v13
	ds_read_b128 v[13:16], v4 offset:1088
	v_fma_f32 v17, -v11, v18, v17
	v_fma_f32 v17, -v12, v19, v17
	;; [unrolled: 1-line block ×3, first 2 shown]
	ds_read_b128 v[17:20], v4 offset:1152
	s_waitcnt lgkmcnt(1)
	v_fma_f32 v13, -v42, v13, v22
	v_fma_f32 v13, -v43, v14, v13
	;; [unrolled: 1-line block ×3, first 2 shown]
	v_mul_f32_e32 v45, v13, v16
	ds_write2_b32 v21, v42, v43 offset0:192 offset1:216
	ds_write2_b32 v40, v44, v45 offset0:112 offset1:136
	ds_read_b128 v[13:16], v4 offset:1168
	ds_read_b128 v[22:25], v4 offset:1184
	s_waitcnt lgkmcnt(4)
	v_fma_f32 v17, -v6, v17, v30
	v_fma_f32 v17, -v5, v18, v17
	v_fma_f32 v17, -v7, v19, v17
	v_fma_f32 v17, -v8, v20, v17
	s_waitcnt lgkmcnt(1)
	v_fma_f32 v13, -v9, v13, v17
	v_fma_f32 v13, -v11, v14, v13
	v_fma_f32 v13, -v12, v15, v13
	v_fma_f32 v13, -v41, v16, v13
	s_waitcnt lgkmcnt(0)
	v_fma_f32 v17, -v42, v22, v13
	ds_read_b32 v18, v4 offset:1200
	ds_read_b128 v[13:16], v4 offset:1248
	v_fma_f32 v17, -v43, v23, v17
	v_fma_f32 v17, -v44, v24, v17
	v_fma_f32 v17, -v45, v25, v17
	s_waitcnt lgkmcnt(1)
	v_mul_f32_e32 v30, v17, v18
	ds_read_b128 v[17:20], v4 offset:1264
	s_waitcnt lgkmcnt(1)
	v_fma_f32 v13, -v6, v13, v31
	v_fma_f32 v13, -v5, v14, v13
	v_fma_f32 v13, -v7, v15, v13
	v_fma_f32 v22, -v8, v16, v13
	ds_read_b128 v[13:16], v4 offset:1280
	s_waitcnt lgkmcnt(1)
	v_fma_f32 v17, -v9, v17, v22
	v_fma_f32 v17, -v11, v18, v17
	;; [unrolled: 1-line block ×4, first 2 shown]
	ds_read_b64 v[22:23], v4 offset:1296
	s_waitcnt lgkmcnt(1)
	v_fma_f32 v13, -v42, v13, v17
	v_fma_f32 v13, -v43, v14, v13
	ds_read_b128 v[17:20], v4 offset:1344
	v_fma_f32 v13, -v44, v15, v13
	v_fma_f32 v13, -v45, v16, v13
	s_waitcnt lgkmcnt(1)
	v_fma_f32 v13, -v30, v22, v13
	v_mul_f32_e32 v31, v13, v23
	ds_read_b128 v[13:16], v4 offset:1360
	s_waitcnt lgkmcnt(1)
	v_fma_f32 v17, -v6, v17, v32
	v_fma_f32 v17, -v5, v18, v17
	;; [unrolled: 1-line block ×4, first 2 shown]
	ds_read_b128 v[17:20], v4 offset:1376
	s_waitcnt lgkmcnt(1)
	v_fma_f32 v13, -v9, v13, v22
	v_fma_f32 v13, -v11, v14, v13
	;; [unrolled: 1-line block ×4, first 2 shown]
	ds_read_b96 v[22:24], v4 offset:1392
	s_waitcnt lgkmcnt(1)
	v_fma_f32 v13, -v42, v17, v13
	v_fma_f32 v13, -v43, v18, v13
	;; [unrolled: 1-line block ×3, first 2 shown]
	ds_read_b128 v[13:16], v4 offset:1440
	v_fma_f32 v17, -v45, v20, v17
	s_waitcnt lgkmcnt(1)
	v_fma_f32 v17, -v30, v22, v17
	v_fma_f32 v17, -v31, v23, v17
	v_mul_f32_e32 v32, v17, v24
	ds_read_b128 v[17:20], v4 offset:1456
	s_waitcnt lgkmcnt(1)
	v_fma_f32 v13, -v6, v13, v33
	v_fma_f32 v13, -v5, v14, v13
	;; [unrolled: 1-line block ×4, first 2 shown]
	ds_read_b128 v[13:16], v4 offset:1472
	s_waitcnt lgkmcnt(1)
	v_fma_f32 v17, -v9, v17, v22
	v_fma_f32 v17, -v11, v18, v17
	;; [unrolled: 1-line block ×4, first 2 shown]
	s_waitcnt lgkmcnt(0)
	v_fma_f32 v13, -v42, v13, v17
	ds_read_b128 v[17:20], v4 offset:1488
	v_fma_f32 v13, -v43, v14, v13
	v_fma_f32 v13, -v44, v15, v13
	;; [unrolled: 1-line block ×3, first 2 shown]
	ds_read_b128 v[13:16], v4 offset:1536
	s_waitcnt lgkmcnt(1)
	v_fma_f32 v17, -v30, v17, v22
	v_fma_f32 v17, -v31, v18, v17
	;; [unrolled: 1-line block ×3, first 2 shown]
	v_mul_f32_e32 v33, v17, v20
	ds_write2_b32 v10, v30, v31 offset0:32 offset1:56
	ds_write2_b32 v10, v32, v33 offset0:80 offset1:104
	s_waitcnt lgkmcnt(2)
	v_fma_f32 v13, -v6, v13, v34
	ds_read_b128 v[17:20], v4 offset:1552
	ds_read_b128 v[22:25], v4 offset:1568
	;; [unrolled: 1-line block ×3, first 2 shown]
	v_fma_f32 v13, -v5, v14, v13
	v_fma_f32 v13, -v7, v15, v13
	;; [unrolled: 1-line block ×3, first 2 shown]
	s_waitcnt lgkmcnt(2)
	v_fma_f32 v13, -v9, v17, v13
	v_fma_f32 v13, -v11, v18, v13
	;; [unrolled: 1-line block ×4, first 2 shown]
	s_waitcnt lgkmcnt(1)
	v_fma_f32 v13, -v42, v22, v13
	v_fma_f32 v13, -v43, v23, v13
	;; [unrolled: 1-line block ×4, first 2 shown]
	ds_read_b32 v17, v4 offset:1600
	s_waitcnt lgkmcnt(1)
	v_fma_f32 v13, -v30, v26, v13
	v_fma_f32 v18, -v31, v27, v13
	ds_read_b128 v[13:16], v4 offset:1632
	v_fma_f32 v18, -v32, v28, v18
	v_fma_f32 v18, -v33, v29, v18
	s_waitcnt lgkmcnt(1)
	v_mul_f32_e32 v34, v18, v17
	ds_read_b128 v[17:20], v4 offset:1648
	s_waitcnt lgkmcnt(1)
	v_fma_f32 v13, -v6, v13, v35
	v_fma_f32 v13, -v5, v14, v13
	;; [unrolled: 1-line block ×4, first 2 shown]
	s_waitcnt lgkmcnt(0)
	v_fma_f32 v17, -v9, v17, v13
	ds_read_b128 v[13:16], v4 offset:1664
	v_fma_f32 v17, -v11, v18, v17
	v_fma_f32 v17, -v12, v19, v17
	;; [unrolled: 1-line block ×3, first 2 shown]
	ds_read_b128 v[17:20], v4 offset:1680
	s_waitcnt lgkmcnt(1)
	v_fma_f32 v13, -v42, v13, v22
	v_fma_f32 v13, -v43, v14, v13
	;; [unrolled: 1-line block ×4, first 2 shown]
	s_waitcnt lgkmcnt(0)
	v_fma_f32 v13, -v30, v17, v13
	ds_read_b64 v[22:23], v4 offset:1696
	v_fma_f32 v13, -v31, v18, v13
	v_fma_f32 v17, -v32, v19, v13
	ds_read_b128 v[13:16], v4 offset:1728
	v_fma_f32 v17, -v33, v20, v17
	s_waitcnt lgkmcnt(1)
	v_fma_f32 v17, -v34, v22, v17
	v_mul_f32_e32 v35, v17, v23
	ds_read_b128 v[17:20], v4 offset:1744
	s_waitcnt lgkmcnt(1)
	v_fma_f32 v13, -v6, v13, v36
	v_fma_f32 v13, -v5, v14, v13
	;; [unrolled: 1-line block ×4, first 2 shown]
	ds_read_b128 v[13:16], v4 offset:1760
	s_waitcnt lgkmcnt(1)
	v_fma_f32 v17, -v9, v17, v22
	v_fma_f32 v17, -v11, v18, v17
	;; [unrolled: 1-line block ×4, first 2 shown]
	s_waitcnt lgkmcnt(0)
	v_fma_f32 v13, -v42, v13, v17
	ds_read_b128 v[17:20], v4 offset:1776
	ds_read_b96 v[22:24], v4 offset:1792
	v_fma_f32 v13, -v43, v14, v13
	v_fma_f32 v13, -v44, v15, v13
	;; [unrolled: 1-line block ×3, first 2 shown]
	s_waitcnt lgkmcnt(1)
	v_fma_f32 v13, -v30, v17, v13
	v_fma_f32 v13, -v31, v18, v13
	;; [unrolled: 1-line block ×4, first 2 shown]
	s_waitcnt lgkmcnt(0)
	v_fma_f32 v13, -v34, v22, v13
	v_fma_f32 v17, -v35, v23, v13
	ds_read_b128 v[13:16], v4 offset:1824
	ds_write2_b32 v10, v34, v35 offset0:128 offset1:152
	v_mul_f32_e32 v36, v17, v24
	ds_read_b128 v[17:20], v4 offset:1840
	ds_read_b128 v[22:25], v4 offset:1856
	;; [unrolled: 1-line block ×3, first 2 shown]
	s_waitcnt lgkmcnt(4)
	v_fma_f32 v13, -v6, v13, v37
	v_fma_f32 v13, -v5, v14, v13
	v_fma_f32 v13, -v7, v15, v13
	v_fma_f32 v13, -v8, v16, v13
	s_waitcnt lgkmcnt(2)
	v_fma_f32 v13, -v9, v17, v13
	v_fma_f32 v13, -v11, v18, v13
	v_fma_f32 v13, -v12, v19, v13
	v_fma_f32 v13, -v41, v20, v13
	;; [unrolled: 5-line block ×3, first 2 shown]
	s_waitcnt lgkmcnt(0)
	v_fma_f32 v17, -v30, v26, v13
	ds_read_b128 v[13:16], v4 offset:1888
	v_fma_f32 v17, -v31, v27, v17
	v_fma_f32 v17, -v32, v28, v17
	;; [unrolled: 1-line block ×3, first 2 shown]
	ds_read_b128 v[17:20], v4 offset:1920
	s_waitcnt lgkmcnt(1)
	v_fma_f32 v13, -v34, v13, v22
	v_fma_f32 v13, -v35, v14, v13
	;; [unrolled: 1-line block ×3, first 2 shown]
	v_mul_f32_e32 v37, v13, v16
	ds_read_b128 v[13:16], v4 offset:1936
	s_waitcnt lgkmcnt(1)
	v_fma_f32 v17, -v6, v17, v38
	v_fma_f32 v17, -v5, v18, v17
	;; [unrolled: 1-line block ×4, first 2 shown]
	ds_read_b128 v[17:20], v4 offset:1952
	s_waitcnt lgkmcnt(1)
	v_fma_f32 v13, -v9, v13, v22
	v_fma_f32 v13, -v11, v14, v13
	;; [unrolled: 1-line block ×4, first 2 shown]
	s_waitcnt lgkmcnt(0)
	v_fma_f32 v17, -v42, v17, v13
	ds_read_b128 v[13:16], v4 offset:1968
	v_fma_f32 v17, -v43, v18, v17
	v_fma_f32 v17, -v44, v19, v17
	;; [unrolled: 1-line block ×3, first 2 shown]
	ds_read_b128 v[17:20], v4 offset:1984
	s_waitcnt lgkmcnt(1)
	v_fma_f32 v13, -v30, v13, v22
	v_fma_f32 v13, -v31, v14, v13
	;; [unrolled: 1-line block ×3, first 2 shown]
	ds_write2_b32 v10, v36, v37 offset0:176 offset1:200
	v_fma_f32 v13, -v33, v16, v13
	s_waitcnt lgkmcnt(1)
	v_fma_f32 v17, -v34, v17, v13
	ds_read_b32 v22, v4 offset:2000
	ds_read_b128 v[13:16], v4 offset:2016
	v_fma_f32 v17, -v35, v18, v17
	v_fma_f32 v17, -v36, v19, v17
	;; [unrolled: 1-line block ×3, first 2 shown]
	s_waitcnt lgkmcnt(1)
	v_mul_f32_e32 v38, v17, v22
	ds_read_b128 v[17:20], v4 offset:2032
	s_waitcnt lgkmcnt(1)
	v_fma_f32 v13, -v6, v13, v39
	v_fma_f32 v13, -v5, v14, v13
	;; [unrolled: 1-line block ×4, first 2 shown]
	ds_read_b128 v[13:16], v4 offset:2048
	s_waitcnt lgkmcnt(1)
	v_fma_f32 v17, -v9, v17, v22
	v_fma_f32 v17, -v11, v18, v17
	v_fma_f32 v17, -v12, v19, v17
	v_fma_f32 v17, -v41, v20, v17
	s_waitcnt lgkmcnt(0)
	v_fma_f32 v13, -v42, v13, v17
	ds_read_b128 v[17:20], v4 offset:2064
	v_fma_f32 v13, -v43, v14, v13
	v_fma_f32 v13, -v44, v15, v13
	;; [unrolled: 1-line block ×3, first 2 shown]
	ds_read_b128 v[13:16], v4 offset:2080
	s_waitcnt lgkmcnt(1)
	v_fma_f32 v17, -v30, v17, v22
	v_fma_f32 v17, -v31, v18, v17
	;; [unrolled: 1-line block ×4, first 2 shown]
	s_waitcnt lgkmcnt(0)
	v_fma_f32 v13, -v34, v13, v17
	ds_read_b64 v[17:18], v4 offset:2096
	v_fma_f32 v13, -v35, v14, v13
	v_fma_f32 v13, -v36, v15, v13
	;; [unrolled: 1-line block ×3, first 2 shown]
	ds_read_b128 v[13:16], v4 offset:2112
	s_waitcnt lgkmcnt(1)
	v_fma_f32 v17, -v38, v17, v19
	v_mul_f32_e32 v39, v17, v18
	ds_write2_b32 v10, v38, v39 offset0:224 offset1:248
	ds_read_b128 v[17:20], v4 offset:2128
	ds_read_b128 v[22:25], v4 offset:2144
	;; [unrolled: 1-line block ×3, first 2 shown]
	s_waitcnt lgkmcnt(4)
	v_fma_f32 v1, -v6, v13, v1
	v_fma_f32 v1, -v5, v14, v1
	v_fma_f32 v1, -v7, v15, v1
	v_fma_f32 v1, -v8, v16, v1
	s_waitcnt lgkmcnt(2)
	v_fma_f32 v1, -v9, v17, v1
	v_fma_f32 v1, -v11, v18, v1
	v_fma_f32 v1, -v12, v19, v1
	v_fma_f32 v1, -v41, v20, v1
	;; [unrolled: 5-line block ×3, first 2 shown]
	ds_read_b128 v[13:16], v4 offset:2176
	ds_read_b96 v[22:24], v4 offset:2192
	s_waitcnt lgkmcnt(2)
	v_fma_f32 v1, -v30, v26, v1
	v_fma_f32 v1, -v31, v27, v1
	v_fma_f32 v1, -v32, v28, v1
	v_fma_f32 v1, -v33, v29, v1
	ds_read_b128 v[17:20], v4 offset:2208
	s_waitcnt lgkmcnt(2)
	v_fma_f32 v1, -v34, v13, v1
	v_fma_f32 v1, -v35, v14, v1
	v_fma_f32 v1, -v36, v15, v1
	v_fma_f32 v1, -v37, v16, v1
	ds_read_b128 v[13:16], v4 offset:2224
	;; [unrolled: 6-line block ×6, first 2 shown]
	s_waitcnt lgkmcnt(1)
	v_fma_f32 v2, -v34, v5, v2
	v_fma_f32 v2, -v35, v6, v2
	;; [unrolled: 1-line block ×6, first 2 shown]
	s_waitcnt lgkmcnt(0)
	v_fma_f32 v2, -v38, v9, v2
	v_mul_f32_e32 v1, v1, v24
	v_fma_f32 v2, -v39, v10, v2
	v_fma_f32 v2, -v1, v11, v2
	v_mul_f32_e32 v2, v2, v12
	ds_write2_b32 v3, v1, v2 offset0:16 offset1:40
	s_cmp_lt_i32 s8, s16
	s_cbranch_scc1 .LBB26_13
	s_branch .LBB26_23
.LBB26_12:
	s_mov_b32 s8, 0
	s_cmp_lt_i32 s8, s16
	s_cbranch_scc0 .LBB26_23
.LBB26_13:
	s_add_i32 s11, s8, 19
	s_cmp_ge_u32 s11, s16
	s_cbranch_scc1 .LBB26_18
; %bb.14:
	s_mul_i32 s11, s8, 0x60
	v_add_u32_e32 v22, s11, v21
	v_add_u32_e32 v1, 0x200, v22
	ds_read2_b32 v[19:20], v22 offset1:24
	ds_read2_b32 v[17:18], v22 offset0:48 offset1:72
	ds_read2_b32 v[15:16], v22 offset0:96 offset1:120
	;; [unrolled: 1-line block ×5, first 2 shown]
	v_add_u32_e32 v1, 0x400, v22
	ds_read2_b32 v[7:8], v1 offset0:32 offset1:56
	ds_read2_b32 v[5:6], v1 offset0:80 offset1:104
	;; [unrolled: 1-line block ×4, first 2 shown]
	s_andn2_b64 vcc, exec, s[4:5]
	s_cbranch_vccnz .LBB26_17
; %bb.15:
	v_mov_b32_e32 v23, 0x900
	v_lshl_or_b32 v23, v0, 2, v23
	s_mov_b32 s4, s8
	s_mov_b32 s5, s11
.LBB26_16:                              ; =>This Inner Loop Header: Depth=1
	v_mov_b32_e32 v60, s5
	ds_read2_b32 v[64:65], v23 offset1:24
	ds_read2_b64 v[24:27], v60 offset1:12
	ds_read2_b64 v[28:31], v60 offset0:24 offset1:36
	ds_read2_b64 v[32:35], v60 offset0:48 offset1:60
	;; [unrolled: 1-line block ×9, first 2 shown]
	s_add_i32 s5, s5, 8
	s_add_i32 s4, s4, -2
	v_add_u32_e32 v23, 0xc0, v23
	s_waitcnt lgkmcnt(9)
	v_fma_f32 v19, -v64, v24, v19
	v_fma_f32 v20, -v64, v26, v20
	s_waitcnt lgkmcnt(8)
	v_fma_f32 v17, -v64, v28, v17
	v_fma_f32 v18, -v64, v30, v18
	;; [unrolled: 3-line block ×10, first 2 shown]
	s_cmp_lg_u32 s4, 0
	v_fma_f32 v19, -v65, v25, v19
	v_fma_f32 v20, -v65, v27, v20
	;; [unrolled: 1-line block ×20, first 2 shown]
	s_cbranch_scc1 .LBB26_16
.LBB26_17:
	s_lshl_b32 s4, s8, 2
	s_add_i32 s5, s4, s11
	v_mov_b32_e32 v31, s5
	ds_read2_b32 v[29:30], v31 offset1:100
	s_add_i32 s5, s11, 0x60
	s_add_i32 s12, s4, s5
	v_mov_b32_e32 v23, s12
	s_add_i32 s12, s11, 0xc0
	s_add_i32 s13, s4, s12
	ds_read_b64 v[25:26], v23
	s_waitcnt lgkmcnt(1)
	v_mul_f32_e32 v32, v19, v29
	v_mov_b32_e32 v19, s13
	ds_write_b32 v22, v32
	ds_read_b96 v[22:24], v19
	s_waitcnt lgkmcnt(2)
	v_fma_f32 v19, -v32, v25, v20
	v_mul_f32_e32 v33, v19, v26
	v_add_u32_e32 v19, s5, v21
	s_add_i32 s5, s11, 0x120
	s_waitcnt lgkmcnt(0)
	v_fma_f32 v17, -v32, v22, v17
	v_fma_f32 v17, -v33, v23, v17
	v_mul_f32_e32 v34, v17, v24
	v_add_u32_e32 v17, s12, v21
	s_add_i32 s12, s4, s5
	ds_write_b32 v17, v34
	v_mov_b32_e32 v17, s12
	ds_read_b128 v[22:25], v17
	s_add_i32 s12, s11, 0x180
	s_add_i32 s13, s4, s12
	v_mov_b32_e32 v17, s13
	ds_read_b128 v[26:29], v17
	s_waitcnt lgkmcnt(1)
	v_fma_f32 v17, -v32, v22, v18
	v_fma_f32 v17, -v33, v23, v17
	v_fma_f32 v17, -v34, v24, v17
	v_mul_f32_e32 v35, v17, v25
	v_add_u32_e32 v17, s5, v21
	s_add_i32 s5, s11, 0x1e0
	s_add_i32 s13, s4, s5
	v_mov_b32_e32 v22, s13
	ds_write_b32 v19, v33
	ds_write_b32 v17, v35
	s_waitcnt lgkmcnt(2)
	v_fma_f32 v15, -v32, v26, v15
	ds_read_b128 v[17:20], v22
	v_fma_f32 v15, -v33, v27, v15
	v_fma_f32 v15, -v34, v28, v15
	;; [unrolled: 1-line block ×3, first 2 shown]
	v_mul_f32_e32 v27, v15, v30
	v_add_u32_e32 v15, s12, v21
	ds_read_b64 v[22:23], v22 offset:16
	ds_write_b32 v15, v27
	s_waitcnt lgkmcnt(2)
	v_fma_f32 v15, -v32, v17, v16
	v_fma_f32 v15, -v33, v18, v15
	s_add_i32 s12, s11, 0x240
	v_fma_f32 v15, -v34, v19, v15
	s_add_i32 s13, s4, s12
	v_fma_f32 v15, -v35, v20, v15
	v_mov_b32_e32 v20, s13
	s_waitcnt lgkmcnt(1)
	v_fma_f32 v19, -v27, v22, v15
	ds_read_b128 v[15:18], v20
	v_mul_f32_e32 v28, v19, v23
	v_add_u32_e32 v19, s5, v21
	ds_read_b96 v[22:24], v20 offset:16
	s_add_i32 s5, s11, 0x2a0
	s_waitcnt lgkmcnt(1)
	v_fma_f32 v13, -v32, v15, v13
	v_fma_f32 v13, -v33, v16, v13
	s_add_i32 s13, s4, s5
	ds_write_b32 v19, v28
	v_fma_f32 v13, -v34, v17, v13
	v_mov_b32_e32 v19, s13
	v_fma_f32 v13, -v35, v18, v13
	ds_read_b128 v[15:18], v19
	s_waitcnt lgkmcnt(2)
	v_fma_f32 v13, -v27, v22, v13
	v_fma_f32 v13, -v28, v23, v13
	v_mul_f32_e32 v29, v13, v24
	v_add_u32_e32 v13, s12, v21
	ds_read_b128 v[22:25], v19 offset:16
	ds_write_b32 v13, v29
	s_waitcnt lgkmcnt(2)
	v_fma_f32 v13, -v32, v15, v14
	v_fma_f32 v13, -v33, v16, v13
	;; [unrolled: 1-line block ×4, first 2 shown]
	s_add_i32 s12, s11, 0x300
	s_waitcnt lgkmcnt(1)
	v_fma_f32 v13, -v27, v22, v13
	s_add_i32 s13, s4, s12
	v_fma_f32 v13, -v28, v23, v13
	v_mov_b32_e32 v18, s13
	v_fma_f32 v17, -v29, v24, v13
	ds_read_b128 v[13:16], v18
	v_mul_f32_e32 v30, v17, v25
	v_add_u32_e32 v17, s5, v21
	ds_write_b32 v17, v30
	ds_read_b128 v[17:20], v18 offset:16
	s_waitcnt lgkmcnt(2)
	v_fma_f32 v11, -v32, v13, v11
	v_fma_f32 v11, -v33, v14, v11
	;; [unrolled: 1-line block ×3, first 2 shown]
	v_add_u32_e32 v13, 0x200, v31
	v_fma_f32 v11, -v35, v16, v11
	ds_read2_b32 v[25:26], v13 offset0:72 offset1:172
	s_waitcnt lgkmcnt(1)
	v_fma_f32 v11, -v27, v17, v11
	v_fma_f32 v11, -v28, v18, v11
	;; [unrolled: 1-line block ×3, first 2 shown]
	s_add_i32 s5, s11, 0x360
	v_fma_f32 v11, -v30, v20, v11
	s_add_i32 s13, s4, s5
	s_waitcnt lgkmcnt(0)
	v_mul_f32_e32 v36, v11, v25
	v_mov_b32_e32 v11, s13
	ds_read_b128 v[13:16], v11
	v_add_u32_e32 v17, s12, v21
	ds_write_b32 v17, v36
	ds_read_b128 v[17:20], v11 offset:16
	ds_read_b64 v[22:23], v11 offset:32
	s_add_i32 s12, s11, 0x3c0
	s_waitcnt lgkmcnt(3)
	v_fma_f32 v11, -v32, v13, v12
	v_fma_f32 v11, -v33, v14, v11
	;; [unrolled: 1-line block ×4, first 2 shown]
	s_waitcnt lgkmcnt(1)
	v_fma_f32 v11, -v27, v17, v11
	v_fma_f32 v11, -v28, v18, v11
	s_add_i32 s13, s4, s12
	v_fma_f32 v11, -v29, v19, v11
	v_mov_b32_e32 v19, s13
	v_fma_f32 v15, -v30, v20, v11
	ds_read_b128 v[11:14], v19
	s_waitcnt lgkmcnt(1)
	v_fma_f32 v15, -v36, v22, v15
	v_mul_f32_e32 v37, v15, v23
	v_add_u32_e32 v15, s5, v21
	ds_write_b32 v15, v37
	ds_read_b128 v[15:18], v19 offset:16
	ds_read_b96 v[22:24], v19 offset:32
	s_waitcnt lgkmcnt(3)
	v_fma_f32 v9, -v32, v11, v9
	v_fma_f32 v9, -v33, v12, v9
	v_fma_f32 v9, -v34, v13, v9
	v_fma_f32 v9, -v35, v14, v9
	s_waitcnt lgkmcnt(1)
	v_fma_f32 v9, -v27, v15, v9
	v_fma_f32 v9, -v28, v16, v9
	;; [unrolled: 1-line block ×4, first 2 shown]
	s_waitcnt lgkmcnt(0)
	v_fma_f32 v9, -v36, v22, v9
	s_add_i32 s5, s11, 0x420
	v_fma_f32 v9, -v37, v23, v9
	s_add_i32 s13, s4, s5
	v_mul_f32_e32 v38, v9, v24
	v_mov_b32_e32 v9, s13
	ds_read_b128 v[11:14], v9
	v_add_u32_e32 v15, s12, v21
	ds_write_b32 v15, v38
	ds_read_b128 v[15:18], v9 offset:16
	ds_read_b128 v[22:25], v9 offset:32
	s_add_i32 s12, s11, 0x480
	s_waitcnt lgkmcnt(3)
	v_fma_f32 v9, -v32, v11, v10
	v_fma_f32 v9, -v33, v12, v9
	;; [unrolled: 1-line block ×4, first 2 shown]
	s_waitcnt lgkmcnt(1)
	v_fma_f32 v9, -v27, v15, v9
	v_fma_f32 v9, -v28, v16, v9
	;; [unrolled: 1-line block ×3, first 2 shown]
	s_add_i32 s13, s4, s12
	v_fma_f32 v13, -v30, v18, v9
	v_mov_b32_e32 v17, s13
	ds_read_b128 v[9:12], v17
	s_waitcnt lgkmcnt(1)
	v_fma_f32 v13, -v36, v22, v13
	v_fma_f32 v13, -v37, v23, v13
	;; [unrolled: 1-line block ×3, first 2 shown]
	v_mul_f32_e32 v39, v13, v25
	v_add_u32_e32 v13, s5, v21
	ds_write_b32 v13, v39
	ds_read_b128 v[13:16], v17 offset:16
	ds_read_b128 v[17:20], v17 offset:32
	s_waitcnt lgkmcnt(3)
	v_fma_f32 v7, -v32, v9, v7
	v_fma_f32 v7, -v33, v10, v7
	v_fma_f32 v7, -v34, v11, v7
	v_fma_f32 v7, -v35, v12, v7
	s_waitcnt lgkmcnt(1)
	v_fma_f32 v7, -v27, v13, v7
	v_fma_f32 v7, -v28, v14, v7
	v_fma_f32 v7, -v29, v15, v7
	v_fma_f32 v7, -v30, v16, v7
	;; [unrolled: 5-line block ×3, first 2 shown]
	s_add_i32 s5, s11, 0x4e0
	v_mul_f32_e32 v26, v7, v26
	v_add_u32_e32 v7, s12, v21
	s_add_i32 s12, s4, s5
	v_mov_b32_e32 v22, s12
	ds_read_b128 v[9:12], v22
	ds_write_b32 v7, v26
	ds_read_b128 v[13:16], v22 offset:16
	ds_read_b128 v[17:20], v22 offset:32
	ds_read_b64 v[22:23], v22 offset:48
	s_add_i32 s8, s8, 20
	s_waitcnt lgkmcnt(4)
	v_fma_f32 v7, -v32, v9, v8
	v_fma_f32 v7, -v33, v10, v7
	;; [unrolled: 1-line block ×4, first 2 shown]
	s_waitcnt lgkmcnt(2)
	v_fma_f32 v7, -v27, v13, v7
	v_fma_f32 v7, -v28, v14, v7
	;; [unrolled: 1-line block ×4, first 2 shown]
	s_waitcnt lgkmcnt(1)
	v_fma_f32 v7, -v36, v17, v7
	v_fma_f32 v7, -v37, v18, v7
	;; [unrolled: 1-line block ×3, first 2 shown]
	v_add_u32_e32 v11, s5, v21
	s_add_i32 s5, s11, 0x540
	v_fma_f32 v7, -v39, v20, v7
	s_add_i32 s12, s4, s5
	s_waitcnt lgkmcnt(0)
	v_fma_f32 v7, -v26, v22, v7
	v_mov_b32_e32 v19, s12
	v_mul_f32_e32 v40, v7, v23
	ds_read_b128 v[7:10], v19
	ds_write_b32 v11, v40
	ds_read_b128 v[11:14], v19 offset:16
	ds_read_b128 v[15:18], v19 offset:32
	ds_read_b96 v[22:24], v19 offset:48
	s_waitcnt lgkmcnt(4)
	v_fma_f32 v5, -v32, v7, v5
	v_fma_f32 v5, -v33, v8, v5
	v_fma_f32 v5, -v34, v9, v5
	v_fma_f32 v5, -v35, v10, v5
	s_waitcnt lgkmcnt(2)
	v_fma_f32 v5, -v27, v11, v5
	v_fma_f32 v5, -v28, v12, v5
	v_fma_f32 v5, -v29, v13, v5
	v_fma_f32 v5, -v30, v14, v5
	;; [unrolled: 5-line block ×3, first 2 shown]
	s_waitcnt lgkmcnt(0)
	v_fma_f32 v5, -v26, v22, v5
	v_fma_f32 v5, -v40, v23, v5
	v_mul_f32_e32 v41, v5, v24
	v_add_u32_e32 v5, s5, v21
	s_add_i32 s5, s11, 0x5a0
	s_add_i32 s12, s4, s5
	v_mov_b32_e32 v19, s12
	ds_read_b128 v[7:10], v19
	ds_write_b32 v5, v41
	ds_read_b128 v[11:14], v19 offset:16
	ds_read_b128 v[15:18], v19 offset:32
	;; [unrolled: 1-line block ×3, first 2 shown]
	s_waitcnt lgkmcnt(4)
	v_fma_f32 v5, -v32, v7, v6
	v_fma_f32 v5, -v33, v8, v5
	v_fma_f32 v5, -v34, v9, v5
	v_fma_f32 v5, -v35, v10, v5
	s_waitcnt lgkmcnt(2)
	v_fma_f32 v5, -v27, v11, v5
	v_fma_f32 v5, -v28, v12, v5
	v_fma_f32 v5, -v29, v13, v5
	v_fma_f32 v5, -v30, v14, v5
	;; [unrolled: 5-line block ×3, first 2 shown]
	s_waitcnt lgkmcnt(0)
	v_fma_f32 v5, -v26, v22, v5
	v_add_u32_e32 v9, s5, v21
	s_add_i32 s5, s11, 0x600
	v_fma_f32 v5, -v40, v23, v5
	s_add_i32 s12, s4, s5
	v_fma_f32 v5, -v41, v24, v5
	v_mov_b32_e32 v17, s12
	v_mul_f32_e32 v22, v5, v25
	ds_read_b128 v[5:8], v17
	ds_write_b32 v9, v22
	ds_read_b128 v[9:12], v17 offset:16
	ds_read_b128 v[13:16], v17 offset:32
	;; [unrolled: 1-line block ×3, first 2 shown]
	s_waitcnt lgkmcnt(4)
	v_fma_f32 v3, -v32, v5, v3
	v_fma_f32 v3, -v33, v6, v3
	v_fma_f32 v3, -v34, v7, v3
	v_fma_f32 v3, -v35, v8, v3
	s_waitcnt lgkmcnt(2)
	v_fma_f32 v3, -v27, v9, v3
	v_fma_f32 v3, -v28, v10, v3
	v_fma_f32 v3, -v29, v11, v3
	v_fma_f32 v3, -v30, v12, v3
	;; [unrolled: 5-line block ×3, first 2 shown]
	ds_read_b32 v5, v31 offset:1600
	s_waitcnt lgkmcnt(1)
	v_fma_f32 v3, -v26, v17, v3
	v_fma_f32 v3, -v40, v18, v3
	;; [unrolled: 1-line block ×4, first 2 shown]
	s_waitcnt lgkmcnt(0)
	v_mul_f32_e32 v23, v3, v5
	v_add_u32_e32 v3, s5, v21
	s_add_i32 s5, s11, 0x660
	s_add_i32 s12, s4, s5
	v_mov_b32_e32 v24, s12
	ds_read_b128 v[5:8], v24
	ds_write_b32 v3, v23
	ds_read_b128 v[9:12], v24 offset:16
	ds_read_b128 v[13:16], v24 offset:32
	;; [unrolled: 1-line block ×3, first 2 shown]
	s_add_i32 s12, s11, 0x6c0
	s_add_i32 s13, s4, s12
	s_waitcnt lgkmcnt(4)
	v_fma_f32 v3, -v32, v5, v4
	v_fma_f32 v3, -v33, v6, v3
	v_fma_f32 v3, -v34, v7, v3
	v_fma_f32 v3, -v35, v8, v3
	s_waitcnt lgkmcnt(2)
	v_fma_f32 v3, -v27, v9, v3
	v_fma_f32 v3, -v28, v10, v3
	v_fma_f32 v3, -v29, v11, v3
	v_fma_f32 v3, -v30, v12, v3
	;; [unrolled: 5-line block ×3, first 2 shown]
	s_waitcnt lgkmcnt(0)
	v_fma_f32 v3, -v26, v17, v3
	v_fma_f32 v3, -v40, v18, v3
	ds_read_b64 v[7:8], v24 offset:64
	v_fma_f32 v3, -v41, v19, v3
	v_mov_b32_e32 v19, s13
	v_fma_f32 v9, -v22, v20, v3
	ds_read_b128 v[3:6], v19
	s_waitcnt lgkmcnt(1)
	v_fma_f32 v7, -v23, v7, v9
	v_mul_f32_e32 v20, v7, v8
	v_add_u32_e32 v7, s5, v21
	ds_write_b32 v7, v20
	s_waitcnt lgkmcnt(1)
	v_fma_f32 v1, -v32, v3, v1
	ds_read_b128 v[7:10], v19 offset:16
	ds_read_b128 v[11:14], v19 offset:32
	;; [unrolled: 1-line block ×3, first 2 shown]
	v_fma_f32 v1, -v33, v4, v1
	v_fma_f32 v1, -v34, v5, v1
	;; [unrolled: 1-line block ×3, first 2 shown]
	s_waitcnt lgkmcnt(2)
	v_fma_f32 v1, -v27, v7, v1
	v_fma_f32 v1, -v28, v8, v1
	;; [unrolled: 1-line block ×4, first 2 shown]
	s_waitcnt lgkmcnt(1)
	v_fma_f32 v1, -v36, v11, v1
	v_fma_f32 v1, -v37, v12, v1
	;; [unrolled: 1-line block ×4, first 2 shown]
	ds_read_b96 v[3:5], v19 offset:64
	s_waitcnt lgkmcnt(1)
	v_fma_f32 v1, -v26, v15, v1
	v_fma_f32 v1, -v40, v16, v1
	v_fma_f32 v1, -v41, v17, v1
	v_fma_f32 v1, -v22, v18, v1
	s_addk_i32 s11, 0x720
	s_waitcnt lgkmcnt(0)
	v_fma_f32 v1, -v23, v3, v1
	s_add_i32 s4, s4, s11
	v_fma_f32 v1, -v20, v4, v1
	v_mov_b32_e32 v24, s4
	v_mul_f32_e32 v19, v1, v5
	ds_read_b128 v[3:6], v24
	v_add_u32_e32 v1, s12, v21
	ds_write_b32 v1, v19
	ds_read_b128 v[7:10], v24 offset:16
	ds_read_b128 v[11:14], v24 offset:32
	;; [unrolled: 1-line block ×3, first 2 shown]
	s_waitcnt lgkmcnt(4)
	v_fma_f32 v1, -v32, v3, v2
	v_fma_f32 v1, -v33, v4, v1
	v_fma_f32 v1, -v34, v5, v1
	v_fma_f32 v1, -v35, v6, v1
	s_waitcnt lgkmcnt(2)
	v_fma_f32 v1, -v27, v7, v1
	v_fma_f32 v1, -v28, v8, v1
	v_fma_f32 v1, -v29, v9, v1
	v_fma_f32 v1, -v30, v10, v1
	;; [unrolled: 5-line block ×3, first 2 shown]
	ds_read_b128 v[1:4], v24 offset:64
	s_waitcnt lgkmcnt(1)
	v_fma_f32 v5, -v26, v15, v5
	v_fma_f32 v5, -v40, v16, v5
	;; [unrolled: 1-line block ×4, first 2 shown]
	s_waitcnt lgkmcnt(0)
	v_fma_f32 v1, -v23, v1, v5
	v_fma_f32 v1, -v20, v2, v1
	;; [unrolled: 1-line block ×3, first 2 shown]
	v_mul_f32_e32 v1, v1, v4
	v_add_u32_e32 v2, s11, v21
	ds_write_b32 v2, v1
.LBB26_18:
	s_cmp_ge_i32 s8, s16
	s_cbranch_scc1 .LBB26_23
; %bb.19:
	v_mov_b32_e32 v1, 0x900
	s_mul_i32 s4, s8, 0x60
	v_lshl_or_b32 v1, v0, 2, v1
	s_branch .LBB26_21
.LBB26_20:                              ;   in Loop: Header=BB26_21 Depth=1
	s_mul_i32 s5, s8, 0x64
	v_mov_b32_e32 v4, s5
	ds_read_b32 v4, v4
	s_add_i32 s8, s8, 1
	s_addk_i32 s4, 0x60
	s_cmp_ge_i32 s8, s16
	s_waitcnt lgkmcnt(0)
	v_mul_f32_e32 v3, v3, v4
	ds_write_b32 v2, v3
	s_cbranch_scc1 .LBB26_23
.LBB26_21:                              ; =>This Loop Header: Depth=1
                                        ;     Child Loop BB26_22 Depth 2
	s_mul_i32 s5, s8, 0x60
	v_add_u32_e32 v2, s5, v21
	ds_read_b32 v3, v2
	s_cmp_eq_u32 s8, 0
	v_mov_b32_e32 v4, v1
	s_mov_b32 s5, s8
	s_mov_b32 s11, s4
	s_cbranch_scc1 .LBB26_20
.LBB26_22:                              ;   Parent Loop BB26_21 Depth=1
                                        ; =>  This Inner Loop Header: Depth=2
	v_mov_b32_e32 v6, s11
	ds_read_b32 v5, v4
	ds_read_b32 v6, v6
	s_add_i32 s11, s11, 4
	s_add_i32 s5, s5, -1
	v_add_u32_e32 v4, 0x60, v4
	s_cmp_lg_u32 s5, 0
	s_waitcnt lgkmcnt(0)
	v_fma_f32 v3, -v5, v6, v3
	s_cbranch_scc1 .LBB26_22
	s_branch .LBB26_20
.LBB26_23:
	s_mov_b64 s[4:5], 0
.LBB26_24:
	s_and_b64 vcc, exec, s[4:5]
	s_cbranch_vccz .LBB26_50
; %bb.25:
	s_add_i32 s4, s16, -1
	s_cmp_gt_i32 s10, 23
	s_mov_b32 s5, -1
	s_cbranch_scc0 .LBB26_27
; %bb.26:
	v_add_u32_e32 v24, 0x800, v21
	v_add_u32_e32 v23, 0x400, v21
	v_mov_b32_e32 v22, 0
	ds_read2_b32 v[8:9], v24 offset0:16 offset1:40
	ds_read2_b32 v[10:11], v23 offset0:224 offset1:248
	;; [unrolled: 1-line block ×6, first 2 shown]
	ds_read_b128 v[1:4], v22 offset:2288
	v_add_u32_e32 v25, 0x200, v21
	ds_read2_b32 v[58:59], v25 offset0:112 offset1:136
	ds_read2_b32 v[60:61], v21 offset0:192 offset1:216
	ds_read_b96 v[5:7], v22 offset:2192
	s_waitcnt lgkmcnt(3)
	v_mul_f32_e32 v26, v9, v4
	v_fma_f32 v8, -v26, v3, v8
	ds_read_b64 v[3:4], v22 offset:2096
	ds_read_b128 v[17:20], v22 offset:2208
	s_waitcnt lgkmcnt(2)
	v_mul_f32_e32 v27, v8, v7
	v_fma_f32 v2, -v26, v2, v11
	ds_read_b128 v[13:16], v22 offset:2112
	ds_read_b32 v9, v22 offset:2000
	v_fma_f32 v2, -v27, v6, v2
	v_fma_f32 v1, -v26, v1, v10
	s_waitcnt lgkmcnt(3)
	v_mul_f32_e32 v28, v2, v4
	v_fma_f32 v1, -v27, v5, v1
	v_fma_f32 v10, -v28, v3, v1
	ds_read_b128 v[1:4], v22 offset:2272
	ds_read_b128 v[5:8], v22 offset:2016
	s_waitcnt lgkmcnt(2)
	v_mul_f32_e32 v29, v10, v9
	ds_read_b128 v[9:12], v22 offset:2176
	ds_read_b128 v[30:33], v22 offset:2080
	;; [unrolled: 1-line block ×4, first 2 shown]
	s_waitcnt lgkmcnt(5)
	v_fma_f32 v4, -v26, v4, v47
	s_waitcnt lgkmcnt(3)
	v_fma_f32 v4, -v27, v12, v4
	;; [unrolled: 2-line block ×3, first 2 shown]
	v_fma_f32 v33, -v26, v3, v46
	v_fma_f32 v46, -v26, v2, v49
	;; [unrolled: 1-line block ×3, first 2 shown]
	ds_read_b128 v[1:4], v22 offset:1984
	v_fma_f32 v11, -v27, v11, v33
	v_fma_f32 v10, -v27, v10, v46
	;; [unrolled: 1-line block ×3, first 2 shown]
	ds_read_b128 v[38:41], v22 offset:2160
	ds_read_b128 v[42:45], v22 offset:2064
	v_fma_f32 v11, -v28, v32, v11
	v_fma_f32 v10, -v28, v31, v10
	;; [unrolled: 1-line block ×3, first 2 shown]
	ds_read_b128 v[46:49], v22 offset:1968
	s_waitcnt lgkmcnt(3)
	v_fma_f32 v31, -v29, v3, v11
	v_fma_f32 v32, -v29, v2, v10
	;; [unrolled: 1-line block ×3, first 2 shown]
	ds_read_b96 v[1:3], v22 offset:1792
	v_fma_f32 v4, -v29, v4, v12
	ds_read_b128 v[9:12], v22 offset:1920
	v_mul_f32_e32 v30, v4, v53
	v_fma_f32 v37, -v26, v37, v55
	v_fma_f32 v4, -v30, v52, v31
	;; [unrolled: 1-line block ×5, first 2 shown]
	s_waitcnt lgkmcnt(4)
	v_fma_f32 v41, -v27, v41, v37
	v_fma_f32 v32, -v30, v51, v32
	;; [unrolled: 1-line block ×3, first 2 shown]
	ds_read_b128 v[50:53], v22 offset:1776
	s_waitcnt lgkmcnt(2)
	v_mul_f32_e32 v31, v4, v3
	v_fma_f32 v40, -v27, v40, v36
	v_fma_f32 v39, -v27, v39, v35
	;; [unrolled: 1-line block ×6, first 2 shown]
	ds_read_b64 v[62:63], v22 offset:1696
	ds_read_b128 v[1:4], v22 offset:1728
	ds_read2_b32 v[54:55], v21 offset0:144 offset1:168
	ds_read_b32 v56, v22 offset:1600
	v_fma_f32 v49, -v29, v49, v41
	v_fma_f32 v44, -v28, v44, v40
	v_fma_f32 v43, -v28, v43, v39
	v_fma_f32 v42, -v28, v42, v38
	ds_read_b128 v[38:41], v22 offset:1872
	v_fma_f32 v48, -v29, v48, v44
	v_fma_f32 v47, -v29, v47, v43
	;; [unrolled: 1-line block ×3, first 2 shown]
	ds_read_b128 v[42:45], v22 offset:1856
	s_waitcnt lgkmcnt(1)
	v_fma_f32 v41, -v30, v41, v49
	v_fma_f32 v53, -v31, v53, v41
	;; [unrolled: 1-line block ×5, first 2 shown]
	ds_read_b128 v[38:41], v22 offset:1680
	ds_read_b128 v[34:37], v22 offset:1584
	v_mul_f32_e32 v32, v32, v63
	v_fma_f32 v33, -v32, v62, v33
	v_fma_f32 v52, -v31, v52, v48
	;; [unrolled: 1-line block ×4, first 2 shown]
	v_mul_f32_e32 v33, v33, v56
	s_waitcnt lgkmcnt(1)
	v_fma_f32 v52, -v32, v40, v52
	v_fma_f32 v51, -v32, v39, v51
	;; [unrolled: 1-line block ×3, first 2 shown]
	ds_read_b128 v[46:49], v22 offset:1664
	v_fma_f32 v41, -v32, v41, v53
	s_waitcnt lgkmcnt(1)
	v_fma_f32 v62, -v33, v36, v52
	v_fma_f32 v63, -v33, v35, v51
	;; [unrolled: 1-line block ×3, first 2 shown]
	ds_read_b128 v[50:53], v22 offset:2224
	ds_read2_b32 v[34:35], v21 offset0:96 offset1:120
	v_fma_f32 v41, -v33, v37, v41
	ds_read_b128 v[37:40], v22 offset:2240
	ds_read2_b32 v[56:57], v21 offset0:48 offset1:72
	s_waitcnt lgkmcnt(3)
	v_fma_f32 v66, -v26, v52, v54
	s_waitcnt lgkmcnt(2)
	v_fma_f32 v67, -v26, v51, v35
	ds_read2_b32 v[51:52], v21 offset1:24
	v_fma_f32 v65, -v26, v53, v55
	v_fma_f32 v68, -v26, v50, v34
	s_waitcnt lgkmcnt(1)
	v_fma_f32 v36, -v26, v20, v57
	v_fma_f32 v69, -v26, v19, v56
	s_waitcnt lgkmcnt(0)
	v_fma_f32 v70, -v26, v18, v52
	v_fma_f32 v71, -v26, v17, v51
	ds_read_b128 v[50:53], v22 offset:2144
	v_fma_f32 v59, -v26, v40, v59
	v_fma_f32 v58, -v26, v39, v58
	;; [unrolled: 1-line block ×4, first 2 shown]
	ds_read_b128 v[37:40], v22 offset:1488
	ds_read_b128 v[17:20], v22 offset:1536
	s_waitcnt lgkmcnt(2)
	v_fma_f32 v73, -v27, v52, v58
	v_fma_f32 v51, -v27, v51, v61
	;; [unrolled: 1-line block ×3, first 2 shown]
	s_waitcnt lgkmcnt(1)
	v_mul_f32_e32 v34, v41, v40
	v_fma_f32 v35, -v34, v39, v62
	v_fma_f32 v72, -v34, v38, v63
	;; [unrolled: 1-line block ×3, first 2 shown]
	ds_read_b128 v[37:40], v22 offset:2128
	v_fma_f32 v41, -v27, v53, v59
	ds_read_b128 v[52:55], v22 offset:2048
	ds_read_b128 v[56:59], v22 offset:2032
	;; [unrolled: 1-line block ×3, first 2 shown]
	v_fma_f32 v36, -v27, v16, v36
	v_fma_f32 v69, -v27, v15, v69
	v_fma_f32 v70, -v27, v14, v70
	s_waitcnt lgkmcnt(2)
	v_fma_f32 v51, -v28, v53, v51
	v_fma_f32 v50, -v28, v52, v50
	;; [unrolled: 1-line block ×3, first 2 shown]
	s_waitcnt lgkmcnt(0)
	v_fma_f32 v55, -v29, v61, v51
	v_fma_f32 v60, -v29, v60, v50
	ds_read_b128 v[50:53], v22 offset:1760
	v_fma_f32 v54, -v28, v54, v73
	v_fma_f32 v41, -v29, v63, v41
	;; [unrolled: 1-line block ×7, first 2 shown]
	s_waitcnt lgkmcnt(0)
	v_fma_f32 v41, -v31, v53, v41
	v_fma_f32 v45, -v31, v52, v44
	;; [unrolled: 1-line block ×5, first 2 shown]
	ds_read_b128 v[41:44], v22 offset:1568
	v_fma_f32 v52, -v32, v48, v45
	v_fma_f32 v51, -v32, v47, v51
	;; [unrolled: 1-line block ×3, first 2 shown]
	ds_read_b128 v[45:48], v22 offset:1472
	s_waitcnt lgkmcnt(1)
	v_fma_f32 v44, -v33, v44, v49
	v_fma_f32 v49, -v33, v43, v52
	;; [unrolled: 1-line block ×4, first 2 shown]
	s_waitcnt lgkmcnt(0)
	v_fma_f32 v48, -v34, v48, v44
	ds_read_b96 v[50:52], v22 offset:1392
	ds_read_b128 v[41:44], v22 offset:1376
	v_fma_f32 v47, -v34, v47, v49
	v_fma_f32 v46, -v34, v46, v53
	;; [unrolled: 1-line block ×3, first 2 shown]
	s_waitcnt lgkmcnt(1)
	v_mul_f32_e32 v35, v35, v52
	s_waitcnt lgkmcnt(0)
	v_fma_f32 v52, -v35, v44, v48
	v_fma_f32 v53, -v35, v43, v47
	;; [unrolled: 1-line block ×3, first 2 shown]
	ds_read_b64 v[54:55], v22 offset:1296
	ds_read_b128 v[42:45], v22 offset:1280
	v_fma_f32 v51, -v35, v51, v72
	v_fma_f32 v41, -v35, v41, v49
	ds_read_b128 v[46:49], v22 offset:1936
	s_waitcnt lgkmcnt(2)
	v_mul_f32_e32 v72, v51, v55
	s_waitcnt lgkmcnt(1)
	v_fma_f32 v55, -v72, v44, v53
	v_fma_f32 v73, -v72, v43, v60
	;; [unrolled: 1-line block ×3, first 2 shown]
	ds_read_b32 v60, v22 offset:1200
	ds_read_b128 v[41:44], v22 offset:1184
	v_fma_f32 v61, -v35, v50, v64
	v_fma_f32 v54, -v72, v54, v61
	;; [unrolled: 1-line block ×3, first 2 shown]
	s_waitcnt lgkmcnt(1)
	v_mul_f32_e32 v64, v54, v60
	ds_read_b128 v[60:63], v22 offset:1088
	s_waitcnt lgkmcnt(1)
	v_fma_f32 v45, -v64, v44, v45
	v_fma_f32 v54, -v64, v43, v55
	;; [unrolled: 1-line block ×4, first 2 shown]
	ds_read_b128 v[41:44], v22 offset:1552
	s_waitcnt lgkmcnt(1)
	v_mul_f32_e32 v74, v45, v63
	v_fma_f32 v75, -v74, v62, v54
	v_fma_f32 v76, -v74, v61, v55
	;; [unrolled: 1-line block ×6, first 2 shown]
	ds_read_b128 v[50:53], v22 offset:1744
	v_fma_f32 v45, -v28, v59, v45
	v_fma_f32 v58, -v28, v58, v54
	;; [unrolled: 1-line block ×4, first 2 shown]
	ds_read_b128 v[54:57], v22 offset:1840
	v_fma_f32 v49, -v29, v49, v45
	v_fma_f32 v58, -v29, v48, v58
	;; [unrolled: 1-line block ×4, first 2 shown]
	s_waitcnt lgkmcnt(0)
	v_fma_f32 v49, -v30, v57, v49
	v_fma_f32 v73, -v74, v60, v73
	ds_read_b128 v[60:63], v22 offset:1456
	v_fma_f32 v57, -v30, v56, v58
	v_fma_f32 v58, -v30, v55, v59
	;; [unrolled: 1-line block ×4, first 2 shown]
	ds_read_b128 v[53:56], v22 offset:1648
	ds_read_b128 v[37:40], v22 offset:1440
	;; [unrolled: 1-line block ×3, first 2 shown]
	v_fma_f32 v57, -v31, v52, v57
	v_fma_f32 v58, -v31, v51, v58
	;; [unrolled: 1-line block ×3, first 2 shown]
	ds_read_b128 v[49:52], v22 offset:1344
	s_waitcnt lgkmcnt(3)
	v_fma_f32 v65, -v32, v56, v65
	v_fma_f32 v57, -v32, v55, v57
	;; [unrolled: 1-line block ×4, first 2 shown]
	ds_read_b128 v[53:56], v22 offset:1264
	v_fma_f32 v65, -v33, v44, v65
	v_fma_f32 v57, -v33, v43, v57
	;; [unrolled: 1-line block ×8, first 2 shown]
	ds_read_b128 v[41:44], v22 offset:1168
	s_waitcnt lgkmcnt(3)
	v_fma_f32 v48, -v35, v48, v63
	v_fma_f32 v47, -v35, v47, v57
	;; [unrolled: 1-line block ×4, first 2 shown]
	s_waitcnt lgkmcnt(1)
	v_fma_f32 v56, -v72, v56, v48
	v_fma_f32 v55, -v72, v55, v47
	;; [unrolled: 1-line block ×4, first 2 shown]
	ds_read_b128 v[45:48], v22 offset:1072
	s_waitcnt lgkmcnt(1)
	v_fma_f32 v44, -v64, v44, v56
	v_fma_f32 v55, -v64, v43, v55
	;; [unrolled: 1-line block ×4, first 2 shown]
	s_waitcnt lgkmcnt(0)
	v_fma_f32 v48, -v74, v48, v44
	ds_read_b96 v[57:59], v22 offset:992
	ds_read_b128 v[41:44], v22 offset:976
	v_fma_f32 v47, -v74, v47, v55
	v_fma_f32 v46, -v74, v46, v54
	;; [unrolled: 1-line block ×3, first 2 shown]
	s_waitcnt lgkmcnt(1)
	v_mul_f32_e32 v61, v75, v59
	s_waitcnt lgkmcnt(0)
	v_fma_f32 v48, -v61, v44, v48
	v_fma_f32 v47, -v61, v43, v47
	;; [unrolled: 1-line block ×3, first 2 shown]
	ds_read_b64 v[59:60], v22 offset:896
	ds_read_b128 v[42:45], v22 offset:880
	v_fma_f32 v58, -v61, v58, v76
	v_fma_f32 v41, -v61, v41, v53
	ds_read_b128 v[53:56], v22 offset:1248
	s_waitcnt lgkmcnt(2)
	v_mul_f32_e32 v62, v58, v60
	s_waitcnt lgkmcnt(1)
	v_fma_f32 v63, -v62, v44, v47
	v_fma_f32 v65, -v62, v43, v46
	;; [unrolled: 1-line block ×3, first 2 shown]
	ds_read_b32 v60, v22 offset:800
	ds_read_b128 v[41:44], v22 offset:784
	v_fma_f32 v57, -v61, v57, v73
	v_fma_f32 v57, -v62, v59, v57
	;; [unrolled: 1-line block ×3, first 2 shown]
	s_waitcnt lgkmcnt(1)
	v_mul_f32_e32 v67, v57, v60
	s_waitcnt lgkmcnt(0)
	v_fma_f32 v68, -v67, v44, v58
	ds_read_b128 v[57:60], v22 offset:688
	v_fma_f32 v63, -v67, v43, v63
	v_fma_f32 v65, -v67, v42, v65
	;; [unrolled: 1-line block ×3, first 2 shown]
	ds_read_b128 v[41:44], v22 offset:1824
	v_fma_f32 v71, -v27, v13, v71
	v_fma_f32 v36, -v28, v8, v36
	;; [unrolled: 1-line block ×9, first 2 shown]
	s_waitcnt lgkmcnt(0)
	v_fma_f32 v36, -v30, v44, v36
	v_fma_f32 v69, -v30, v43, v69
	;; [unrolled: 1-line block ×4, first 2 shown]
	ds_read_b128 v[41:44], v22 offset:768
	v_mul_f32_e32 v68, v68, v60
	ds_read_b128 v[45:48], v22 offset:1152
	ds_read_b128 v[13:16], v22 offset:1056
	v_fma_f32 v63, -v68, v59, v63
	v_fma_f32 v65, -v68, v58, v65
	;; [unrolled: 1-line block ×3, first 2 shown]
	ds_read_b128 v[57:60], v22 offset:1632
	ds_read_b128 v[5:8], v22 offset:960
	;; [unrolled: 1-line block ×3, first 2 shown]
	ds_write2_b32 v24, v27, v26 offset0:16 offset1:40
	ds_write2_b32 v23, v29, v28 offset0:224 offset1:248
	ds_write2_b32 v23, v31, v30 offset0:176 offset1:200
	ds_write2_b32 v23, v33, v32 offset0:128 offset1:152
	ds_write2_b32 v23, v35, v34 offset0:80 offset1:104
	ds_write2_b32 v23, v64, v72 offset0:32 offset1:56
	ds_write2_b32 v25, v61, v74 offset0:112 offset1:136
	ds_write2_b32 v21, v67, v62 offset0:192 offset1:216
	ds_read_b96 v[23:25], v22 offset:592
	v_fma_f32 v4, -v31, v4, v36
	v_fma_f32 v3, -v31, v3, v69
	;; [unrolled: 1-line block ×4, first 2 shown]
	s_waitcnt lgkmcnt(11)
	v_fma_f32 v4, -v32, v60, v4
	v_fma_f32 v3, -v32, v59, v3
	;; [unrolled: 1-line block ×8, first 2 shown]
	ds_read_b128 v[1:4], v22 offset:672
	s_waitcnt lgkmcnt(1)
	v_mul_f32_e32 v57, v63, v25
	ds_read_b64 v[25:26], v22 offset:496
	ds_read_b128 v[17:20], v22 offset:576
	ds_read_b32 v32, v22 offset:400
	v_fma_f32 v27, -v34, v40, v27
	v_fma_f32 v27, -v35, v52, v27
	;; [unrolled: 1-line block ×5, first 2 shown]
	s_waitcnt lgkmcnt(2)
	v_mul_f32_e32 v58, v24, v26
	v_fma_f32 v27, -v64, v48, v27
	v_fma_f32 v31, -v58, v25, v23
	;; [unrolled: 1-line block ×4, first 2 shown]
	ds_read_b128 v[23:26], v22 offset:480
	s_waitcnt lgkmcnt(1)
	v_mul_f32_e32 v37, v31, v32
	v_fma_f32 v8, -v61, v8, v16
	ds_write2_b32 v21, v57, v68 offset0:144 offset1:168
	v_fma_f32 v28, -v34, v39, v28
	v_fma_f32 v29, -v34, v38, v29
	ds_write2_b32 v21, v37, v58 offset0:96 offset1:120
	v_fma_f32 v8, -v62, v12, v8
	v_fma_f32 v8, -v67, v44, v8
	;; [unrolled: 1-line block ×5, first 2 shown]
	ds_read_b128 v[27:30], v22 offset:384
	ds_read_b128 v[31:34], v22 offset:288
	v_fma_f32 v4, -v68, v4, v8
	v_fma_f32 v4, -v57, v20, v4
	s_waitcnt lgkmcnt(4)
	v_fma_f32 v4, -v58, v26, v4
	s_waitcnt lgkmcnt(1)
	;; [unrolled: 2-line block ×3, first 2 shown]
	v_mul_f32_e32 v8, v4, v34
	v_fma_f32 v4, -v72, v55, v12
	v_fma_f32 v4, -v64, v47, v4
	;; [unrolled: 1-line block ×14, first 2 shown]
	ds_read_b96 v[34:36], v22 offset:192
	v_fma_f32 v3, -v58, v25, v3
	v_fma_f32 v6, -v67, v42, v6
	;; [unrolled: 1-line block ×5, first 2 shown]
	ds_read_b64 v[3:4], v22 offset:96
	ds_read_b32 v6, v22
	v_fma_f32 v2, -v57, v18, v2
	v_fma_f32 v2, -v58, v24, v2
	;; [unrolled: 1-line block ×3, first 2 shown]
	s_waitcnt lgkmcnt(2)
	v_mul_f32_e32 v12, v12, v36
	v_fma_f32 v2, -v8, v32, v2
	v_fma_f32 v2, -v12, v35, v2
	s_waitcnt lgkmcnt(1)
	v_mul_f32_e32 v2, v2, v4
	v_fma_f32 v4, -v64, v45, v11
	v_fma_f32 v4, -v74, v13, v4
	;; [unrolled: 1-line block ×12, first 2 shown]
	s_waitcnt lgkmcnt(0)
	v_mul_f32_e32 v1, v1, v6
	ds_write2_b32 v21, v12, v8 offset0:48 offset1:72
	ds_write2_b32 v21, v1, v2 offset1:24
	s_cmp_gt_i32 s5, -1
	s_cbranch_scc1 .LBB26_28
	s_branch .LBB26_50
.LBB26_27:
	s_mov_b32 s5, s4
	s_cmp_gt_i32 s5, -1
	s_cbranch_scc0 .LBB26_50
.LBB26_28:
	s_cmp_lt_u32 s5, 19
	s_cbranch_scc1 .LBB26_33
; %bb.29:
	s_mul_i32 s8, s5, 0x60
	v_add_u32_e32 v5, s8, v21
	v_add_u32_e32 v1, 0xffffffa0, v5
	;; [unrolled: 1-line block ×8, first 2 shown]
	ds_read_b32 v4, v5
	ds_read_b32 v22, v1
	;; [unrolled: 1-line block ×8, first 2 shown]
	v_add_u32_e32 v1, 0xfffffd00, v5
	v_add_u32_e32 v11, 0xfffffb80, v5
	v_add_u32_e32 v14, 0xfffffb20, v5
	v_add_u32_e32 v2, 0xfffffca0, v5
	v_add_u32_e32 v3, 0xfffffc40, v5
	v_add_u32_e32 v10, 0xfffffbe0, v5
	v_add_u32_e32 v23, 0xfffffac0, v5
	v_add_u32_e32 v24, 0xfffffa60, v5
	ds_read_b32 v15, v1
	ds_read_b32 v16, v2
	;; [unrolled: 1-line block ×8, first 2 shown]
	v_add_u32_e32 v1, 0xfffffa00, v5
	v_add_u32_e32 v2, 0xfffff9a0, v5
	;; [unrolled: 1-line block ×4, first 2 shown]
	ds_read_b32 v10, v1
	ds_read_b32 v3, v2
	;; [unrolled: 1-line block ×4, first 2 shown]
	s_cmp_le_i32 s4, s5
	s_cbranch_scc1 .LBB26_32
; %bb.30:
	s_mul_i32 s10, s16, 0x60
	s_lshl_b32 s11, s5, 2
	v_lshl_add_u32 v23, v0, 2, s10
	s_add_i32 s10, s10, s11
	v_add_u32_e32 v23, 0x8a0, v23
	s_addk_i32 s10, 0xff54
	s_mov_b32 s11, s4
.LBB26_31:                              ; =>This Inner Loop Header: Depth=1
	v_mov_b32_e32 v42, s10
	ds_read_b32 v44, v23
	ds_read2_b32 v[24:25], v42 offset0:18 offset1:19
	ds_read2_b32 v[26:27], v42 offset0:16 offset1:17
	;; [unrolled: 1-line block ×9, first 2 shown]
	ds_read2_b32 v[42:43], v42 offset1:1
	s_add_i32 s11, s11, -1
	s_addk_i32 s10, 0xffa0
	v_add_u32_e32 v23, 0xffffffa0, v23
	s_cmp_gt_i32 s11, s5
	s_waitcnt lgkmcnt(9)
	v_fma_f32 v4, -v44, v25, v4
	v_fma_f32 v22, -v44, v24, v22
	s_waitcnt lgkmcnt(8)
	v_fma_f32 v6, -v44, v27, v6
	v_fma_f32 v7, -v44, v26, v7
	;; [unrolled: 3-line block ×10, first 2 shown]
	s_cbranch_scc1 .LBB26_31
.LBB26_32:
	s_lshl_b32 s11, s5, 2
	s_add_i32 s10, s11, -4
	s_add_i32 s10, s10, s8
	v_mov_b32_e32 v23, s10
	ds_read2_b32 v[23:24], v23 offset1:1
	s_addk_i32 s10, 0xffa0
	s_add_i32 s12, s8, 0xffffffa0
	s_add_i32 s13, s11, -12
	v_mov_b32_e32 v25, s10
	s_add_i32 s14, s13, s8
	s_add_i32 s10, s13, s12
	v_mov_b32_e32 v26, s14
	v_mov_b32_e32 v27, s10
	ds_read_b32 v29, v25
	ds_read2_b32 v[25:26], v26 offset1:1
	ds_read2_b32 v[27:28], v27 offset1:1
	s_waitcnt lgkmcnt(3)
	v_mul_f32_e32 v4, v4, v24
	ds_write_b32 v5, v4
	v_fma_f32 v5, -v4, v23, v22
	s_add_i32 s10, s8, 0xffffff40
	s_waitcnt lgkmcnt(3)
	v_mul_f32_e32 v5, v5, v29
	v_add_u32_e32 v22, s12, v21
	s_add_i32 s13, s13, s10
	ds_write_b32 v22, v5
	v_mov_b32_e32 v22, s13
	ds_read2_b32 v[22:23], v22 offset1:1
	s_add_i32 s13, s14, 0xfffffee0
	s_sub_i32 s15, s11, 20
	v_mov_b32_e32 v24, s13
	s_add_i32 s13, s15, s12
	s_waitcnt lgkmcnt(4)
	v_fma_f32 v6, -v4, v26, v6
	s_add_i32 s17, s15, s8
	v_mov_b32_e32 v30, s13
	s_waitcnt lgkmcnt(3)
	v_fma_f32 v6, -v5, v28, v6
	v_mov_b32_e32 v26, s17
	ds_read_b32 v24, v24
	ds_read2_b32 v[28:29], v26 offset1:1
	ds_read2_b32 v[30:31], v30 offset1:1
	v_fma_f32 v7, -v4, v25, v7
	s_waitcnt lgkmcnt(3)
	v_mul_f32_e32 v6, v6, v23
	v_fma_f32 v7, -v5, v27, v7
	v_fma_f32 v7, -v6, v22, v7
	s_add_i32 s13, s8, 0xfffffee0
	s_waitcnt lgkmcnt(2)
	v_mul_f32_e32 v7, v7, v24
	v_add_u32_e32 v22, s13, v21
	s_add_i32 s14, s15, s10
	ds_write_b32 v22, v7
	v_mov_b32_e32 v22, s14
	s_add_i32 s14, s15, s13
	v_mov_b32_e32 v24, s14
	s_add_i32 s14, s8, 0xfffffe80
	v_add_u32_e32 v23, s10, v21
	s_add_i32 s15, s15, s14
	ds_write_b32 v23, v6
	v_mov_b32_e32 v26, s15
	ds_read2_b32 v[22:23], v22 offset1:1
	ds_read2_b32 v[24:25], v24 offset1:1
	;; [unrolled: 1-line block ×3, first 2 shown]
	s_waitcnt lgkmcnt(6)
	v_fma_f32 v8, -v4, v29, v8
	s_add_i32 s15, s17, 0xfffffe20
	s_waitcnt lgkmcnt(5)
	v_fma_f32 v8, -v5, v31, v8
	v_mov_b32_e32 v29, s15
	v_fma_f32 v9, -v4, v28, v9
	ds_read_b32 v29, v29
	s_waitcnt lgkmcnt(3)
	v_fma_f32 v8, -v6, v23, v8
	v_fma_f32 v9, -v5, v30, v9
	s_sub_i32 s18, s11, 28
	s_waitcnt lgkmcnt(2)
	v_fma_f32 v8, -v7, v25, v8
	v_fma_f32 v9, -v6, v22, v9
	s_add_i32 s17, s18, s12
	s_waitcnt lgkmcnt(1)
	v_mul_f32_e32 v8, v8, v27
	v_fma_f32 v9, -v7, v24, v9
	v_mov_b32_e32 v24, s17
	s_add_i32 s17, s18, s10
	v_add_u32_e32 v23, s14, v21
	v_fma_f32 v9, -v8, v26, v9
	s_add_i32 s19, s18, s8
	v_mov_b32_e32 v26, s17
	s_add_i32 s17, s18, s13
	ds_write_b32 v23, v8
	v_mov_b32_e32 v22, s19
	v_mov_b32_e32 v28, s17
	s_waitcnt lgkmcnt(1)
	v_mul_f32_e32 v9, v9, v29
	ds_read2_b32 v[22:23], v22 offset1:1
	ds_read2_b32 v[24:25], v24 offset1:1
	;; [unrolled: 1-line block ×4, first 2 shown]
	s_add_i32 s15, s8, 0xfffffe20
	s_add_i32 s17, s18, s14
	s_waitcnt lgkmcnt(3)
	v_fma_f32 v12, -v4, v23, v12
	v_mov_b32_e32 v23, s17
	s_add_i32 s17, s18, s15
	v_add_u32_e32 v30, s15, v21
	s_waitcnt lgkmcnt(2)
	v_fma_f32 v12, -v5, v25, v12
	v_mov_b32_e32 v25, s17
	s_add_i32 s17, s8, 0xfffffdc0
	ds_write_b32 v30, v9
	s_waitcnt lgkmcnt(2)
	v_fma_f32 v12, -v6, v27, v12
	s_add_i32 s18, s18, s17
	s_waitcnt lgkmcnt(1)
	v_fma_f32 v12, -v7, v29, v12
	v_mov_b32_e32 v27, s18
	ds_read2_b32 v[29:30], v23 offset1:1
	ds_read2_b32 v[31:32], v25 offset1:1
	;; [unrolled: 1-line block ×3, first 2 shown]
	s_add_i32 s18, s19, 0xfffffd60
	v_fma_f32 v13, -v4, v22, v13
	v_mov_b32_e32 v23, s18
	v_fma_f32 v13, -v5, v24, v13
	ds_read_b32 v23, v23
	v_fma_f32 v13, -v6, v26, v13
	s_waitcnt lgkmcnt(3)
	v_fma_f32 v12, -v8, v30, v12
	v_fma_f32 v13, -v7, v28, v13
	s_waitcnt lgkmcnt(2)
	v_fma_f32 v12, -v9, v32, v12
	v_fma_f32 v13, -v8, v29, v13
	s_waitcnt lgkmcnt(1)
	v_mul_f32_e32 v12, v12, v34
	v_fma_f32 v13, -v9, v31, v13
	s_sub_i32 s20, s11, 36
	v_fma_f32 v13, -v12, v33, v13
	s_add_i32 s18, s8, 0xfffffd60
	s_add_i32 s19, s20, s12
	v_add_u32_e32 v25, s17, v21
	s_waitcnt lgkmcnt(0)
	v_mul_f32_e32 v13, v13, v23
	v_add_u32_e32 v22, s18, v21
	s_add_i32 s21, s20, s8
	v_mov_b32_e32 v24, s19
	s_add_i32 s19, s20, s10
	ds_write_b32 v25, v12
	ds_write_b32 v22, v13
	v_mov_b32_e32 v22, s21
	v_mov_b32_e32 v26, s19
	ds_read2_b32 v[22:23], v22 offset1:1
	ds_read2_b32 v[24:25], v24 offset1:1
	ds_read2_b32 v[26:27], v26 offset1:1
	s_add_i32 s19, s20, s13
	v_mov_b32_e32 v28, s19
	s_add_i32 s19, s20, s14
	ds_read2_b32 v[28:29], v28 offset1:1
	s_waitcnt lgkmcnt(3)
	v_fma_f32 v15, -v4, v23, v15
	v_mov_b32_e32 v23, s19
	s_add_i32 s19, s20, s15
	s_waitcnt lgkmcnt(2)
	v_fma_f32 v15, -v5, v25, v15
	v_mov_b32_e32 v25, s19
	s_add_i32 s19, s20, s17
	;; [unrolled: 4-line block ×3, first 2 shown]
	v_mov_b32_e32 v36, s19
	ds_read2_b32 v[30:31], v23 offset1:1
	ds_read2_b32 v[32:33], v25 offset1:1
	;; [unrolled: 1-line block ×4, first 2 shown]
	s_waitcnt lgkmcnt(4)
	v_fma_f32 v15, -v7, v29, v15
	s_waitcnt lgkmcnt(3)
	v_fma_f32 v15, -v8, v31, v15
	s_add_i32 s19, s8, 0xfffffd00
	s_waitcnt lgkmcnt(2)
	v_fma_f32 v15, -v9, v33, v15
	s_add_i32 s20, s20, s19
	v_fma_f32 v16, -v4, v22, v16
	s_waitcnt lgkmcnt(1)
	v_fma_f32 v15, -v12, v35, v15
	v_mov_b32_e32 v23, s20
	v_fma_f32 v16, -v5, v24, v16
	s_waitcnt lgkmcnt(0)
	v_fma_f32 v15, -v13, v37, v15
	ds_read2_b32 v[37:38], v23 offset1:1
	v_fma_f32 v16, -v6, v26, v16
	v_fma_f32 v16, -v7, v28, v16
	s_add_i32 s20, s21, 0xfffffca0
	s_sub_i32 s22, s11, 44
	v_fma_f32 v16, -v8, v30, v16
	v_mov_b32_e32 v23, s20
	s_add_i32 s23, s22, s8
	s_add_i32 s20, s22, s12
	v_fma_f32 v16, -v9, v32, v16
	v_mov_b32_e32 v25, s23
	v_mov_b32_e32 v27, s20
	ds_read_b32 v23, v23
	ds_read2_b32 v[39:40], v25 offset1:1
	ds_read2_b32 v[41:42], v27 offset1:1
	v_fma_f32 v16, -v12, v34, v16
	s_waitcnt lgkmcnt(3)
	v_mul_f32_e32 v15, v15, v38
	v_fma_f32 v16, -v13, v36, v16
	v_fma_f32 v16, -v15, v37, v16
	s_add_i32 s20, s8, 0xfffffca0
	s_waitcnt lgkmcnt(2)
	v_mul_f32_e32 v16, v16, v23
	v_add_u32_e32 v22, s20, v21
	s_add_i32 s21, s22, s10
	ds_write_b32 v22, v16
	v_mov_b32_e32 v22, s21
	s_add_i32 s21, s22, s13
	v_add_u32_e32 v25, s19, v21
	v_mov_b32_e32 v24, s21
	s_add_i32 s21, s22, s14
	ds_write_b32 v25, v15
	v_mov_b32_e32 v26, s21
	ds_read2_b32 v[22:23], v22 offset1:1
	ds_read2_b32 v[24:25], v24 offset1:1
	;; [unrolled: 1-line block ×3, first 2 shown]
	s_waitcnt lgkmcnt(6)
	v_fma_f32 v18, -v4, v40, v18
	s_add_i32 s21, s22, s15
	s_waitcnt lgkmcnt(5)
	v_fma_f32 v18, -v5, v42, v18
	v_mov_b32_e32 v28, s21
	s_add_i32 s21, s22, s17
	ds_read2_b32 v[28:29], v28 offset1:1
	s_waitcnt lgkmcnt(3)
	v_fma_f32 v18, -v6, v23, v18
	v_mov_b32_e32 v23, s21
	s_add_i32 s21, s22, s18
	s_waitcnt lgkmcnt(2)
	v_fma_f32 v18, -v7, v25, v18
	v_mov_b32_e32 v25, s21
	s_add_i32 s21, s22, s19
	;; [unrolled: 4-line block ×3, first 2 shown]
	v_mov_b32_e32 v36, s21
	ds_read2_b32 v[30:31], v23 offset1:1
	ds_read2_b32 v[32:33], v25 offset1:1
	;; [unrolled: 1-line block ×4, first 2 shown]
	s_waitcnt lgkmcnt(4)
	v_fma_f32 v18, -v9, v29, v18
	v_fma_f32 v20, -v4, v39, v20
	s_waitcnt lgkmcnt(3)
	v_fma_f32 v18, -v12, v31, v18
	s_add_i32 s21, s8, 0xfffffc40
	v_fma_f32 v20, -v5, v41, v20
	s_waitcnt lgkmcnt(2)
	v_fma_f32 v18, -v13, v33, v18
	s_add_i32 s22, s22, s21
	v_fma_f32 v20, -v6, v22, v20
	s_waitcnt lgkmcnt(1)
	v_fma_f32 v18, -v15, v35, v18
	v_mov_b32_e32 v23, s22
	v_fma_f32 v20, -v7, v24, v20
	s_waitcnt lgkmcnt(0)
	v_fma_f32 v18, -v16, v37, v18
	ds_read2_b32 v[37:38], v23 offset1:1
	v_fma_f32 v20, -v8, v26, v20
	v_fma_f32 v20, -v9, v28, v20
	s_add_i32 s22, s23, 0xfffffbe0
	s_sub_i32 s24, s11, 52
	v_fma_f32 v20, -v12, v30, v20
	v_mov_b32_e32 v23, s22
	s_add_i32 s25, s24, s8
	s_add_i32 s22, s24, s12
	v_fma_f32 v20, -v13, v32, v20
	v_mov_b32_e32 v25, s25
	v_mov_b32_e32 v27, s22
	ds_read_b32 v23, v23
	ds_read2_b32 v[42:43], v25 offset1:1
	ds_read2_b32 v[44:45], v27 offset1:1
	v_fma_f32 v20, -v15, v34, v20
	s_waitcnt lgkmcnt(3)
	v_mul_f32_e32 v18, v18, v38
	v_fma_f32 v20, -v16, v36, v20
	v_fma_f32 v20, -v18, v37, v20
	s_add_i32 s22, s8, 0xfffffbe0
	s_waitcnt lgkmcnt(2)
	v_mul_f32_e32 v20, v20, v23
	v_add_u32_e32 v22, s22, v21
	s_add_i32 s23, s24, s10
	ds_write_b32 v22, v20
	v_mov_b32_e32 v22, s23
	s_add_i32 s23, s24, s13
	v_add_u32_e32 v25, s21, v21
	v_mov_b32_e32 v24, s23
	s_add_i32 s23, s24, s14
	ds_write_b32 v25, v18
	v_mov_b32_e32 v26, s23
	ds_read2_b32 v[22:23], v22 offset1:1
	ds_read2_b32 v[24:25], v24 offset1:1
	;; [unrolled: 1-line block ×3, first 2 shown]
	s_waitcnt lgkmcnt(6)
	v_fma_f32 v19, -v4, v43, v19
	s_add_i32 s23, s24, s15
	s_waitcnt lgkmcnt(5)
	v_fma_f32 v19, -v5, v45, v19
	v_mov_b32_e32 v28, s23
	s_add_i32 s23, s24, s17
	ds_read2_b32 v[28:29], v28 offset1:1
	s_waitcnt lgkmcnt(3)
	v_fma_f32 v19, -v6, v23, v19
	v_mov_b32_e32 v23, s23
	s_add_i32 s23, s24, s18
	s_waitcnt lgkmcnt(2)
	v_fma_f32 v19, -v7, v25, v19
	v_mov_b32_e32 v25, s23
	s_add_i32 s23, s24, s19
	;; [unrolled: 4-line block ×3, first 2 shown]
	v_mov_b32_e32 v36, s23
	v_fma_f32 v17, -v4, v42, v17
	ds_read2_b32 v[30:31], v23 offset1:1
	ds_read2_b32 v[32:33], v25 offset1:1
	;; [unrolled: 1-line block ×4, first 2 shown]
	v_fma_f32 v17, -v5, v44, v17
	s_waitcnt lgkmcnt(4)
	v_fma_f32 v19, -v9, v29, v19
	s_add_i32 s23, s24, s21
	v_fma_f32 v17, -v6, v22, v17
	s_waitcnt lgkmcnt(3)
	v_fma_f32 v19, -v12, v31, v19
	v_mov_b32_e32 v23, s23
	s_add_i32 s23, s24, s22
	v_fma_f32 v17, -v7, v24, v17
	s_waitcnt lgkmcnt(2)
	v_fma_f32 v19, -v13, v33, v19
	v_mov_b32_e32 v25, s23
	s_add_i32 s23, s8, 0xfffffb80
	v_fma_f32 v17, -v8, v26, v17
	s_waitcnt lgkmcnt(1)
	v_fma_f32 v19, -v15, v35, v19
	s_add_i32 s24, s24, s23
	v_fma_f32 v17, -v9, v28, v17
	s_waitcnt lgkmcnt(0)
	v_fma_f32 v19, -v16, v37, v19
	v_mov_b32_e32 v27, s24
	ds_read2_b32 v[37:38], v23 offset1:1
	ds_read2_b32 v[39:40], v25 offset1:1
	;; [unrolled: 1-line block ×3, first 2 shown]
	s_add_i32 s24, s25, 0xfffffb20
	v_fma_f32 v17, -v12, v30, v17
	v_mov_b32_e32 v23, s24
	v_fma_f32 v17, -v13, v32, v17
	ds_read_b32 v23, v23
	v_fma_f32 v17, -v15, v34, v17
	s_sub_i32 s26, s11, 60
	s_waitcnt lgkmcnt(3)
	v_fma_f32 v19, -v18, v38, v19
	v_fma_f32 v17, -v16, v36, v17
	s_add_i32 s25, s26, s12
	s_waitcnt lgkmcnt(2)
	v_fma_f32 v19, -v20, v40, v19
	v_fma_f32 v17, -v18, v37, v17
	v_mov_b32_e32 v24, s25
	s_add_i32 s25, s26, s10
	s_waitcnt lgkmcnt(1)
	v_mul_f32_e32 v19, v19, v46
	v_add_u32_e32 v25, s23, v21
	v_fma_f32 v17, -v20, v39, v17
	s_add_i32 s27, s26, s8
	v_mov_b32_e32 v26, s25
	s_add_i32 s25, s26, s13
	ds_write_b32 v25, v19
	v_fma_f32 v17, -v19, v45, v17
	v_mov_b32_e32 v22, s27
	v_mov_b32_e32 v28, s25
	s_waitcnt lgkmcnt(1)
	v_mul_f32_e32 v17, v17, v23
	ds_read2_b32 v[22:23], v22 offset1:1
	ds_read2_b32 v[24:25], v24 offset1:1
	;; [unrolled: 1-line block ×4, first 2 shown]
	s_add_i32 s25, s26, s14
	s_add_i32 s24, s8, 0xfffffb20
	s_waitcnt lgkmcnt(3)
	v_fma_f32 v14, -v4, v23, v14
	v_mov_b32_e32 v23, s25
	s_add_i32 s25, s26, s15
	v_add_u32_e32 v30, s24, v21
	s_waitcnt lgkmcnt(2)
	v_fma_f32 v14, -v5, v25, v14
	v_mov_b32_e32 v25, s25
	s_add_i32 s25, s26, s17
	ds_write_b32 v30, v17
	s_waitcnt lgkmcnt(2)
	v_fma_f32 v14, -v6, v27, v14
	v_mov_b32_e32 v27, s25
	s_add_i32 s25, s26, s18
	s_waitcnt lgkmcnt(1)
	v_fma_f32 v14, -v7, v29, v14
	ds_read2_b32 v[29:30], v23 offset1:1
	ds_read2_b32 v[31:32], v25 offset1:1
	;; [unrolled: 1-line block ×3, first 2 shown]
	v_mov_b32_e32 v23, s25
	ds_read2_b32 v[35:36], v23 offset1:1
	s_add_i32 s25, s26, s19
	v_mov_b32_e32 v23, s25
	s_add_i32 s25, s26, s20
	v_fma_f32 v11, -v4, v22, v11
	s_waitcnt lgkmcnt(3)
	v_fma_f32 v14, -v8, v30, v14
	v_mov_b32_e32 v25, s25
	s_add_i32 s25, s26, s21
	v_fma_f32 v11, -v5, v24, v11
	s_waitcnt lgkmcnt(2)
	v_fma_f32 v14, -v9, v32, v14
	;; [unrolled: 5-line block ×3, first 2 shown]
	v_mov_b32_e32 v30, s25
	ds_read2_b32 v[37:38], v23 offset1:1
	ds_read2_b32 v[39:40], v25 offset1:1
	;; [unrolled: 1-line block ×4, first 2 shown]
	v_fma_f32 v11, -v7, v28, v11
	s_waitcnt lgkmcnt(4)
	v_fma_f32 v14, -v13, v36, v14
	s_add_i32 s25, s26, s23
	v_fma_f32 v11, -v8, v29, v11
	s_waitcnt lgkmcnt(3)
	v_fma_f32 v14, -v15, v38, v14
	v_mov_b32_e32 v23, s25
	s_add_i32 s25, s26, s24
	v_fma_f32 v11, -v9, v31, v11
	s_waitcnt lgkmcnt(2)
	v_fma_f32 v14, -v16, v40, v14
	v_mov_b32_e32 v25, s25
	s_add_i32 s25, s8, 0xfffffac0
	v_fma_f32 v11, -v12, v33, v11
	s_waitcnt lgkmcnt(1)
	v_fma_f32 v14, -v18, v42, v14
	s_add_i32 s26, s26, s25
	v_fma_f32 v11, -v13, v35, v11
	s_waitcnt lgkmcnt(0)
	v_fma_f32 v14, -v20, v44, v14
	v_mov_b32_e32 v27, s26
	ds_read2_b32 v[44:45], v23 offset1:1
	ds_read2_b32 v[46:47], v25 offset1:1
	;; [unrolled: 1-line block ×3, first 2 shown]
	s_add_i32 s26, s27, 0xfffffa60
	v_fma_f32 v11, -v15, v37, v11
	v_mov_b32_e32 v23, s26
	v_fma_f32 v11, -v16, v39, v11
	ds_read_b32 v23, v23
	v_fma_f32 v11, -v18, v41, v11
	s_waitcnt lgkmcnt(3)
	v_fma_f32 v14, -v19, v45, v14
	v_fma_f32 v11, -v20, v43, v11
	s_waitcnt lgkmcnt(2)
	v_fma_f32 v14, -v17, v47, v14
	v_fma_f32 v11, -v19, v44, v11
	s_waitcnt lgkmcnt(1)
	v_mul_f32_e32 v14, v14, v49
	v_fma_f32 v11, -v17, v46, v11
	s_add_i32 s27, s11, 0xffffffbc
	v_fma_f32 v11, -v14, v48, v11
	s_add_i32 s26, s8, 0xfffffa60
	s_add_i32 s29, s27, s12
	v_add_u32_e32 v25, s25, v21
	s_waitcnt lgkmcnt(0)
	v_mul_f32_e32 v56, v11, v23
	v_add_u32_e32 v11, s26, v21
	s_add_i32 s28, s27, s8
	v_mov_b32_e32 v24, s29
	s_add_i32 s29, s27, s10
	ds_write_b32 v25, v14
	ds_write_b32 v11, v56
	v_mov_b32_e32 v11, s28
	v_mov_b32_e32 v26, s29
	ds_read2_b32 v[22:23], v11 offset1:1
	ds_read2_b32 v[24:25], v24 offset1:1
	;; [unrolled: 1-line block ×3, first 2 shown]
	s_add_i32 s29, s27, s13
	v_mov_b32_e32 v11, s29
	s_waitcnt lgkmcnt(2)
	v_fma_f32 v10, -v4, v23, v10
	s_waitcnt lgkmcnt(1)
	v_fma_f32 v10, -v5, v25, v10
	s_add_i32 s29, s27, s14
	ds_read2_b32 v[28:29], v11 offset1:1
	s_waitcnt lgkmcnt(1)
	v_fma_f32 v23, -v6, v27, v10
	v_mov_b32_e32 v10, s29
	s_add_i32 s29, s27, s15
	v_mov_b32_e32 v25, s29
	s_add_i32 s29, s27, s17
	;; [unrolled: 2-line block ×3, first 2 shown]
	v_mov_b32_e32 v34, s29
	ds_read2_b32 v[10:11], v10 offset1:1
	ds_read2_b32 v[30:31], v25 offset1:1
	;; [unrolled: 1-line block ×4, first 2 shown]
	s_waitcnt lgkmcnt(4)
	v_fma_f32 v23, -v7, v29, v23
	s_add_i32 s29, s27, s19
	s_waitcnt lgkmcnt(3)
	v_fma_f32 v11, -v8, v11, v23
	v_mov_b32_e32 v23, s29
	s_add_i32 s29, s27, s20
	s_waitcnt lgkmcnt(2)
	v_fma_f32 v11, -v9, v31, v11
	v_mov_b32_e32 v25, s29
	;; [unrolled: 4-line block ×3, first 2 shown]
	s_add_i32 s29, s27, s22
	s_waitcnt lgkmcnt(0)
	v_fma_f32 v11, -v13, v35, v11
	ds_read2_b32 v[35:36], v23 offset1:1
	ds_read2_b32 v[37:38], v25 offset1:1
	;; [unrolled: 1-line block ×3, first 2 shown]
	v_mov_b32_e32 v23, s29
	v_fma_f32 v3, -v4, v22, v3
	ds_read2_b32 v[41:42], v23 offset1:1
	s_add_i32 s29, s27, s23
	v_fma_f32 v3, -v5, v24, v3
	v_mov_b32_e32 v23, s29
	s_add_i32 s29, s27, s24
	v_fma_f32 v3, -v6, v26, v3
	s_waitcnt lgkmcnt(3)
	v_fma_f32 v11, -v15, v36, v11
	v_mov_b32_e32 v25, s29
	s_add_i32 s29, s27, s25
	v_fma_f32 v3, -v7, v28, v3
	s_waitcnt lgkmcnt(2)
	;; [unrolled: 5-line block ×3, first 2 shown]
	v_fma_f32 v11, -v18, v40, v11
	v_mov_b32_e32 v29, s29
	ds_read2_b32 v[43:44], v23 offset1:1
	ds_read2_b32 v[45:46], v25 offset1:1
	;; [unrolled: 1-line block ×4, first 2 shown]
	v_fma_f32 v3, -v9, v30, v3
	s_waitcnt lgkmcnt(4)
	v_fma_f32 v11, -v20, v42, v11
	v_fma_f32 v3, -v12, v32, v3
	s_waitcnt lgkmcnt(3)
	v_fma_f32 v11, -v19, v44, v11
	s_add_i32 s29, s8, 0xfffffa00
	v_fma_f32 v3, -v13, v34, v3
	s_waitcnt lgkmcnt(2)
	v_fma_f32 v11, -v17, v46, v11
	s_add_i32 s27, s27, s29
	v_fma_f32 v3, -v15, v35, v3
	s_waitcnt lgkmcnt(1)
	v_fma_f32 v11, -v14, v48, v11
	v_mov_b32_e32 v23, s27
	s_add_i32 s27, s28, 0xfffff9a0
	s_addk_i32 s11, 0xffb4
	v_fma_f32 v3, -v16, v37, v3
	s_waitcnt lgkmcnt(0)
	v_fma_f32 v11, -v56, v50, v11
	ds_read2_b32 v[50:51], v23 offset1:1
	v_mov_b32_e32 v23, s27
	s_add_i32 s27, s11, s8
	s_add_i32 s12, s11, s12
	v_fma_f32 v3, -v18, v39, v3
	v_mov_b32_e32 v25, s27
	v_mov_b32_e32 v27, s12
	ds_read_b32 v23, v23
	ds_read2_b32 v[52:53], v25 offset1:1
	ds_read2_b32 v[54:55], v27 offset1:1
	v_fma_f32 v3, -v20, v41, v3
	v_fma_f32 v3, -v19, v43, v3
	;; [unrolled: 1-line block ×4, first 2 shown]
	s_add_i32 s10, s11, s10
	s_waitcnt lgkmcnt(3)
	v_mul_f32_e32 v51, v11, v51
	v_fma_f32 v3, -v56, v49, v3
	s_waitcnt lgkmcnt(1)
	v_fma_f32 v26, -v4, v53, v2
	v_mov_b32_e32 v2, s10
	s_add_i32 s10, s11, s13
	v_fma_f32 v3, -v51, v50, v3
	s_add_i32 s12, s8, 0xfffff9a0
	v_mov_b32_e32 v10, s10
	s_add_i32 s10, s11, s14
	v_add_u32_e32 v11, s29, v21
	v_mul_f32_e32 v50, v3, v23
	v_add_u32_e32 v3, s12, v21
	v_mov_b32_e32 v22, s10
	s_add_i32 s10, s11, s15
	ds_write_b32 v11, v51
	ds_write_b32 v3, v50
	v_mov_b32_e32 v24, s10
	ds_read2_b32 v[2:3], v2 offset1:1
	ds_read2_b32 v[10:11], v10 offset1:1
	ds_read2_b32 v[22:23], v22 offset1:1
	ds_read2_b32 v[24:25], v24 offset1:1
	s_waitcnt lgkmcnt(6)
	v_fma_f32 v26, -v5, v55, v26
	s_waitcnt lgkmcnt(3)
	v_fma_f32 v3, -v6, v3, v26
	s_add_i32 s10, s11, s17
	s_waitcnt lgkmcnt(2)
	v_fma_f32 v3, -v7, v11, v3
	v_mov_b32_e32 v11, s10
	s_add_i32 s10, s11, s18
	s_waitcnt lgkmcnt(1)
	v_fma_f32 v3, -v8, v23, v3
	v_mov_b32_e32 v23, s10
	s_add_i32 s10, s11, s19
	v_mov_b32_e32 v29, s10
	s_add_i32 s10, s11, s20
	s_waitcnt lgkmcnt(0)
	v_fma_f32 v3, -v9, v25, v3
	ds_read2_b32 v[25:26], v11 offset1:1
	ds_read2_b32 v[27:28], v23 offset1:1
	ds_read2_b32 v[29:30], v29 offset1:1
	v_mov_b32_e32 v11, s10
	v_fma_f32 v1, -v4, v52, v1
	ds_read2_b32 v[31:32], v11 offset1:1
	s_add_i32 s10, s11, s21
	v_fma_f32 v1, -v5, v54, v1
	v_mov_b32_e32 v11, s10
	s_add_i32 s10, s11, s22
	v_fma_f32 v1, -v6, v2, v1
	s_waitcnt lgkmcnt(3)
	v_fma_f32 v3, -v12, v26, v3
	v_mov_b32_e32 v23, s10
	s_add_i32 s10, s11, s23
	v_fma_f32 v1, -v7, v10, v1
	s_waitcnt lgkmcnt(2)
	;; [unrolled: 5-line block ×3, first 2 shown]
	v_fma_f32 v3, -v15, v30, v3
	v_mov_b32_e32 v28, s10
	ds_read2_b32 v[33:34], v11 offset1:1
	ds_read2_b32 v[35:36], v23 offset1:1
	;; [unrolled: 1-line block ×4, first 2 shown]
	v_fma_f32 v1, -v9, v24, v1
	s_waitcnt lgkmcnt(4)
	v_fma_f32 v3, -v16, v32, v3
	s_add_i32 s10, s11, s25
	v_fma_f32 v1, -v12, v25, v1
	s_waitcnt lgkmcnt(3)
	v_fma_f32 v3, -v18, v34, v3
	v_mov_b32_e32 v11, s10
	s_add_i32 s10, s11, s26
	v_fma_f32 v1, -v13, v27, v1
	s_waitcnt lgkmcnt(2)
	v_fma_f32 v3, -v20, v36, v3
	v_mov_b32_e32 v23, s10
	;; [unrolled: 5-line block ×3, first 2 shown]
	s_add_i32 s10, s11, s12
	s_addk_i32 s8, 0xf940
	v_fma_f32 v1, -v16, v31, v1
	s_waitcnt lgkmcnt(0)
	v_fma_f32 v3, -v17, v40, v3
	ds_read2_b32 v[40:41], v11 offset1:1
	ds_read2_b32 v[42:43], v23 offset1:1
	;; [unrolled: 1-line block ×3, first 2 shown]
	v_mov_b32_e32 v11, s10
	s_add_i32 s10, s11, s8
	v_fma_f32 v1, -v18, v33, v1
	ds_read2_b32 v[46:47], v11 offset1:1
	v_mov_b32_e32 v11, s10
	v_fma_f32 v1, -v20, v35, v1
	ds_read2_b32 v[48:49], v11 offset1:1
	s_add_i32 s10, s27, 0xfffff8e0
	v_fma_f32 v1, -v19, v37, v1
	s_waitcnt lgkmcnt(4)
	v_fma_f32 v3, -v14, v41, v3
	v_mov_b32_e32 v11, s10
	v_fma_f32 v1, -v17, v39, v1
	s_waitcnt lgkmcnt(3)
	v_fma_f32 v3, -v56, v43, v3
	ds_read_b32 v11, v11
	v_fma_f32 v1, -v14, v40, v1
	s_waitcnt lgkmcnt(3)
	v_fma_f32 v3, -v51, v45, v3
	v_fma_f32 v1, -v56, v42, v1
	s_waitcnt lgkmcnt(2)
	v_fma_f32 v3, -v50, v47, v3
	v_fma_f32 v1, -v51, v44, v1
	s_waitcnt lgkmcnt(1)
	v_mul_f32_e32 v3, v3, v49
	v_fma_f32 v1, -v50, v46, v1
	v_add_u32_e32 v4, s8, v21
	v_fma_f32 v1, -v3, v48, v1
	s_waitcnt lgkmcnt(0)
	v_mul_f32_e32 v1, v1, v11
	v_add_u32_e32 v2, 0xffffffa0, v4
	s_sub_i32 s5, s5, 20
	ds_write_b32 v4, v3
	ds_write_b32 v2, v1
.LBB26_33:
	s_cmp_lt_i32 s5, 0
	s_cbranch_scc1 .LBB26_50
; %bb.34:
	s_and_b32 s8, s5, 3
	s_cmp_eq_u32 s8, 3
	s_mul_i32 s10, s16, 0x60
	s_mov_b32 s8, s5
	s_cbranch_scc1 .LBB26_39
; %bb.35:
	s_add_i32 s8, s5, 1
	s_and_b32 s11, s8, 3
	s_lshl_b32 s8, s5, 2
	s_add_i32 s8, s10, s8
	v_lshl_add_u32 v1, v0, 2, s10
	s_add_i32 s12, s8, 0xffffffa0
	v_add_u32_e32 v1, 0x8a0, v1
	s_mov_b32 s13, 0
	s_mov_b32 s8, s5
	s_branch .LBB26_37
.LBB26_36:                              ;   in Loop: Header=BB26_37 Depth=1
	s_mul_i32 s14, s8, 0x64
	v_mov_b32_e32 v4, s14
	ds_read_b32 v4, v4
	s_add_i32 s8, s8, -1
	s_add_i32 s13, s13, 1
	s_add_i32 s12, s12, -4
	s_cmp_lg_u32 s13, s11
	s_waitcnt lgkmcnt(0)
	v_mul_f32_e32 v3, v3, v4
	ds_write_b32 v2, v3
	s_cbranch_scc0 .LBB26_39
.LBB26_37:                              ; =>This Loop Header: Depth=1
                                        ;     Child Loop BB26_38 Depth 2
	s_mul_i32 s14, s8, 0x60
	v_add_u32_e32 v2, s14, v21
	ds_read_b32 v3, v2
	s_cmp_le_i32 s4, s8
	v_mov_b32_e32 v4, v1
	s_mov_b32 s14, s12
	s_mov_b32 s15, s4
	s_cbranch_scc1 .LBB26_36
.LBB26_38:                              ;   Parent Loop BB26_37 Depth=1
                                        ; =>  This Inner Loop Header: Depth=2
	v_mov_b32_e32 v6, s14
	ds_read_b32 v5, v4
	ds_read_b32 v6, v6
	s_add_i32 s15, s15, -1
	s_addk_i32 s14, 0xffa0
	v_add_u32_e32 v4, 0xffffffa0, v4
	s_cmp_gt_i32 s15, s8
	s_waitcnt lgkmcnt(0)
	v_fma_f32 v3, -v5, v6, v3
	s_cbranch_scc1 .LBB26_38
	s_branch .LBB26_36
.LBB26_39:
	s_cmp_lt_u32 s5, 3
	s_cbranch_scc1 .LBB26_50
; %bb.40:
	s_lshl_b32 s5, s8, 2
	s_add_i32 s12, s10, s5
	v_lshl_add_u32 v1, v0, 2, s10
	s_add_i32 s5, s12, 0xffffffa0
	v_add_u32_e32 v1, 0x8a0, v1
	s_add_i32 s10, s12, 0xffffff9c
	s_add_i32 s11, s12, 0xffffff98
	s_addk_i32 s12, 0xff94
	s_branch .LBB26_42
.LBB26_41:                              ;   in Loop: Header=BB26_42 Depth=1
	s_add_i32 s13, s14, 0xffffff9c
	v_mov_b32_e32 v3, s13
	ds_read_b32 v3, v3
	s_add_i32 s13, s8, -4
	s_add_i32 s5, s5, -16
	;; [unrolled: 1-line block ×5, first 2 shown]
	s_waitcnt lgkmcnt(0)
	v_mul_f32_e32 v3, v5, v3
	s_cmp_lt_i32 s8, 4
	s_mov_b32 s8, s13
	ds_write_b32 v2, v3
	s_cbranch_scc1 .LBB26_50
.LBB26_42:                              ; =>This Loop Header: Depth=1
                                        ;     Child Loop BB26_43 Depth 2
                                        ;     Child Loop BB26_45 Depth 2
                                        ;     Child Loop BB26_47 Depth 2
                                        ;     Child Loop BB26_49 Depth 2
	s_mul_i32 s13, s8, 0x60
	v_add_u32_e32 v3, s13, v21
	ds_read_b32 v4, v3
	s_cmp_le_i32 s4, s8
	v_mov_b32_e32 v2, v1
	s_mov_b32 s14, s5
	s_mov_b32 s15, s4
	s_cbranch_scc1 .LBB26_44
.LBB26_43:                              ;   Parent Loop BB26_42 Depth=1
                                        ; =>  This Inner Loop Header: Depth=2
	v_mov_b32_e32 v6, s14
	ds_read_b32 v5, v2
	ds_read_b32 v6, v6
	s_add_i32 s15, s15, -1
	s_addk_i32 s14, 0xffa0
	v_add_u32_e32 v2, 0xffffffa0, v2
	s_cmp_gt_i32 s15, s8
	s_waitcnt lgkmcnt(0)
	v_fma_f32 v4, -v5, v6, v4
	s_cbranch_scc1 .LBB26_43
.LBB26_44:                              ;   in Loop: Header=BB26_42 Depth=1
	s_mul_i32 s14, s8, 0x64
	v_mov_b32_e32 v2, s14
	ds_read_b32 v6, v2
	s_addk_i32 s13, 0xffa0
	v_add_u32_e32 v2, s13, v21
	ds_read_b32 v5, v2
	s_cmp_le_i32 s16, s8
	s_waitcnt lgkmcnt(1)
	v_mul_f32_e32 v4, v4, v6
	ds_write_b32 v3, v4
	v_mov_b32_e32 v3, v1
	s_mov_b32 s15, s10
	s_mov_b32 s17, s16
	s_cbranch_scc1 .LBB26_46
.LBB26_45:                              ;   Parent Loop BB26_42 Depth=1
                                        ; =>  This Inner Loop Header: Depth=2
	v_mov_b32_e32 v6, s15
	ds_read_b32 v4, v3
	ds_read_b32 v6, v6
	s_add_i32 s17, s17, -1
	s_addk_i32 s15, 0xffa0
	v_add_u32_e32 v3, 0xffffffa0, v3
	s_cmp_gt_i32 s17, s8
	s_waitcnt lgkmcnt(0)
	v_fma_f32 v5, -v4, v6, v5
	s_cbranch_scc1 .LBB26_45
.LBB26_46:                              ;   in Loop: Header=BB26_42 Depth=1
	s_addk_i32 s14, 0xff9c
	v_mov_b32_e32 v3, s14
	ds_read_b32 v6, v3
	s_addk_i32 s13, 0xffa0
	v_add_u32_e32 v3, s13, v21
	ds_read_b32 v4, v3
	s_add_i32 s15, s8, -2
	s_waitcnt lgkmcnt(1)
	v_mul_f32_e32 v5, v5, v6
	ds_write_b32 v2, v5
	s_cmp_le_i32 s4, s15
	v_mov_b32_e32 v2, v1
	s_mov_b32 s17, s11
	s_mov_b32 s18, s4
	s_cbranch_scc1 .LBB26_48
.LBB26_47:                              ;   Parent Loop BB26_42 Depth=1
                                        ; =>  This Inner Loop Header: Depth=2
	v_mov_b32_e32 v6, s17
	ds_read_b32 v5, v2
	ds_read_b32 v6, v6
	s_add_i32 s18, s18, -1
	s_addk_i32 s17, 0xffa0
	v_add_u32_e32 v2, 0xffffffa0, v2
	s_cmp_gt_i32 s18, s15
	s_waitcnt lgkmcnt(0)
	v_fma_f32 v4, -v5, v6, v4
	s_cbranch_scc1 .LBB26_47
.LBB26_48:                              ;   in Loop: Header=BB26_42 Depth=1
	s_addk_i32 s14, 0xff9c
	v_mov_b32_e32 v2, s14
	ds_read_b32 v6, v2
	s_addk_i32 s13, 0xffa0
	v_add_u32_e32 v2, s13, v21
	ds_read_b32 v5, v2
	s_add_i32 s15, s8, -3
	s_waitcnt lgkmcnt(1)
	v_mul_f32_e32 v4, v4, v6
	ds_write_b32 v3, v4
	s_cmp_le_i32 s4, s15
	v_mov_b32_e32 v3, v1
	s_mov_b32 s13, s12
	s_mov_b32 s17, s4
	s_cbranch_scc1 .LBB26_41
.LBB26_49:                              ;   Parent Loop BB26_42 Depth=1
                                        ; =>  This Inner Loop Header: Depth=2
	v_mov_b32_e32 v6, s13
	ds_read_b32 v4, v3
	ds_read_b32 v6, v6
	s_add_i32 s17, s17, -1
	s_addk_i32 s13, 0xffa0
	v_add_u32_e32 v3, 0xffffffa0, v3
	s_cmp_gt_i32 s17, s15
	s_waitcnt lgkmcnt(0)
	v_fma_f32 v5, -v4, v6, v5
	s_cbranch_scc1 .LBB26_49
	s_branch .LBB26_41
.LBB26_50:
	s_waitcnt lgkmcnt(0)
	; wave barrier
	s_and_saveexec_b64 s[4:5], s[0:1]
	s_cbranch_execz .LBB26_54
; %bb.51:
	s_andn2_b64 vcc, exec, s[2:3]
	s_cbranch_vccnz .LBB26_54
; %bb.52:
	v_mad_i64_i32 v[1:2], s[0:1], s9, v0, 0
	v_mov_b32_e32 v3, s7
	v_lshlrev_b64 v[1:2], 2, v[1:2]
	v_add_co_u32_e32 v1, vcc, s6, v1
	v_addc_co_u32_e32 v2, vcc, v3, v2, vcc
	v_mov_b32_e32 v3, 0x900
	v_lshl_or_b32 v0, v0, 2, v3
.LBB26_53:                              ; =>This Inner Loop Header: Depth=1
	ds_read_b32 v3, v0
	s_add_i32 s16, s16, -1
	v_add_u32_e32 v0, 0x60, v0
	s_cmp_lg_u32 s16, 0
	s_waitcnt lgkmcnt(0)
	global_store_dword v[1:2], v3, off
	v_add_co_u32_e32 v1, vcc, 4, v1
	v_addc_co_u32_e32 v2, vcc, 0, v2, vcc
	s_cbranch_scc1 .LBB26_53
.LBB26_54:
	s_endpgm
	.section	.rodata,"a",@progbits
	.p2align	6, 0x0
	.amdhsa_kernel _ZL38rocblas_trsm_small_left_device_sharedBILi24ELi24ELb0EffPKfPfEv13rocblas_fill_18rocblas_operation_17rocblas_diagonal_iiT3_T4_lilT5_lili
		.amdhsa_group_segment_fixed_size 4608
		.amdhsa_private_segment_fixed_size 0
		.amdhsa_kernarg_size 352
		.amdhsa_user_sgpr_count 6
		.amdhsa_user_sgpr_private_segment_buffer 1
		.amdhsa_user_sgpr_dispatch_ptr 0
		.amdhsa_user_sgpr_queue_ptr 0
		.amdhsa_user_sgpr_kernarg_segment_ptr 1
		.amdhsa_user_sgpr_dispatch_id 0
		.amdhsa_user_sgpr_flat_scratch_init 0
		.amdhsa_user_sgpr_private_segment_size 0
		.amdhsa_uses_dynamic_stack 0
		.amdhsa_system_sgpr_private_segment_wavefront_offset 0
		.amdhsa_system_sgpr_workgroup_id_x 1
		.amdhsa_system_sgpr_workgroup_id_y 0
		.amdhsa_system_sgpr_workgroup_id_z 1
		.amdhsa_system_sgpr_workgroup_info 0
		.amdhsa_system_vgpr_workitem_id 0
		.amdhsa_next_free_vgpr 77
		.amdhsa_next_free_sgpr 98
		.amdhsa_reserve_vcc 1
		.amdhsa_reserve_flat_scratch 0
		.amdhsa_float_round_mode_32 0
		.amdhsa_float_round_mode_16_64 0
		.amdhsa_float_denorm_mode_32 3
		.amdhsa_float_denorm_mode_16_64 3
		.amdhsa_dx10_clamp 1
		.amdhsa_ieee_mode 1
		.amdhsa_fp16_overflow 0
		.amdhsa_exception_fp_ieee_invalid_op 0
		.amdhsa_exception_fp_denorm_src 0
		.amdhsa_exception_fp_ieee_div_zero 0
		.amdhsa_exception_fp_ieee_overflow 0
		.amdhsa_exception_fp_ieee_underflow 0
		.amdhsa_exception_fp_ieee_inexact 0
		.amdhsa_exception_int_div_zero 0
	.end_amdhsa_kernel
	.section	.text._ZL38rocblas_trsm_small_left_device_sharedBILi24ELi24ELb0EffPKfPfEv13rocblas_fill_18rocblas_operation_17rocblas_diagonal_iiT3_T4_lilT5_lili,"axG",@progbits,_ZL38rocblas_trsm_small_left_device_sharedBILi24ELi24ELb0EffPKfPfEv13rocblas_fill_18rocblas_operation_17rocblas_diagonal_iiT3_T4_lilT5_lili,comdat
.Lfunc_end26:
	.size	_ZL38rocblas_trsm_small_left_device_sharedBILi24ELi24ELb0EffPKfPfEv13rocblas_fill_18rocblas_operation_17rocblas_diagonal_iiT3_T4_lilT5_lili, .Lfunc_end26-_ZL38rocblas_trsm_small_left_device_sharedBILi24ELi24ELb0EffPKfPfEv13rocblas_fill_18rocblas_operation_17rocblas_diagonal_iiT3_T4_lilT5_lili
                                        ; -- End function
	.set _ZL38rocblas_trsm_small_left_device_sharedBILi24ELi24ELb0EffPKfPfEv13rocblas_fill_18rocblas_operation_17rocblas_diagonal_iiT3_T4_lilT5_lili.num_vgpr, 77
	.set _ZL38rocblas_trsm_small_left_device_sharedBILi24ELi24ELb0EffPKfPfEv13rocblas_fill_18rocblas_operation_17rocblas_diagonal_iiT3_T4_lilT5_lili.num_agpr, 0
	.set _ZL38rocblas_trsm_small_left_device_sharedBILi24ELi24ELb0EffPKfPfEv13rocblas_fill_18rocblas_operation_17rocblas_diagonal_iiT3_T4_lilT5_lili.numbered_sgpr, 30
	.set _ZL38rocblas_trsm_small_left_device_sharedBILi24ELi24ELb0EffPKfPfEv13rocblas_fill_18rocblas_operation_17rocblas_diagonal_iiT3_T4_lilT5_lili.num_named_barrier, 0
	.set _ZL38rocblas_trsm_small_left_device_sharedBILi24ELi24ELb0EffPKfPfEv13rocblas_fill_18rocblas_operation_17rocblas_diagonal_iiT3_T4_lilT5_lili.private_seg_size, 0
	.set _ZL38rocblas_trsm_small_left_device_sharedBILi24ELi24ELb0EffPKfPfEv13rocblas_fill_18rocblas_operation_17rocblas_diagonal_iiT3_T4_lilT5_lili.uses_vcc, 1
	.set _ZL38rocblas_trsm_small_left_device_sharedBILi24ELi24ELb0EffPKfPfEv13rocblas_fill_18rocblas_operation_17rocblas_diagonal_iiT3_T4_lilT5_lili.uses_flat_scratch, 0
	.set _ZL38rocblas_trsm_small_left_device_sharedBILi24ELi24ELb0EffPKfPfEv13rocblas_fill_18rocblas_operation_17rocblas_diagonal_iiT3_T4_lilT5_lili.has_dyn_sized_stack, 0
	.set _ZL38rocblas_trsm_small_left_device_sharedBILi24ELi24ELb0EffPKfPfEv13rocblas_fill_18rocblas_operation_17rocblas_diagonal_iiT3_T4_lilT5_lili.has_recursion, 0
	.set _ZL38rocblas_trsm_small_left_device_sharedBILi24ELi24ELb0EffPKfPfEv13rocblas_fill_18rocblas_operation_17rocblas_diagonal_iiT3_T4_lilT5_lili.has_indirect_call, 0
	.section	.AMDGPU.csdata,"",@progbits
; Kernel info:
; codeLenInByte = 17228
; TotalNumSgprs: 34
; NumVgprs: 77
; ScratchSize: 0
; MemoryBound: 0
; FloatMode: 240
; IeeeMode: 1
; LDSByteSize: 4608 bytes/workgroup (compile time only)
; SGPRBlocks: 12
; VGPRBlocks: 19
; NumSGPRsForWavesPerEU: 102
; NumVGPRsForWavesPerEU: 77
; Occupancy: 3
; WaveLimiterHint : 0
; COMPUTE_PGM_RSRC2:SCRATCH_EN: 0
; COMPUTE_PGM_RSRC2:USER_SGPR: 6
; COMPUTE_PGM_RSRC2:TRAP_HANDLER: 0
; COMPUTE_PGM_RSRC2:TGID_X_EN: 1
; COMPUTE_PGM_RSRC2:TGID_Y_EN: 0
; COMPUTE_PGM_RSRC2:TGID_Z_EN: 1
; COMPUTE_PGM_RSRC2:TIDIG_COMP_CNT: 0
	.section	.text._ZL30rocblas_trsm_small_left_deviceILi24ELi24ELb0EffPKfPfEv13rocblas_fill_18rocblas_operation_17rocblas_diagonal_iiT3_T4_lilT5_lili,"axG",@progbits,_ZL30rocblas_trsm_small_left_deviceILi24ELi24ELb0EffPKfPfEv13rocblas_fill_18rocblas_operation_17rocblas_diagonal_iiT3_T4_lilT5_lili,comdat
	.globl	_ZL30rocblas_trsm_small_left_deviceILi24ELi24ELb0EffPKfPfEv13rocblas_fill_18rocblas_operation_17rocblas_diagonal_iiT3_T4_lilT5_lili ; -- Begin function _ZL30rocblas_trsm_small_left_deviceILi24ELi24ELb0EffPKfPfEv13rocblas_fill_18rocblas_operation_17rocblas_diagonal_iiT3_T4_lilT5_lili
	.p2align	8
	.type	_ZL30rocblas_trsm_small_left_deviceILi24ELi24ELb0EffPKfPfEv13rocblas_fill_18rocblas_operation_17rocblas_diagonal_iiT3_T4_lilT5_lili,@function
_ZL30rocblas_trsm_small_left_deviceILi24ELi24ELb0EffPKfPfEv13rocblas_fill_18rocblas_operation_17rocblas_diagonal_iiT3_T4_lilT5_lili: ; @_ZL30rocblas_trsm_small_left_deviceILi24ELi24ELb0EffPKfPfEv13rocblas_fill_18rocblas_operation_17rocblas_diagonal_iiT3_T4_lilT5_lili
; %bb.0:
	s_load_dwordx4 s[0:3], s[4:5], 0x4
	s_load_dword s16, s[4:5], 0x14
	s_load_dwordx4 s[8:11], s[4:5], 0x30
	s_load_dwordx2 s[12:13], s[4:5], 0x40
	s_waitcnt lgkmcnt(0)
	s_min_i32 s17, s2, 24
	v_cmp_gt_i32_e32 vcc, s17, v0
	s_and_saveexec_b64 s[14:15], vcc
	s_cbranch_execz .LBB27_6
; %bb.1:
	s_load_dword s18, s[4:5], 0x28
	s_load_dwordx4 s[20:23], s[4:5], 0x18
	s_mul_i32 s9, s9, s7
	s_mul_hi_u32 s19, s8, s7
	s_add_i32 s9, s19, s9
	s_mul_i32 s8, s8, s7
	s_waitcnt lgkmcnt(0)
	s_ashr_i32 s19, s18, 31
	s_lshl_b64 s[8:9], s[8:9], 2
	s_add_u32 s20, s20, s8
	s_addc_u32 s21, s21, s9
	s_lshl_b64 s[8:9], s[22:23], 2
	s_add_u32 s8, s20, s8
	s_addc_u32 s9, s21, s9
	v_lshlrev_b32_e32 v3, 2, v0
	v_mov_b32_e32 v2, s9
	v_add_co_u32_e32 v1, vcc, s8, v3
	s_lshl_b64 s[8:9], s[18:19], 2
	v_addc_co_u32_e32 v2, vcc, 0, v2, vcc
	v_mov_b32_e32 v4, s9
	v_mov_b32_e32 v5, v3
	s_mov_b32 s9, s17
.LBB27_2:                               ; =>This Inner Loop Header: Depth=1
	global_load_dword v6, v[1:2], off
	v_add_co_u32_e32 v1, vcc, s8, v1
	s_add_i32 s9, s9, -1
	v_addc_co_u32_e32 v2, vcc, v2, v4, vcc
	s_cmp_eq_u32 s9, 0
	s_waitcnt vmcnt(0)
	ds_write_b32 v5, v6
	v_add_u32_e32 v5, 0x60, v5
	s_cbranch_scc0 .LBB27_2
; %bb.3:
	v_mul_u32_u24_e32 v1, 0x60, v0
	s_cmpk_lg_i32 s1, 0x84
	v_mov_b32_e32 v2, 1.0
	v_add_u32_e32 v1, v3, v1
	s_cbranch_scc0 .LBB27_5
; %bb.4:
	ds_read_b32 v2, v1
	s_waitcnt lgkmcnt(0)
	v_div_scale_f32 v3, s[8:9], v2, v2, 1.0
	v_div_scale_f32 v4, vcc, 1.0, v2, 1.0
	v_rcp_f32_e32 v5, v3
	v_fma_f32 v6, -v3, v5, 1.0
	v_fmac_f32_e32 v5, v6, v5
	v_mul_f32_e32 v6, v4, v5
	v_fma_f32 v7, -v3, v6, v4
	v_fmac_f32_e32 v6, v7, v5
	v_fma_f32 v3, -v3, v6, v4
	v_div_fmas_f32 v3, v3, v5, v6
	v_div_fixup_f32 v2, v3, v2, 1.0
.LBB27_5:
	ds_write_b32 v1, v2
.LBB27_6:
	s_or_b64 exec, exec, s[14:15]
	s_load_dword s1, s[4:5], 0x60
	s_mul_i32 s8, s6, 0xffffffe8
	s_add_i32 s3, s3, s8
	s_waitcnt lgkmcnt(0)
	; wave barrier
	s_add_i32 s1, s1, -1
	s_cmp_ge_u32 s6, s1
	s_cselect_b32 s1, s3, 24
	v_cmp_gt_i32_e32 vcc, s1, v0
	s_and_saveexec_b64 s[8:9], vcc
	s_cbranch_execz .LBB27_51
; %bb.7:
	s_load_dwordx2 s[8:9], s[4:5], 0x50
	s_load_dword s1, s[4:5], 0x48
	s_waitcnt lgkmcnt(0)
	s_mul_i32 s3, s9, s7
	s_mul_hi_u32 s5, s8, s7
	s_mul_i32 s4, s8, s7
	v_mad_u64_u32 v[0:1], s[6:7], s6, 24, v[0:1]
	s_add_i32 s5, s5, s3
	s_lshl_b64 s[4:5], s[4:5], 2
	v_mad_i64_i32 v[0:1], s[6:7], s1, v0, 0
	s_add_u32 s3, s10, s4
	s_addc_u32 s8, s11, s5
	s_lshl_b64 s[6:7], s[12:13], 2
	s_add_u32 s1, s3, s6
	v_lshlrev_b64 v[22:23], 2, v[0:1]
	s_addc_u32 s3, s8, s7
	v_mov_b32_e32 v0, s3
	v_add_co_u32_e32 v20, vcc, s1, v22
	v_addc_co_u32_e32 v21, vcc, v0, v23, vcc
	s_cmpk_eq_i32 s0, 0x6f
	s_mov_b64 s[0:1], -1
	s_cbranch_scc1 .LBB27_25
; %bb.8:
	s_cmp_lt_i32 s2, 24
	s_cselect_b64 s[8:9], -1, 0
	s_cmp_gt_i32 s2, 23
	s_cbranch_scc0 .LBB27_10
; %bb.9:
	global_load_dwordx4 v[0:3], v[20:21], off
	global_load_dwordx4 v[4:7], v[20:21], off offset:16
	global_load_dwordx4 v[12:15], v[20:21], off offset:32
	;; [unrolled: 1-line block ×3, first 2 shown]
	v_mov_b32_e32 v24, 0
	ds_read_b32 v18, v24
	ds_read_b64 v[16:17], v24 offset:96
	ds_read_b96 v[45:47], v24 offset:192
	ds_read_b128 v[8:11], v24 offset:288
	ds_read_b128 v[29:32], v24 offset:384
	ds_read_b32 v56, v24 offset:400
	ds_read_b128 v[33:36], v24 offset:480
	ds_read_b64 v[52:53], v24 offset:496
	ds_read_b128 v[37:40], v24 offset:576
	ds_read_b96 v[49:51], v24 offset:592
	ds_read_b128 v[41:44], v24 offset:672
	s_mov_b32 s0, 24
	s_waitcnt vmcnt(3)
	v_mul_f32_e32 v0, s16, v0
	s_waitcnt lgkmcnt(10)
	v_mul_f32_e32 v0, v0, v18
	s_waitcnt lgkmcnt(9)
	;; [unrolled: 2-line block ×3, first 2 shown]
	v_mul_f32_e32 v18, v0, v45
	v_fma_f32 v1, s16, v1, -v16
	s_waitcnt lgkmcnt(7)
	v_mul_f32_e32 v8, v0, v8
	v_fma_f32 v2, s16, v2, -v18
	v_mul_f32_e32 v1, v1, v17
	v_fma_f32 v3, s16, v3, -v8
	v_fma_f32 v2, -v1, v46, v2
	v_fma_f32 v3, -v1, v9, v3
	v_mul_f32_e32 v2, v2, v47
	s_waitcnt lgkmcnt(6)
	v_mul_f32_e32 v19, v0, v29
	s_waitcnt lgkmcnt(4)
	;; [unrolled: 2-line block ×4, first 2 shown]
	v_mul_f32_e32 v8, v0, v41
	v_fma_f32 v3, -v2, v10, v3
	s_waitcnt vmcnt(2)
	v_fma_f32 v37, s16, v4, -v19
	v_fma_f32 v41, s16, v5, -v29
	;; [unrolled: 1-line block ×4, first 2 shown]
	global_load_dwordx4 v[4:7], v[20:21], off offset:80
	global_load_dwordx4 v[16:19], v[20:21], off offset:64
	v_mul_f32_e32 v3, v3, v11
	ds_read_b128 v[45:48], v24 offset:688
	ds_read_b128 v[8:11], v24 offset:768
	v_fma_f32 v29, -v1, v30, v37
	v_fma_f32 v33, -v1, v34, v41
	;; [unrolled: 1-line block ×6, first 2 shown]
	ds_read_b128 v[29:32], v24 offset:784
	ds_read_b32 v59, v24 offset:800
	v_fma_f32 v41, -v3, v36, v33
	ds_read_b128 v[33:36], v24 offset:864
	v_fma_f32 v37, -v2, v39, v37
	v_fma_f32 v60, -v3, v40, v37
	ds_read_b64 v[54:55], v24 offset:896
	ds_read_b128 v[37:40], v24 offset:960
	s_waitcnt lgkmcnt(5)
	v_mul_f32_e32 v8, v0, v8
	s_waitcnt vmcnt(3)
	v_fma_f32 v8, s16, v12, -v8
	v_fma_f32 v8, -v1, v9, v8
	v_fma_f32 v42, -v1, v42, v57
	;; [unrolled: 1-line block ×5, first 2 shown]
	s_waitcnt lgkmcnt(2)
	v_mul_f32_e32 v8, v0, v33
	s_waitcnt lgkmcnt(0)
	v_mul_f32_e32 v33, v0, v37
	v_fma_f32 v8, s16, v13, -v8
	ds_read_b128 v[9:12], v24 offset:880
	v_fma_f32 v13, s16, v14, -v33
	v_fma_f32 v8, -v1, v34, v8
	v_fma_f32 v13, -v1, v38, v13
	;; [unrolled: 1-line block ×5, first 2 shown]
	ds_read_b128 v[33:36], v24 offset:976
	ds_read_b96 v[37:39], v24 offset:992
	v_mul_f32_e32 v8, v58, v56
	v_fma_f32 v13, -v3, v40, v13
	v_fma_f32 v40, -v8, v52, v41
	v_fma_f32 v42, -v3, v44, v42
	v_fma_f32 v41, -v8, v49, v60
	s_waitcnt lgkmcnt(2)
	v_fma_f32 v14, -v8, v9, v14
	v_mul_f32_e32 v9, v40, v53
	v_fma_f32 v42, -v8, v45, v42
	s_waitcnt lgkmcnt(1)
	v_fma_f32 v33, -v8, v33, v13
	v_fma_f32 v13, -v9, v50, v41
	v_fma_f32 v29, -v8, v29, v43
	v_fma_f32 v40, -v9, v46, v42
	v_fma_f32 v14, -v9, v10, v14
	v_mul_f32_e32 v10, v13, v51
	v_fma_f32 v29, -v9, v30, v29
	v_fma_f32 v13, -v10, v47, v40
	;; [unrolled: 1-line block ×4, first 2 shown]
	v_mul_f32_e32 v11, v13, v48
	v_fma_f32 v13, -v11, v32, v29
	ds_read_b128 v[29:32], v24 offset:1056
	v_fma_f32 v14, -v11, v12, v14
	v_mul_f32_e32 v12, v13, v59
	v_fma_f32 v13, -v12, v54, v14
	v_fma_f32 v14, -v9, v34, v33
	;; [unrolled: 1-line block ×4, first 2 shown]
	ds_read_b128 v[33:36], v24 offset:1072
	s_waitcnt lgkmcnt(1)
	v_mul_f32_e32 v29, v0, v29
	v_fma_f32 v15, s16, v15, -v29
	v_fma_f32 v15, -v1, v30, v15
	v_fma_f32 v15, -v2, v31, v15
	;; [unrolled: 1-line block ×3, first 2 shown]
	s_waitcnt lgkmcnt(0)
	v_fma_f32 v15, -v8, v33, v15
	ds_read_b128 v[29:32], v24 offset:1088
	v_fma_f32 v15, -v9, v34, v15
	v_fma_f32 v15, -v10, v35, v15
	;; [unrolled: 1-line block ×3, first 2 shown]
	ds_read_b128 v[33:36], v24 offset:1152
	v_mul_f32_e32 v13, v13, v55
	v_fma_f32 v14, -v12, v37, v14
	v_fma_f32 v14, -v13, v38, v14
	s_waitcnt lgkmcnt(1)
	v_fma_f32 v15, -v12, v29, v15
	v_mul_f32_e32 v14, v14, v39
	v_fma_f32 v15, -v13, v30, v15
	v_fma_f32 v15, -v14, v31, v15
	s_waitcnt lgkmcnt(0)
	v_mul_f32_e32 v29, v0, v33
	v_mul_f32_e32 v15, v15, v32
	s_waitcnt vmcnt(2)
	v_fma_f32 v25, s16, v25, -v29
	ds_read_b128 v[29:32], v24 offset:1168
	v_fma_f32 v25, -v1, v34, v25
	v_fma_f32 v25, -v2, v35, v25
	v_fma_f32 v25, -v3, v36, v25
	ds_read_b128 v[33:36], v24 offset:1184
	s_waitcnt lgkmcnt(1)
	v_fma_f32 v25, -v8, v29, v25
	v_fma_f32 v25, -v9, v30, v25
	;; [unrolled: 1-line block ×3, first 2 shown]
	global_store_dwordx4 v[20:21], v[0:3], off
	global_store_dwordx4 v[20:21], v[8:11], off offset:16
	global_store_dwordx4 v[20:21], v[12:15], off offset:32
	v_fma_f32 v25, -v11, v32, v25
	s_waitcnt lgkmcnt(0)
	v_fma_f32 v25, -v12, v33, v25
	ds_read_b32 v33, v24 offset:1200
	ds_read_b128 v[29:32], v24 offset:1248
	v_fma_f32 v25, -v13, v34, v25
	v_fma_f32 v25, -v14, v35, v25
	v_fma_f32 v25, -v15, v36, v25
	s_waitcnt lgkmcnt(1)
	v_mul_f32_e32 v25, v25, v33
	s_waitcnt lgkmcnt(0)
	v_mul_f32_e32 v29, v0, v29
	ds_read_b128 v[33:36], v24 offset:1264
	v_fma_f32 v26, s16, v26, -v29
	v_fma_f32 v26, -v1, v30, v26
	v_fma_f32 v26, -v2, v31, v26
	;; [unrolled: 1-line block ×3, first 2 shown]
	ds_read_b128 v[29:32], v24 offset:1280
	s_waitcnt lgkmcnt(1)
	v_fma_f32 v26, -v8, v33, v26
	v_fma_f32 v26, -v9, v34, v26
	;; [unrolled: 1-line block ×4, first 2 shown]
	ds_read_b64 v[37:38], v24 offset:1296
	ds_read_b128 v[33:36], v24 offset:1344
	s_waitcnt lgkmcnt(2)
	v_fma_f32 v26, -v12, v29, v26
	v_fma_f32 v26, -v13, v30, v26
	;; [unrolled: 1-line block ×4, first 2 shown]
	s_waitcnt lgkmcnt(0)
	v_mul_f32_e32 v29, v0, v33
	v_fma_f32 v27, s16, v27, -v29
	ds_read_b128 v[29:32], v24 offset:1360
	v_fma_f32 v27, -v1, v34, v27
	v_fma_f32 v27, -v2, v35, v27
	;; [unrolled: 1-line block ×3, first 2 shown]
	ds_read_b128 v[33:36], v24 offset:1376
	s_waitcnt lgkmcnt(1)
	v_fma_f32 v27, -v8, v29, v27
	v_fma_f32 v27, -v9, v30, v27
	;; [unrolled: 1-line block ×4, first 2 shown]
	v_mul_f32_e32 v26, v26, v38
	v_fma_f32 v27, -v11, v32, v27
	ds_read_b96 v[37:39], v24 offset:1392
	ds_read_b128 v[29:32], v24 offset:1440
	s_waitcnt lgkmcnt(2)
	v_fma_f32 v27, -v12, v33, v27
	v_fma_f32 v27, -v13, v34, v27
	;; [unrolled: 1-line block ×4, first 2 shown]
	s_waitcnt lgkmcnt(0)
	v_mul_f32_e32 v29, v0, v29
	ds_read_b128 v[33:36], v24 offset:1456
	v_fma_f32 v28, s16, v28, -v29
	v_fma_f32 v28, -v1, v30, v28
	v_fma_f32 v28, -v2, v31, v28
	;; [unrolled: 1-line block ×3, first 2 shown]
	ds_read_b128 v[28:31], v24 offset:1472
	s_waitcnt lgkmcnt(1)
	v_fma_f32 v32, -v8, v33, v32
	v_fma_f32 v32, -v9, v34, v32
	v_fma_f32 v32, -v10, v35, v32
	v_fma_f32 v32, -v11, v36, v32
	s_waitcnt lgkmcnt(0)
	v_fma_f32 v28, -v12, v28, v32
	ds_read_b128 v[32:35], v24 offset:1488
	v_fma_f32 v27, -v25, v37, v27
	v_fma_f32 v27, -v26, v38, v27
	;; [unrolled: 1-line block ×3, first 2 shown]
	v_mul_f32_e32 v27, v27, v39
	v_fma_f32 v28, -v14, v30, v28
	ds_read_b128 v[36:39], v24 offset:1536
	v_fma_f32 v28, -v15, v31, v28
	s_waitcnt lgkmcnt(1)
	v_fma_f32 v28, -v25, v32, v28
	v_fma_f32 v28, -v26, v33, v28
	;; [unrolled: 1-line block ×3, first 2 shown]
	v_mul_f32_e32 v28, v28, v35
	s_waitcnt lgkmcnt(0)
	v_mul_f32_e32 v33, v0, v36
	global_store_dwordx4 v[20:21], v[25:28], off offset:48
	s_waitcnt vmcnt(4)
	v_fma_f32 v16, s16, v16, -v33
	ds_read_b128 v[29:32], v24 offset:1552
	ds_read_b128 v[40:43], v24 offset:1568
	;; [unrolled: 1-line block ×3, first 2 shown]
	v_fma_f32 v16, -v1, v37, v16
	v_fma_f32 v16, -v2, v38, v16
	;; [unrolled: 1-line block ×3, first 2 shown]
	s_waitcnt lgkmcnt(2)
	v_fma_f32 v16, -v8, v29, v16
	v_fma_f32 v16, -v9, v30, v16
	;; [unrolled: 1-line block ×4, first 2 shown]
	s_waitcnt lgkmcnt(1)
	v_fma_f32 v16, -v12, v40, v16
	v_fma_f32 v16, -v13, v41, v16
	;; [unrolled: 1-line block ×4, first 2 shown]
	ds_read_b32 v33, v24 offset:1600
	ds_read_b128 v[29:32], v24 offset:1632
	s_waitcnt lgkmcnt(2)
	v_fma_f32 v16, -v25, v44, v16
	v_fma_f32 v16, -v26, v45, v16
	;; [unrolled: 1-line block ×4, first 2 shown]
	s_waitcnt lgkmcnt(1)
	v_mul_f32_e32 v16, v16, v33
	ds_read_b128 v[33:36], v24 offset:1648
	s_waitcnt lgkmcnt(1)
	v_mul_f32_e32 v29, v0, v29
	v_fma_f32 v17, s16, v17, -v29
	v_fma_f32 v17, -v1, v30, v17
	v_fma_f32 v17, -v2, v31, v17
	;; [unrolled: 1-line block ×3, first 2 shown]
	ds_read_b128 v[29:32], v24 offset:1664
	s_waitcnt lgkmcnt(1)
	v_fma_f32 v17, -v8, v33, v17
	v_fma_f32 v17, -v9, v34, v17
	;; [unrolled: 1-line block ×4, first 2 shown]
	ds_read_b128 v[33:36], v24 offset:1680
	ds_read_b64 v[37:38], v24 offset:1696
	s_waitcnt lgkmcnt(2)
	v_fma_f32 v17, -v12, v29, v17
	v_fma_f32 v17, -v13, v30, v17
	v_fma_f32 v17, -v14, v31, v17
	v_fma_f32 v17, -v15, v32, v17
	ds_read_b128 v[29:32], v24 offset:1728
	s_waitcnt lgkmcnt(2)
	v_fma_f32 v17, -v25, v33, v17
	v_fma_f32 v17, -v26, v34, v17
	;; [unrolled: 1-line block ×4, first 2 shown]
	ds_read_b128 v[33:36], v24 offset:1744
	s_waitcnt lgkmcnt(1)
	v_mul_f32_e32 v29, v0, v29
	v_fma_f32 v18, s16, v18, -v29
	v_fma_f32 v18, -v1, v30, v18
	v_fma_f32 v18, -v2, v31, v18
	;; [unrolled: 1-line block ×3, first 2 shown]
	ds_read_b128 v[29:32], v24 offset:1760
	s_waitcnt lgkmcnt(1)
	v_fma_f32 v18, -v8, v33, v18
	v_fma_f32 v18, -v9, v34, v18
	;; [unrolled: 1-line block ×4, first 2 shown]
	ds_read_b128 v[33:36], v24 offset:1776
	s_waitcnt lgkmcnt(1)
	v_fma_f32 v18, -v12, v29, v18
	v_fma_f32 v18, -v13, v30, v18
	;; [unrolled: 1-line block ×4, first 2 shown]
	v_mul_f32_e32 v17, v17, v38
	v_fma_f32 v18, -v15, v32, v18
	ds_read_b96 v[37:39], v24 offset:1792
	ds_read_b128 v[29:32], v24 offset:1824
	s_waitcnt lgkmcnt(2)
	v_fma_f32 v18, -v25, v33, v18
	v_fma_f32 v18, -v26, v34, v18
	;; [unrolled: 1-line block ×4, first 2 shown]
	ds_read_b128 v[33:36], v24 offset:1840
	s_waitcnt lgkmcnt(1)
	v_mul_f32_e32 v29, v0, v29
	v_fma_f32 v19, s16, v19, -v29
	v_fma_f32 v19, -v1, v30, v19
	v_fma_f32 v19, -v2, v31, v19
	v_fma_f32 v19, -v3, v32, v19
	ds_read_b128 v[29:32], v24 offset:1856
	s_waitcnt lgkmcnt(1)
	v_fma_f32 v19, -v8, v33, v19
	v_fma_f32 v19, -v9, v34, v19
	v_fma_f32 v19, -v10, v35, v19
	v_fma_f32 v19, -v11, v36, v19
	ds_read_b128 v[33:36], v24 offset:1872
	s_waitcnt lgkmcnt(1)
	v_fma_f32 v19, -v12, v29, v19
	;; [unrolled: 6-line block ×3, first 2 shown]
	v_fma_f32 v19, -v26, v34, v19
	v_fma_f32 v19, -v27, v35, v19
	;; [unrolled: 1-line block ×3, first 2 shown]
	ds_read_b128 v[33:36], v24 offset:1920
	v_fma_f32 v18, -v16, v37, v18
	v_fma_f32 v18, -v17, v38, v18
	s_waitcnt lgkmcnt(1)
	v_fma_f32 v19, -v16, v29, v19
	v_mul_f32_e32 v18, v18, v39
	v_fma_f32 v19, -v17, v30, v19
	v_fma_f32 v19, -v18, v31, v19
	v_mul_f32_e32 v19, v19, v32
	s_waitcnt lgkmcnt(0)
	v_mul_f32_e32 v33, v0, v33
	global_store_dwordx4 v[20:21], v[16:19], off offset:64
	v_fma_f32 v4, s16, v4, -v33
	ds_read_b128 v[29:32], v24 offset:1936
	ds_read_b128 v[37:40], v24 offset:1952
	;; [unrolled: 1-line block ×3, first 2 shown]
	v_fma_f32 v4, -v1, v34, v4
	v_fma_f32 v4, -v2, v35, v4
	;; [unrolled: 1-line block ×3, first 2 shown]
	s_waitcnt lgkmcnt(2)
	v_fma_f32 v4, -v8, v29, v4
	v_fma_f32 v4, -v9, v30, v4
	v_fma_f32 v4, -v10, v31, v4
	v_fma_f32 v4, -v11, v32, v4
	s_waitcnt lgkmcnt(1)
	v_fma_f32 v4, -v12, v37, v4
	v_fma_f32 v4, -v13, v38, v4
	;; [unrolled: 1-line block ×4, first 2 shown]
	ds_read_b128 v[29:32], v24 offset:1984
	s_waitcnt lgkmcnt(1)
	v_fma_f32 v4, -v25, v41, v4
	v_fma_f32 v4, -v26, v42, v4
	;; [unrolled: 1-line block ×4, first 2 shown]
	s_waitcnt lgkmcnt(0)
	v_fma_f32 v4, -v16, v29, v4
	ds_read_b32 v29, v24 offset:2000
	ds_read_b128 v[33:36], v24 offset:2016
	v_fma_f32 v4, -v17, v30, v4
	v_fma_f32 v4, -v18, v31, v4
	v_fma_f32 v4, -v19, v32, v4
	s_waitcnt lgkmcnt(1)
	v_mul_f32_e32 v4, v4, v29
	s_waitcnt lgkmcnt(0)
	v_mul_f32_e32 v29, v0, v33
	v_fma_f32 v5, s16, v5, -v29
	ds_read_b128 v[29:32], v24 offset:2032
	v_fma_f32 v5, -v1, v34, v5
	v_fma_f32 v5, -v2, v35, v5
	v_fma_f32 v5, -v3, v36, v5
	ds_read_b128 v[33:36], v24 offset:2048
	s_waitcnt lgkmcnt(1)
	v_fma_f32 v5, -v8, v29, v5
	v_fma_f32 v5, -v9, v30, v5
	v_fma_f32 v5, -v10, v31, v5
	v_fma_f32 v5, -v11, v32, v5
	ds_read_b128 v[29:32], v24 offset:2064
	s_waitcnt lgkmcnt(1)
	v_fma_f32 v5, -v12, v33, v5
	;; [unrolled: 6-line block ×3, first 2 shown]
	v_fma_f32 v5, -v26, v30, v5
	v_fma_f32 v5, -v27, v31, v5
	;; [unrolled: 1-line block ×3, first 2 shown]
	ds_read_b64 v[37:38], v24 offset:2096
	ds_read_b128 v[29:32], v24 offset:2112
	s_waitcnt lgkmcnt(2)
	v_fma_f32 v5, -v16, v33, v5
	v_fma_f32 v5, -v17, v34, v5
	;; [unrolled: 1-line block ×4, first 2 shown]
	s_waitcnt lgkmcnt(0)
	v_mul_f32_e32 v29, v0, v29
	ds_read_b128 v[33:36], v24 offset:2128
	v_fma_f32 v6, s16, v6, -v29
	v_fma_f32 v6, -v1, v30, v6
	v_fma_f32 v6, -v2, v31, v6
	v_fma_f32 v6, -v3, v32, v6
	ds_read_b128 v[29:32], v24 offset:2144
	s_waitcnt lgkmcnt(1)
	v_fma_f32 v6, -v8, v33, v6
	v_fma_f32 v6, -v9, v34, v6
	v_fma_f32 v6, -v10, v35, v6
	v_fma_f32 v6, -v11, v36, v6
	ds_read_b128 v[33:36], v24 offset:2160
	s_waitcnt lgkmcnt(1)
	v_fma_f32 v6, -v12, v29, v6
	;; [unrolled: 6-line block ×3, first 2 shown]
	v_fma_f32 v6, -v26, v34, v6
	v_fma_f32 v5, -v4, v37, v5
	;; [unrolled: 1-line block ×3, first 2 shown]
	v_mul_f32_e32 v5, v5, v38
	v_fma_f32 v6, -v28, v36, v6
	ds_read_b96 v[37:39], v24 offset:2192
	ds_read_b128 v[33:36], v24 offset:2208
	s_waitcnt lgkmcnt(2)
	v_fma_f32 v6, -v16, v29, v6
	v_fma_f32 v6, -v17, v30, v6
	;; [unrolled: 1-line block ×4, first 2 shown]
	s_waitcnt lgkmcnt(0)
	v_mul_f32_e32 v0, v0, v33
	ds_read_b128 v[29:32], v24 offset:2224
	v_fma_f32 v0, s16, v7, -v0
	v_fma_f32 v0, -v1, v34, v0
	v_fma_f32 v0, -v2, v35, v0
	;; [unrolled: 1-line block ×3, first 2 shown]
	ds_read_b128 v[0:3], v24 offset:2240
	s_waitcnt lgkmcnt(1)
	v_fma_f32 v7, -v8, v29, v7
	v_fma_f32 v7, -v9, v30, v7
	v_fma_f32 v7, -v10, v31, v7
	v_fma_f32 v7, -v11, v32, v7
	s_waitcnt lgkmcnt(0)
	v_fma_f32 v0, -v12, v0, v7
	ds_read_b128 v[7:10], v24 offset:2256
	v_fma_f32 v0, -v13, v1, v0
	v_fma_f32 v0, -v14, v2, v0
	;; [unrolled: 1-line block ×3, first 2 shown]
	ds_read_b128 v[0:3], v24 offset:2272
	s_waitcnt lgkmcnt(1)
	v_fma_f32 v7, -v25, v7, v11
	v_fma_f32 v7, -v26, v8, v7
	;; [unrolled: 1-line block ×4, first 2 shown]
	ds_read_b128 v[7:10], v24 offset:2288
	s_waitcnt lgkmcnt(1)
	v_fma_f32 v0, -v16, v0, v11
	v_fma_f32 v0, -v17, v1, v0
	;; [unrolled: 1-line block ×6, first 2 shown]
	s_waitcnt lgkmcnt(0)
	v_fma_f32 v0, -v4, v7, v0
	v_mul_f32_e32 v6, v6, v39
	v_fma_f32 v0, -v5, v8, v0
	v_fma_f32 v0, -v6, v9, v0
	v_mul_f32_e32 v7, v0, v10
	global_store_dwordx4 v[20:21], v[4:7], off offset:80
	s_cmp_lt_i32 s0, s17
	s_cbranch_scc1 .LBB27_11
	s_branch .LBB27_24
.LBB27_10:
	s_mov_b32 s0, 0
	s_cmp_lt_i32 s0, s17
	s_cbranch_scc0 .LBB27_24
.LBB27_11:
	s_add_i32 s1, s0, 19
	s_cmp_ge_u32 s1, s17
	s_cbranch_scc1 .LBB27_19
; %bb.12:
	s_lshl_b32 s1, s0, 2
	v_add_co_u32_e32 v0, vcc, s1, v20
	v_addc_co_u32_e32 v1, vcc, 0, v21, vcc
	global_load_dwordx4 v[2:5], v[0:1], off
	global_load_dwordx4 v[6:9], v[0:1], off offset:16
	global_load_dwordx4 v[28:31], v[0:1], off offset:32
	;; [unrolled: 1-line block ×4, first 2 shown]
	s_andn2_b64 vcc, exec, s[8:9]
	s_waitcnt vmcnt(4)
	v_mul_f32_e32 v26, s16, v2
	v_mul_f32_e32 v27, s16, v3
	v_mul_f32_e32 v25, s16, v4
	v_mul_f32_e32 v24, s16, v5
	s_waitcnt vmcnt(3)
	v_mul_f32_e32 v19, s16, v6
	v_mul_f32_e32 v18, s16, v7
	v_mul_f32_e32 v17, s16, v8
	v_mul_f32_e32 v16, s16, v9
	;; [unrolled: 5-line block ×5, first 2 shown]
	s_cbranch_vccnz .LBB27_14
; %bb.13:
	s_mul_i32 s3, s0, 0x60
	s_mov_b64 s[8:9], 0
	s_branch .LBB27_15
.LBB27_14:
	s_mov_b64 s[8:9], -1
                                        ; implicit-def: $sgpr3
.LBB27_15:
	s_andn2_b64 vcc, exec, s[8:9]
	s_cbranch_vccnz .LBB27_18
; %bb.16:
	s_add_u32 s6, s10, s6
	s_addc_u32 s7, s11, s7
	s_add_u32 s4, s6, s4
	s_addc_u32 s5, s7, s5
	v_mov_b32_e32 v2, s5
	v_add_co_u32_e32 v3, vcc, s4, v22
	v_addc_co_u32_e32 v22, vcc, v2, v23, vcc
	s_mul_i32 s3, s0, 0x60
	v_add_co_u32_e32 v2, vcc, 4, v3
	v_addc_co_u32_e32 v3, vcc, 0, v22, vcc
	s_mov_b32 s4, s0
	s_mov_b32 s5, s3
.LBB27_17:                              ; =>This Inner Loop Header: Depth=1
	global_load_dwordx2 v[22:23], v[2:3], off offset:-4
	v_mov_b32_e32 v40, s5
	ds_read2_b64 v[28:31], v40 offset1:12
	ds_read2_b64 v[32:35], v40 offset0:24 offset1:36
	ds_read2_b64 v[36:39], v40 offset0:48 offset1:60
	s_add_i32 s5, s5, 8
	v_add_co_u32_e32 v2, vcc, 8, v2
	s_add_i32 s4, s4, -2
	v_addc_co_u32_e32 v3, vcc, 0, v3, vcc
	s_cmp_lg_u32 s4, 0
	s_waitcnt vmcnt(0) lgkmcnt(2)
	v_fma_f32 v26, -v22, v28, v26
	v_fma_f32 v27, -v22, v30, v27
	;; [unrolled: 1-line block ×4, first 2 shown]
	ds_read2_b64 v[28:31], v40 offset0:72 offset1:84
	s_waitcnt lgkmcnt(2)
	v_fma_f32 v25, -v22, v32, v25
	v_fma_f32 v24, -v22, v34, v24
	s_waitcnt lgkmcnt(1)
	v_fma_f32 v19, -v22, v36, v19
	v_fma_f32 v18, -v22, v38, v18
	s_waitcnt lgkmcnt(0)
	v_fma_f32 v17, -v22, v28, v17
	v_fma_f32 v16, -v22, v30, v16
	v_fma_f32 v25, -v23, v33, v25
	v_fma_f32 v24, -v23, v35, v24
	ds_read2_b64 v[32:35], v40 offset0:96 offset1:108
	v_fma_f32 v19, -v23, v37, v19
	v_fma_f32 v18, -v23, v39, v18
	ds_read2_b64 v[36:39], v40 offset0:120 offset1:132
	;; [unrolled: 3-line block ×3, first 2 shown]
	s_waitcnt lgkmcnt(2)
	v_fma_f32 v15, -v22, v32, v15
	v_fma_f32 v14, -v22, v34, v14
	s_waitcnt lgkmcnt(1)
	v_fma_f32 v13, -v22, v36, v13
	v_fma_f32 v12, -v22, v38, v12
	;; [unrolled: 3-line block ×3, first 2 shown]
	v_fma_f32 v15, -v23, v33, v15
	v_fma_f32 v14, -v23, v35, v14
	ds_read2_b64 v[32:35], v40 offset0:168 offset1:180
	v_fma_f32 v13, -v23, v37, v13
	v_fma_f32 v12, -v23, v39, v12
	ds_read2_b64 v[36:39], v40 offset0:192 offset1:204
	;; [unrolled: 3-line block ×3, first 2 shown]
	s_waitcnt lgkmcnt(2)
	v_fma_f32 v9, -v22, v32, v9
	v_fma_f32 v8, -v22, v34, v8
	s_waitcnt lgkmcnt(1)
	v_fma_f32 v7, -v22, v36, v7
	v_fma_f32 v6, -v22, v38, v6
	s_waitcnt lgkmcnt(0)
	v_fma_f32 v5, -v22, v28, v5
	v_fma_f32 v4, -v22, v30, v4
	v_fma_f32 v9, -v23, v33, v9
	v_fma_f32 v8, -v23, v35, v8
	;; [unrolled: 1-line block ×6, first 2 shown]
	s_cbranch_scc1 .LBB27_17
.LBB27_18:
	s_add_i32 s3, s1, s3
	v_mov_b32_e32 v46, s3
	s_or_b32 s3, s0, 1
	s_mulk_i32 s3, 0x60
	ds_read2_b32 v[2:3], v46 offset1:100
	s_add_i32 s1, s1, s3
	v_mov_b32_e32 v47, s1
	ds_read2_b64 v[28:31], v47 offset1:50
	ds_read_b96 v[36:38], v47 offset:96
	ds_read_b128 v[32:35], v47 offset:192
	s_waitcnt lgkmcnt(3)
	v_mul_f32_e32 v26, v26, v2
	ds_read_b96 v[40:42], v47 offset:496
	s_waitcnt lgkmcnt(3)
	v_fma_f32 v2, -v26, v28, v27
	v_mul_f32_e32 v27, v2, v29
	s_waitcnt lgkmcnt(2)
	v_fma_f32 v2, -v26, v36, v25
	v_fma_f32 v2, -v27, v37, v2
	v_mul_f32_e32 v28, v2, v38
	ds_read_b128 v[36:39], v47 offset:480
	s_waitcnt lgkmcnt(2)
	v_fma_f32 v2, -v26, v32, v24
	ds_read_b128 v[22:25], v47 offset:288
	v_fma_f32 v2, -v27, v33, v2
	v_fma_f32 v2, -v28, v34, v2
	v_mul_f32_e32 v29, v2, v35
	ds_read_b128 v[32:35], v47 offset:384
	s_waitcnt lgkmcnt(1)
	v_fma_f32 v2, -v26, v22, v19
	v_fma_f32 v2, -v27, v23, v2
	;; [unrolled: 1-line block ×4, first 2 shown]
	v_mul_f32_e32 v22, v2, v3
	s_waitcnt lgkmcnt(0)
	v_fma_f32 v2, -v26, v32, v18
	v_fma_f32 v2, -v27, v33, v2
	;; [unrolled: 1-line block ×5, first 2 shown]
	v_mul_f32_e32 v23, v2, v31
	v_fma_f32 v2, -v26, v36, v17
	v_fma_f32 v2, -v27, v37, v2
	ds_read_b128 v[30:33], v47 offset:576
	v_fma_f32 v2, -v28, v38, v2
	v_fma_f32 v2, -v29, v39, v2
	;; [unrolled: 1-line block ×4, first 2 shown]
	ds_read_b128 v[34:37], v47 offset:592
	v_mul_f32_e32 v24, v2, v42
	s_waitcnt lgkmcnt(1)
	v_fma_f32 v2, -v26, v30, v16
	v_fma_f32 v2, -v27, v31, v2
	;; [unrolled: 1-line block ×3, first 2 shown]
	ds_read_b128 v[16:19], v47 offset:672
	v_fma_f32 v2, -v29, v33, v2
	s_waitcnt lgkmcnt(1)
	v_fma_f32 v2, -v22, v34, v2
	v_fma_f32 v2, -v23, v35, v2
	;; [unrolled: 1-line block ×3, first 2 shown]
	ds_read_b128 v[30:33], v47 offset:688
	v_mul_f32_e32 v25, v2, v37
	s_waitcnt lgkmcnt(1)
	v_fma_f32 v2, -v26, v16, v15
	v_fma_f32 v2, -v27, v17, v2
	;; [unrolled: 1-line block ×4, first 2 shown]
	ds_read_b128 v[35:38], v47 offset:864
	s_waitcnt lgkmcnt(1)
	v_fma_f32 v15, -v22, v30, v2
	v_add_u32_e32 v2, 0x200, v46
	ds_read2_b32 v[2:3], v2 offset0:72 offset1:172
	v_fma_f32 v19, -v23, v31, v15
	ds_read_b128 v[15:18], v47 offset:768
	v_fma_f32 v19, -v24, v32, v19
	v_fma_f32 v19, -v25, v33, v19
	ds_read_b128 v[31:34], v47 offset:784
	s_waitcnt lgkmcnt(2)
	v_mul_f32_e32 v30, v19, v2
	s_waitcnt lgkmcnt(1)
	v_fma_f32 v2, -v26, v15, v14
	v_fma_f32 v2, -v27, v16, v2
	;; [unrolled: 1-line block ×4, first 2 shown]
	ds_read2_b64 v[14:17], v47 offset0:100 offset1:150
	s_waitcnt lgkmcnt(1)
	v_fma_f32 v2, -v22, v31, v2
	v_fma_f32 v2, -v23, v32, v2
	;; [unrolled: 1-line block ×4, first 2 shown]
	s_waitcnt lgkmcnt(0)
	v_fma_f32 v2, -v30, v14, v2
	ds_read_b128 v[39:42], v47 offset:880
	v_mul_f32_e32 v31, v2, v15
	v_fma_f32 v2, -v26, v35, v13
	v_fma_f32 v2, -v27, v36, v2
	;; [unrolled: 1-line block ×4, first 2 shown]
	ds_read_b96 v[13:15], v47 offset:896
	s_waitcnt lgkmcnt(1)
	v_fma_f32 v2, -v22, v39, v2
	v_fma_f32 v2, -v23, v40, v2
	ds_read_b128 v[33:36], v47 offset:960
	v_fma_f32 v2, -v24, v41, v2
	v_fma_f32 v2, -v25, v42, v2
	s_waitcnt lgkmcnt(1)
	v_fma_f32 v2, -v30, v13, v2
	v_fma_f32 v2, -v31, v14, v2
	v_mul_f32_e32 v32, v2, v15
	s_waitcnt lgkmcnt(0)
	v_fma_f32 v2, -v26, v33, v12
	ds_read_b128 v[12:15], v47 offset:976
	v_fma_f32 v2, -v27, v34, v2
	v_fma_f32 v2, -v28, v35, v2
	;; [unrolled: 1-line block ×3, first 2 shown]
	ds_read_b128 v[33:36], v47 offset:992
	s_waitcnt lgkmcnt(1)
	v_fma_f32 v2, -v22, v12, v2
	v_fma_f32 v2, -v23, v13, v2
	;; [unrolled: 1-line block ×4, first 2 shown]
	s_waitcnt lgkmcnt(0)
	v_fma_f32 v2, -v30, v33, v2
	ds_read_b128 v[12:15], v47 offset:1056
	v_fma_f32 v2, -v31, v34, v2
	v_fma_f32 v2, -v32, v35, v2
	v_mul_f32_e32 v33, v2, v36
	global_store_dwordx4 v[0:1], v[26:29], off
	global_store_dwordx4 v[0:1], v[22:25], off offset:16
	global_store_dwordx4 v[0:1], v[30:33], off offset:32
	ds_read_b128 v[34:37], v47 offset:1072
	ds_read_b128 v[38:41], v47 offset:1088
	s_waitcnt lgkmcnt(2)
	v_fma_f32 v2, -v26, v12, v11
	v_fma_f32 v2, -v27, v13, v2
	;; [unrolled: 1-line block ×4, first 2 shown]
	s_waitcnt lgkmcnt(1)
	v_fma_f32 v2, -v22, v34, v2
	v_fma_f32 v2, -v23, v35, v2
	v_fma_f32 v2, -v24, v36, v2
	v_fma_f32 v2, -v25, v37, v2
	ds_read_b128 v[11:14], v47 offset:1152
	ds_read_b128 v[34:37], v47 offset:1168
	s_waitcnt lgkmcnt(2)
	v_fma_f32 v2, -v30, v38, v2
	v_fma_f32 v2, -v31, v39, v2
	v_fma_f32 v2, -v32, v40, v2
	v_fma_f32 v2, -v33, v41, v2
	v_mul_f32_e32 v15, v2, v3
	s_waitcnt lgkmcnt(1)
	v_fma_f32 v2, -v26, v11, v10
	v_fma_f32 v2, -v27, v12, v2
	;; [unrolled: 1-line block ×4, first 2 shown]
	ds_read_b128 v[10:13], v47 offset:1184
	s_waitcnt lgkmcnt(1)
	v_fma_f32 v2, -v22, v34, v2
	v_fma_f32 v2, -v23, v35, v2
	;; [unrolled: 1-line block ×4, first 2 shown]
	ds_read_b128 v[34:37], v47 offset:1248
	s_waitcnt lgkmcnt(1)
	v_fma_f32 v2, -v30, v10, v2
	v_fma_f32 v2, -v31, v11, v2
	;; [unrolled: 1-line block ×5, first 2 shown]
	ds_read_b128 v[10:13], v47 offset:1264
	v_mul_f32_e32 v16, v2, v17
	s_waitcnt lgkmcnt(1)
	v_fma_f32 v2, -v26, v34, v9
	v_fma_f32 v2, -v27, v35, v2
	;; [unrolled: 1-line block ×4, first 2 shown]
	ds_read_b128 v[34:37], v47 offset:1280
	s_waitcnt lgkmcnt(1)
	v_fma_f32 v2, -v22, v10, v2
	v_fma_f32 v2, -v23, v11, v2
	;; [unrolled: 1-line block ×4, first 2 shown]
	ds_read_b96 v[17:19], v47 offset:1296
	ds_read_b128 v[9:12], v47 offset:1344
	s_waitcnt lgkmcnt(2)
	v_fma_f32 v2, -v30, v34, v2
	v_fma_f32 v2, -v31, v35, v2
	;; [unrolled: 1-line block ×4, first 2 shown]
	s_waitcnt lgkmcnt(1)
	v_fma_f32 v2, -v15, v17, v2
	v_fma_f32 v2, -v16, v18, v2
	ds_read_b128 v[34:37], v47 offset:1360
	v_mul_f32_e32 v17, v2, v19
	s_waitcnt lgkmcnt(1)
	v_fma_f32 v2, -v26, v9, v8
	v_fma_f32 v2, -v27, v10, v2
	v_fma_f32 v2, -v28, v11, v2
	v_fma_f32 v2, -v29, v12, v2
	ds_read_b128 v[8:11], v47 offset:1376
	s_waitcnt lgkmcnt(1)
	v_fma_f32 v2, -v22, v34, v2
	v_fma_f32 v2, -v23, v35, v2
	v_fma_f32 v2, -v24, v36, v2
	v_fma_f32 v2, -v25, v37, v2
	ds_read_b128 v[34:37], v47 offset:1392
	;; [unrolled: 6-line block ×3, first 2 shown]
	s_waitcnt lgkmcnt(1)
	v_fma_f32 v2, -v15, v34, v2
	v_fma_f32 v2, -v16, v35, v2
	;; [unrolled: 1-line block ×3, first 2 shown]
	v_mul_f32_e32 v18, v2, v37
	global_store_dwordx4 v[0:1], v[15:18], off offset:48
	s_waitcnt lgkmcnt(0)
	v_fma_f32 v2, -v26, v8, v7
	ds_read_b128 v[34:37], v47 offset:1456
	ds_read_b128 v[38:41], v47 offset:1472
	;; [unrolled: 1-line block ×3, first 2 shown]
	v_fma_f32 v2, -v27, v9, v2
	v_fma_f32 v2, -v28, v10, v2
	;; [unrolled: 1-line block ×3, first 2 shown]
	s_waitcnt lgkmcnt(2)
	v_fma_f32 v2, -v22, v34, v2
	v_fma_f32 v2, -v23, v35, v2
	;; [unrolled: 1-line block ×4, first 2 shown]
	s_waitcnt lgkmcnt(1)
	v_fma_f32 v2, -v30, v38, v2
	v_fma_f32 v2, -v31, v39, v2
	;; [unrolled: 1-line block ×4, first 2 shown]
	ds_read_b32 v3, v46 offset:1600
	ds_read_b128 v[7:10], v47 offset:1536
	ds_read_b128 v[34:37], v47 offset:1552
	s_waitcnt lgkmcnt(3)
	v_fma_f32 v2, -v15, v42, v2
	v_fma_f32 v2, -v16, v43, v2
	;; [unrolled: 1-line block ×4, first 2 shown]
	s_waitcnt lgkmcnt(2)
	v_mul_f32_e32 v11, v2, v3
	s_waitcnt lgkmcnt(1)
	v_fma_f32 v2, -v26, v7, v6
	v_fma_f32 v2, -v27, v8, v2
	;; [unrolled: 1-line block ×4, first 2 shown]
	ds_read_b128 v[6:9], v47 offset:1568
	s_waitcnt lgkmcnt(1)
	v_fma_f32 v2, -v22, v34, v2
	v_fma_f32 v2, -v23, v35, v2
	;; [unrolled: 1-line block ×4, first 2 shown]
	ds_read_b128 v[34:37], v47 offset:1584
	s_waitcnt lgkmcnt(1)
	v_fma_f32 v2, -v30, v6, v2
	v_fma_f32 v2, -v31, v7, v2
	;; [unrolled: 1-line block ×4, first 2 shown]
	s_waitcnt lgkmcnt(0)
	v_fma_f32 v6, -v15, v34, v2
	ds_read_b64 v[2:3], v47 offset:1600
	v_fma_f32 v10, -v16, v35, v6
	ds_read_b128 v[6:9], v47 offset:1632
	v_fma_f32 v10, -v17, v36, v10
	v_fma_f32 v10, -v18, v37, v10
	s_waitcnt lgkmcnt(1)
	v_fma_f32 v2, -v11, v2, v10
	ds_read_b128 v[34:37], v47 offset:1648
	v_mul_f32_e32 v12, v2, v3
	s_waitcnt lgkmcnt(1)
	v_fma_f32 v2, -v26, v6, v5
	v_fma_f32 v2, -v27, v7, v2
	;; [unrolled: 1-line block ×4, first 2 shown]
	ds_read_b128 v[5:8], v47 offset:1664
	s_waitcnt lgkmcnt(1)
	v_fma_f32 v2, -v22, v34, v2
	v_fma_f32 v2, -v23, v35, v2
	;; [unrolled: 1-line block ×4, first 2 shown]
	ds_read_b128 v[34:37], v47 offset:1680
	ds_read_b96 v[38:40], v47 offset:1696
	s_waitcnt lgkmcnt(2)
	v_fma_f32 v2, -v30, v5, v2
	v_fma_f32 v2, -v31, v6, v2
	;; [unrolled: 1-line block ×4, first 2 shown]
	s_waitcnt lgkmcnt(1)
	v_fma_f32 v2, -v15, v34, v2
	v_fma_f32 v2, -v16, v35, v2
	ds_read_b128 v[5:8], v47 offset:1728
	v_fma_f32 v2, -v17, v36, v2
	v_fma_f32 v2, -v18, v37, v2
	s_waitcnt lgkmcnt(1)
	v_fma_f32 v2, -v11, v38, v2
	v_fma_f32 v2, -v12, v39, v2
	ds_read_b128 v[34:37], v47 offset:1744
	v_mul_f32_e32 v13, v2, v40
	s_waitcnt lgkmcnt(1)
	v_fma_f32 v2, -v26, v5, v4
	v_fma_f32 v2, -v27, v6, v2
	;; [unrolled: 1-line block ×4, first 2 shown]
	s_waitcnt lgkmcnt(0)
	v_fma_f32 v6, -v22, v34, v2
	ds_read_b128 v[2:5], v47 offset:1760
	v_fma_f32 v6, -v23, v35, v6
	v_fma_f32 v6, -v24, v36, v6
	;; [unrolled: 1-line block ×3, first 2 shown]
	ds_read_b128 v[6:9], v47 offset:1776
	s_waitcnt lgkmcnt(1)
	v_fma_f32 v2, -v30, v2, v10
	v_fma_f32 v2, -v31, v3, v2
	;; [unrolled: 1-line block ×4, first 2 shown]
	ds_read_b128 v[2:5], v47 offset:1792
	s_waitcnt lgkmcnt(1)
	v_fma_f32 v6, -v15, v6, v10
	v_fma_f32 v6, -v16, v7, v6
	;; [unrolled: 1-line block ×4, first 2 shown]
	s_waitcnt lgkmcnt(0)
	v_fma_f32 v2, -v11, v2, v6
	v_fma_f32 v2, -v12, v3, v2
	;; [unrolled: 1-line block ×3, first 2 shown]
	v_mul_f32_e32 v14, v2, v5
	s_add_i32 s0, s0, 20
	global_store_dwordx4 v[0:1], v[11:14], off offset:64
.LBB27_19:
	s_cmp_ge_i32 s0, s17
	s_cbranch_scc1 .LBB27_24
; %bb.20:
	s_mul_i32 s3, s0, 0x60
	s_mov_b32 s1, 0
	s_branch .LBB27_22
.LBB27_21:                              ;   in Loop: Header=BB27_22 Depth=1
	s_mul_i32 s4, s0, 0x64
	v_mov_b32_e32 v2, s4
	ds_read_b32 v2, v2
	s_add_i32 s0, s0, 1
	s_addk_i32 s3, 0x60
	s_cmp_ge_i32 s0, s17
	s_waitcnt lgkmcnt(0)
	v_mul_f32_e32 v2, v4, v2
	global_store_dword v[0:1], v2, off
	s_cbranch_scc1 .LBB27_24
.LBB27_22:                              ; =>This Loop Header: Depth=1
                                        ;     Child Loop BB27_23 Depth 2
	s_lshl_b64 s[4:5], s[0:1], 2
	v_mov_b32_e32 v1, s5
	v_add_co_u32_e32 v0, vcc, s4, v20
	v_addc_co_u32_e32 v1, vcc, v21, v1, vcc
	global_load_dword v4, v[0:1], off
	v_mov_b32_e32 v2, v20
	v_mov_b32_e32 v3, v21
	s_mov_b32 s4, s0
	s_cmp_eq_u32 s0, 0
	s_mov_b32 s5, s3
	s_waitcnt vmcnt(0)
	v_mul_f32_e32 v4, s16, v4
	s_cbranch_scc1 .LBB27_21
.LBB27_23:                              ;   Parent Loop BB27_22 Depth=1
                                        ; =>  This Inner Loop Header: Depth=2
	global_load_dword v5, v[2:3], off
	v_mov_b32_e32 v6, s5
	ds_read_b32 v6, v6
	s_add_i32 s5, s5, 4
	s_add_i32 s4, s4, -1
	v_add_co_u32_e32 v2, vcc, 4, v2
	v_addc_co_u32_e32 v3, vcc, 0, v3, vcc
	s_cmp_lg_u32 s4, 0
	s_waitcnt vmcnt(0) lgkmcnt(0)
	v_fma_f32 v4, -v5, v6, v4
	s_cbranch_scc1 .LBB27_23
	s_branch .LBB27_21
.LBB27_24:
	s_mov_b64 s[0:1], 0
.LBB27_25:
	s_and_b64 vcc, exec, s[0:1]
	s_cbranch_vccz .LBB27_51
; %bb.26:
	s_add_i32 s8, s17, -1
	s_cmp_gt_i32 s2, 23
	s_mov_b32 s0, -1
	s_cbranch_scc0 .LBB27_28
; %bb.27:
	global_load_dwordx4 v[13:16], v[20:21], off offset:80
	global_load_dwordx4 v[4:7], v[20:21], off offset:64
	;; [unrolled: 1-line block ×4, first 2 shown]
	v_mov_b32_e32 v12, 0
	ds_read_b128 v[22:25], v12 offset:2288
	ds_read_b128 v[26:29], v12 offset:2272
	;; [unrolled: 1-line block ×3, first 2 shown]
	ds_read_b96 v[17:19], v12 offset:2192
	s_waitcnt vmcnt(3)
	v_mul_f32_e32 v16, s16, v16
	s_waitcnt lgkmcnt(3)
	v_mul_f32_e32 v16, v16, v25
	v_mul_f32_e32 v24, v16, v24
	;; [unrolled: 1-line block ×4, first 2 shown]
	v_fma_f32 v15, s16, v15, -v24
	v_fma_f32 v38, s16, v14, -v23
	v_fma_f32 v39, s16, v13, -v22
	ds_read_b128 v[22:25], v12 offset:2240
	ds_read_b128 v[34:37], v12 offset:2224
	s_waitcnt lgkmcnt(4)
	v_mul_f32_e32 v29, v16, v29
	v_mul_f32_e32 v28, v16, v28
	;; [unrolled: 1-line block ×4, first 2 shown]
	s_waitcnt lgkmcnt(3)
	v_mul_f32_e32 v33, v16, v33
	v_mul_f32_e32 v32, v16, v32
	;; [unrolled: 1-line block ×4, first 2 shown]
	ds_read_b64 v[13:14], v12 offset:2096
	s_waitcnt vmcnt(2)
	v_fma_f32 v29, s16, v7, -v29
	v_fma_f32 v28, s16, v6, -v28
	;; [unrolled: 1-line block ×4, first 2 shown]
	s_waitcnt vmcnt(1)
	v_fma_f32 v33, s16, v11, -v33
	v_fma_f32 v32, s16, v10, -v32
	;; [unrolled: 1-line block ×4, first 2 shown]
	ds_read_b128 v[4:7], v12 offset:2176
	ds_read_b128 v[8:11], v12 offset:2160
	s_waitcnt lgkmcnt(4)
	v_mul_f32_e32 v25, v16, v25
	v_mul_f32_e32 v24, v16, v24
	;; [unrolled: 1-line block ×5, first 2 shown]
	s_waitcnt vmcnt(0)
	v_fma_f32 v25, s16, v3, -v25
	v_fma_f32 v24, s16, v2, -v24
	;; [unrolled: 1-line block ×4, first 2 shown]
	ds_read_b128 v[0:3], v12 offset:2208
	s_waitcnt lgkmcnt(2)
	v_fma_f32 v19, -v15, v7, v29
	v_fma_f32 v40, -v15, v6, v28
	v_fma_f32 v41, -v15, v5, v27
	v_fma_f32 v42, -v15, v4, v26
	ds_read_b128 v[4:7], v12 offset:2144
	s_waitcnt lgkmcnt(2)
	v_fma_f32 v33, -v15, v11, v33
	v_fma_f32 v32, -v15, v10, v32
	v_fma_f32 v31, -v15, v9, v31
	v_fma_f32 v30, -v15, v8, v30
	;; [unrolled: 6-line block ×3, first 2 shown]
	ds_read_b128 v[4:7], v12 offset:2112
	ds_read_b128 v[22:25], v12 offset:2080
	;; [unrolled: 1-line block ×3, first 2 shown]
	v_fma_f32 v18, -v15, v18, v38
	v_mul_f32_e32 v14, v18, v14
	v_fma_f32 v17, -v15, v17, v39
	ds_read_b32 v39, v12 offset:2000
	s_waitcnt lgkmcnt(2)
	v_fma_f32 v18, -v14, v25, v19
	v_fma_f32 v19, -v14, v24, v40
	;; [unrolled: 1-line block ×4, first 2 shown]
	s_waitcnt lgkmcnt(1)
	v_fma_f32 v41, -v14, v29, v33
	v_fma_f32 v42, -v14, v28, v32
	;; [unrolled: 1-line block ×4, first 2 shown]
	ds_read_b128 v[22:25], v12 offset:2016
	ds_read_b128 v[26:29], v12 offset:1984
	;; [unrolled: 1-line block ×3, first 2 shown]
	v_fma_f32 v13, -v14, v13, v17
	s_waitcnt lgkmcnt(3)
	v_mul_f32_e32 v13, v13, v39
	v_mul_f32_e32 v55, v16, v37
	s_waitcnt lgkmcnt(1)
	v_fma_f32 v17, -v13, v29, v18
	v_fma_f32 v19, -v13, v28, v19
	;; [unrolled: 1-line block ×4, first 2 shown]
	s_waitcnt lgkmcnt(0)
	v_fma_f32 v49, -v13, v33, v41
	v_fma_f32 v50, -v13, v32, v42
	;; [unrolled: 1-line block ×4, first 2 shown]
	ds_read_b128 v[26:29], v12 offset:1888
	ds_read_b128 v[30:33], v12 offset:1920
	v_mul_f32_e32 v56, v16, v36
	v_mul_f32_e32 v57, v16, v35
	;; [unrolled: 1-line block ×3, first 2 shown]
	s_waitcnt lgkmcnt(1)
	v_mul_f32_e32 v18, v17, v29
	v_fma_f32 v17, -v18, v28, v19
	v_fma_f32 v19, -v18, v27, v38
	v_fma_f32 v51, -v18, v26, v39
	ds_read_b128 v[26:29], v12 offset:2048
	ds_read_b128 v[38:41], v12 offset:2032
	v_mul_f32_e32 v2, v16, v2
	v_mul_f32_e32 v1, v16, v1
	;; [unrolled: 1-line block ×3, first 2 shown]
	s_waitcnt lgkmcnt(1)
	v_fma_f32 v52, -v14, v29, v43
	v_fma_f32 v53, -v14, v28, v44
	;; [unrolled: 1-line block ×4, first 2 shown]
	ds_read_b128 v[26:29], v12 offset:1952
	ds_read_b128 v[42:45], v12 offset:1936
	v_mul_f32_e32 v3, v16, v3
	s_waitcnt lgkmcnt(1)
	v_fma_f32 v52, -v13, v29, v52
	v_fma_f32 v53, -v13, v28, v53
	;; [unrolled: 1-line block ×4, first 2 shown]
	global_load_dwordx4 v[26:29], v[20:21], off offset:16
	global_load_dwordx4 v[34:37], v[20:21], off
	s_waitcnt vmcnt(1)
	v_fma_f32 v29, s16, v29, -v55
	s_waitcnt vmcnt(0)
	v_fma_f32 v2, s16, v36, -v2
	v_fma_f32 v1, s16, v35, -v1
	;; [unrolled: 1-line block ×3, first 2 shown]
	v_fma_f32 v2, -v15, v6, v2
	v_fma_f32 v1, -v15, v5, v1
	;; [unrolled: 1-line block ×3, first 2 shown]
	ds_read_b96 v[4:6], v12 offset:1792
	v_fma_f32 v28, s16, v28, -v56
	v_fma_f32 v27, s16, v27, -v57
	;; [unrolled: 1-line block ×4, first 2 shown]
	v_fma_f32 v11, -v15, v11, v29
	v_fma_f32 v10, -v15, v10, v28
	;; [unrolled: 1-line block ×13, first 2 shown]
	s_waitcnt lgkmcnt(1)
	v_fma_f32 v38, -v13, v45, v11
	v_fma_f32 v39, -v13, v44, v10
	;; [unrolled: 1-line block ×8, first 2 shown]
	ds_read_b128 v[0:3], v12 offset:1776
	global_store_dwordx4 v[20:21], v[13:16], off offset:80
	ds_read_b64 v[13:14], v12 offset:1696
	s_waitcnt lgkmcnt(2)
	v_mul_f32_e32 v17, v17, v6
	v_fma_f32 v15, -v17, v5, v19
	v_fma_f32 v19, -v17, v4, v51
	ds_read_b32 v26, v12 offset:1600
	ds_read_b128 v[4:7], v12 offset:1872
	ds_read_b128 v[8:11], v12 offset:1728
	s_waitcnt lgkmcnt(3)
	v_mul_f32_e32 v16, v15, v14
	v_fma_f32 v13, -v16, v13, v19
	s_waitcnt lgkmcnt(2)
	v_mul_f32_e32 v15, v13, v26
	s_waitcnt lgkmcnt(1)
	v_fma_f32 v7, -v18, v7, v49
	ds_read_b128 v[26:29], v12 offset:1856
	v_fma_f32 v7, -v17, v3, v7
	v_fma_f32 v13, -v18, v6, v50
	;; [unrolled: 1-line block ×4, first 2 shown]
	ds_read_b128 v[3:6], v12 offset:1680
	ds_read_b128 v[22:25], v12 offset:1584
	;; [unrolled: 1-line block ×3, first 2 shown]
	v_fma_f32 v2, -v17, v2, v13
	v_fma_f32 v1, -v17, v1, v14
	;; [unrolled: 1-line block ×3, first 2 shown]
	s_waitcnt lgkmcnt(2)
	v_fma_f32 v6, -v16, v6, v7
	v_fma_f32 v5, -v16, v5, v2
	;; [unrolled: 1-line block ×4, first 2 shown]
	ds_read_b128 v[0:3], v12 offset:1488
	s_waitcnt lgkmcnt(2)
	v_fma_f32 v13, -v15, v25, v6
	v_fma_f32 v14, -v15, v24, v5
	;; [unrolled: 1-line block ×4, first 2 shown]
	ds_read_b128 v[4:7], v12 offset:1536
	s_waitcnt lgkmcnt(1)
	v_mul_f32_e32 v3, v13, v3
	v_fma_f32 v13, -v3, v2, v14
	v_fma_f32 v14, -v3, v1, v19
	;; [unrolled: 1-line block ×7, first 2 shown]
	ds_read_b128 v[22:25], v12 offset:1760
	ds_read_b128 v[26:29], v12 offset:1744
	s_waitcnt lgkmcnt(1)
	v_fma_f32 v0, -v17, v25, v0
	v_fma_f32 v1, -v17, v24, v1
	;; [unrolled: 1-line block ×8, first 2 shown]
	ds_read_b128 v[22:25], v12 offset:1568
	ds_read_b128 v[30:33], v12 offset:1552
	s_waitcnt lgkmcnt(1)
	v_fma_f32 v46, -v15, v25, v0
	v_fma_f32 v48, -v15, v24, v1
	v_fma_f32 v49, -v15, v23, v2
	v_fma_f32 v50, -v15, v22, v19
	ds_read_b128 v[22:25], v12 offset:1840
	ds_read_b128 v[34:37], v12 offset:1824
	s_waitcnt lgkmcnt(1)
	v_fma_f32 v0, -v18, v25, v38
	v_fma_f32 v1, -v18, v24, v39
	;; [unrolled: 1-line block ×8, first 2 shown]
	ds_read_b128 v[22:25], v12 offset:1648
	ds_read_b128 v[26:29], v12 offset:1632
	global_store_dwordx4 v[20:21], v[15:18], off offset:64
	s_waitcnt lgkmcnt(1)
	v_fma_f32 v0, -v16, v25, v0
	v_fma_f32 v1, -v16, v24, v1
	;; [unrolled: 1-line block ×6, first 2 shown]
	ds_read_b96 v[0:2], v12 offset:1392
	v_fma_f32 v19, -v16, v22, v19
	v_fma_f32 v54, -v15, v30, v19
	;; [unrolled: 1-line block ×10, first 2 shown]
	ds_read_b128 v[8:11], v12 offset:1440
	s_waitcnt lgkmcnt(1)
	v_mul_f32_e32 v2, v13, v2
	v_fma_f32 v1, -v2, v1, v14
	v_fma_f32 v13, -v16, v29, v19
	;; [unrolled: 1-line block ×5, first 2 shown]
	ds_read_b128 v[16:19], v12 offset:1472
	v_fma_f32 v55, -v15, v7, v13
	v_fma_f32 v56, -v15, v6, v14
	;; [unrolled: 1-line block ×4, first 2 shown]
	ds_read_b64 v[34:35], v12 offset:1296
	ds_read_b128 v[4:7], v12 offset:1376
	ds_read_b128 v[22:25], v12 offset:1456
	s_waitcnt lgkmcnt(3)
	v_fma_f32 v19, -v3, v19, v46
	v_fma_f32 v18, -v3, v18, v48
	;; [unrolled: 1-line block ×4, first 2 shown]
	ds_read_b128 v[13:16], v12 offset:1360
	s_waitcnt lgkmcnt(2)
	v_fma_f32 v19, -v2, v7, v19
	v_fma_f32 v18, -v2, v6, v18
	;; [unrolled: 1-line block ×4, first 2 shown]
	ds_read_b128 v[4:7], v12 offset:1344
	v_mul_f32_e32 v1, v1, v35
	ds_read_b128 v[26:29], v12 offset:1280
	ds_read_b128 v[30:33], v12 offset:1264
	ds_read_b32 v35, v12 offset:1200
	v_fma_f32 v0, -v2, v0, v47
	v_fma_f32 v0, -v1, v34, v0
	s_waitcnt lgkmcnt(2)
	v_fma_f32 v19, -v1, v29, v19
	v_fma_f32 v18, -v1, v28, v18
	;; [unrolled: 1-line block ×4, first 2 shown]
	ds_read_b128 v[26:29], v12 offset:1248
	s_waitcnt lgkmcnt(1)
	v_mul_f32_e32 v0, v0, v35
	ds_read_b128 v[34:37], v12 offset:1184
	ds_read_b128 v[38:41], v12 offset:1168
	v_fma_f32 v25, -v3, v25, v51
	v_fma_f32 v24, -v3, v24, v52
	;; [unrolled: 1-line block ×8, first 2 shown]
	s_waitcnt lgkmcnt(1)
	v_fma_f32 v19, -v0, v37, v19
	v_fma_f32 v18, -v0, v36, v18
	;; [unrolled: 1-line block ×4, first 2 shown]
	ds_read_b128 v[34:37], v12 offset:1088
	ds_read_b128 v[42:45], v12 offset:1152
	v_fma_f32 v16, -v1, v33, v16
	v_fma_f32 v15, -v1, v32, v15
	v_fma_f32 v14, -v1, v31, v14
	v_fma_f32 v13, -v1, v30, v13
	s_waitcnt lgkmcnt(2)
	v_fma_f32 v30, -v0, v41, v16
	v_fma_f32 v31, -v0, v40, v15
	;; [unrolled: 1-line block ×4, first 2 shown]
	ds_read_b128 v[13:16], v12 offset:1072
	ds_read_b128 v[22:25], v12 offset:1056
	s_waitcnt lgkmcnt(3)
	v_mul_f32_e32 v17, v19, v37
	v_fma_f32 v18, -v17, v36, v18
	v_fma_f32 v19, -v17, v35, v46
	;; [unrolled: 1-line block ×3, first 2 shown]
	s_waitcnt lgkmcnt(1)
	v_fma_f32 v34, -v17, v16, v30
	v_fma_f32 v35, -v17, v15, v31
	v_fma_f32 v36, -v17, v14, v32
	v_fma_f32 v37, -v17, v13, v33
	ds_read_b96 v[13:15], v12 offset:992
	ds_read_b128 v[30:33], v12 offset:976
	v_fma_f32 v11, -v3, v11, v55
	v_fma_f32 v10, -v3, v10, v56
	;; [unrolled: 1-line block ×3, first 2 shown]
	s_waitcnt lgkmcnt(1)
	v_mul_f32_e32 v16, v18, v15
	s_waitcnt lgkmcnt(0)
	v_fma_f32 v18, -v16, v33, v34
	v_fma_f32 v47, -v16, v32, v35
	;; [unrolled: 1-line block ×5, first 2 shown]
	ds_read_b64 v[14:15], v12 offset:896
	ds_read_b128 v[30:33], v12 offset:960
	ds_read_b128 v[34:37], v12 offset:880
	;; [unrolled: 1-line block ×3, first 2 shown]
	v_fma_f32 v13, -v16, v13, v46
	v_fma_f32 v8, -v3, v8, v58
	s_waitcnt lgkmcnt(3)
	v_mul_f32_e32 v15, v19, v15
	s_waitcnt lgkmcnt(1)
	v_fma_f32 v18, -v15, v37, v18
	v_fma_f32 v19, -v15, v36, v47
	;; [unrolled: 1-line block ×5, first 2 shown]
	ds_read_b32 v14, v12 offset:800
	ds_read_b128 v[34:37], v12 offset:784
	v_fma_f32 v7, -v2, v7, v11
	v_fma_f32 v6, -v2, v6, v10
	;; [unrolled: 1-line block ×8, first 2 shown]
	ds_read_b128 v[4:7], v12 offset:688
	s_waitcnt lgkmcnt(2)
	v_mul_f32_e32 v14, v13, v14
	global_store_dwordx4 v[20:21], v[0:3], off offset:48
	s_waitcnt lgkmcnt(1)
	v_fma_f32 v13, -v14, v37, v18
	v_fma_f32 v18, -v14, v36, v19
	;; [unrolled: 1-line block ×7, first 2 shown]
	ds_read_b96 v[26:28], v12 offset:592
	ds_read_b128 v[0:3], v12 offset:768
	v_fma_f32 v34, -v14, v34, v48
	s_waitcnt lgkmcnt(2)
	v_mul_f32_e32 v7, v13, v7
	v_fma_f32 v6, -v7, v6, v18
	v_fma_f32 v13, -v7, v5, v19
	;; [unrolled: 1-line block ×3, first 2 shown]
	ds_read_b64 v[4:5], v12 offset:496
	ds_read_b128 v[8:11], v12 offset:672
	s_waitcnt lgkmcnt(3)
	v_mul_f32_e32 v6, v6, v28
	v_fma_f32 v13, -v6, v27, v13
	v_fma_f32 v18, -v6, v26, v18
	s_waitcnt lgkmcnt(1)
	v_mul_f32_e32 v5, v13, v5
	ds_read_b32 v13, v12 offset:400
	v_fma_f32 v4, -v5, v4, v18
	v_fma_f32 v18, -v17, v25, v35
	ds_read_b128 v[26:29], v12 offset:576
	v_fma_f32 v19, -v17, v24, v36
	v_fma_f32 v23, -v17, v23, v37
	;; [unrolled: 1-line block ×7, first 2 shown]
	ds_read_b128 v[22:25], v12 offset:480
	s_waitcnt lgkmcnt(2)
	v_mul_f32_e32 v4, v4, v13
	v_fma_f32 v13, -v15, v41, v18
	global_store_dwordx4 v[20:21], v[14:17], off offset:32
	s_nop 0
	v_fma_f32 v17, -v14, v3, v13
	v_fma_f32 v3, -v15, v40, v19
	;; [unrolled: 1-line block ×7, first 2 shown]
	ds_read_b128 v[0:3], v12 offset:384
	ds_read_b128 v[13:16], v12 offset:288
	v_fma_f32 v11, -v7, v11, v17
	s_waitcnt lgkmcnt(3)
	v_fma_f32 v11, -v6, v29, v11
	s_waitcnt lgkmcnt(2)
	;; [unrolled: 2-line block ×3, first 2 shown]
	v_fma_f32 v3, -v4, v3, v11
	v_fma_f32 v10, -v7, v10, v18
	s_waitcnt lgkmcnt(0)
	v_mul_f32_e32 v3, v3, v16
	ds_read_b96 v[16:18], v12 offset:192
	v_fma_f32 v10, -v6, v28, v10
	v_fma_f32 v10, -v5, v24, v10
	;; [unrolled: 1-line block ×4, first 2 shown]
	ds_read_b64 v[10:11], v12 offset:96
	v_fma_f32 v9, -v6, v27, v9
	global_store_dwordx4 v[20:21], v[4:7], off offset:16
	v_fma_f32 v9, -v5, v23, v9
	v_fma_f32 v7, -v7, v8, v30
	v_fma_f32 v6, -v6, v26, v7
	v_fma_f32 v2, -v3, v15, v2
	v_fma_f32 v1, -v4, v1, v9
	ds_read_b32 v9, v12
	v_fma_f32 v5, -v5, v22, v6
	s_waitcnt lgkmcnt(2)
	v_mul_f32_e32 v2, v2, v18
	v_fma_f32 v1, -v3, v14, v1
	v_fma_f32 v0, -v4, v0, v5
	;; [unrolled: 1-line block ×4, first 2 shown]
	s_waitcnt lgkmcnt(1)
	v_mul_f32_e32 v1, v1, v11
	v_fma_f32 v0, -v2, v16, v0
	v_fma_f32 v0, -v1, v10, v0
	s_waitcnt lgkmcnt(0)
	v_mul_f32_e32 v0, v0, v9
	global_store_dwordx4 v[20:21], v[0:3], off
	s_cmp_gt_i32 s0, -1
	s_cbranch_scc1 .LBB27_29
	s_branch .LBB27_51
.LBB27_28:
	s_mov_b32 s0, s8
	s_cmp_gt_i32 s0, -1
	s_cbranch_scc0 .LBB27_51
.LBB27_29:
	s_cmp_lt_u32 s0, 19
	s_cbranch_scc1 .LBB27_34
; %bb.30:
	s_mov_b32 s3, 0
	s_mov_b32 s1, s3
	s_lshl_b64 s[4:5], s[0:1], 2
	v_mov_b32_e32 v1, s5
	v_add_co_u32_e32 v0, vcc, s4, v20
	v_addc_co_u32_e32 v1, vcc, v21, v1, vcc
	global_load_dwordx4 v[2:5], v[0:1], off offset:-12
	global_load_dwordx4 v[10:13], v[0:1], off offset:-28
	;; [unrolled: 1-line block ×5, first 2 shown]
	s_cmp_le_i32 s8, s0
	s_waitcnt vmcnt(4)
	v_mul_f32_e32 v5, s16, v5
	v_mul_f32_e32 v23, s16, v4
	v_mul_f32_e32 v22, s16, v3
	v_mul_f32_e32 v7, s16, v2
	s_waitcnt vmcnt(3)
	v_mul_f32_e32 v8, s16, v13
	v_mul_f32_e32 v9, s16, v12
	v_mul_f32_e32 v11, s16, v11
	v_mul_f32_e32 v12, s16, v10
	;; [unrolled: 5-line block ×5, first 2 shown]
	s_cbranch_scc1 .LBB27_33
; %bb.31:
	s_mul_i32 s1, s17, 0x60
	s_lshl_b32 s2, s0, 2
	s_add_i32 s1, s1, s2
	s_addk_i32 s1, 0xff54
	s_mov_b32 s2, s8
.LBB27_32:                              ; =>This Inner Loop Header: Depth=1
	s_lshl_b64 s[4:5], s[2:3], 2
	v_mov_b32_e32 v25, s5
	v_add_co_u32_e32 v24, vcc, s4, v20
	v_addc_co_u32_e32 v25, vcc, v21, v25, vcc
	global_load_dword v44, v[24:25], off
	v_mov_b32_e32 v42, s1
	ds_read2_b32 v[24:25], v42 offset0:18 offset1:19
	ds_read2_b32 v[26:27], v42 offset0:16 offset1:17
	;; [unrolled: 1-line block ×9, first 2 shown]
	ds_read2_b32 v[42:43], v42 offset1:1
	s_add_i32 s2, s2, -1
	s_addk_i32 s1, 0xffa0
	s_cmp_gt_i32 s2, s0
	s_waitcnt vmcnt(0) lgkmcnt(9)
	v_fma_f32 v5, -v44, v25, v5
	v_fma_f32 v23, -v44, v24, v23
	s_waitcnt lgkmcnt(8)
	v_fma_f32 v22, -v44, v27, v22
	v_fma_f32 v7, -v44, v26, v7
	s_waitcnt lgkmcnt(7)
	;; [unrolled: 3-line block ×9, first 2 shown]
	v_fma_f32 v3, -v44, v43, v3
	v_fma_f32 v2, -v44, v42, v2
	s_cbranch_scc1 .LBB27_32
.LBB27_33:
	s_add_i32 s2, s0, -1
	s_lshl_b32 s3, s2, 2
	s_mul_i32 s1, s0, 0x60
	s_add_i32 s4, s3, s1
	v_mov_b32_e32 v24, s4
	s_add_i32 s9, s1, 0xffffffa0
	s_add_i32 s4, s0, -3
	ds_read2_b32 v[24:25], v24 offset1:1
	s_add_i32 s3, s3, s9
	s_lshl_b32 s5, s4, 2
	v_mov_b32_e32 v26, s3
	s_add_i32 s3, s5, s1
	v_mov_b32_e32 v27, s3
	s_add_i32 s3, s5, s9
	v_mov_b32_e32 v28, s3
	ds_read_b32 v30, v26
	ds_read2_b32 v[26:27], v27 offset1:1
	ds_read2_b32 v[28:29], v28 offset1:1
	s_mov_b32 s3, 0
	s_waitcnt lgkmcnt(3)
	v_mul_f32_e32 v5, v5, v25
	s_lshl_b64 s[6:7], s[2:3], 2
	global_store_dword v[0:1], v5, off
	v_fma_f32 v0, -v5, v24, v23
	v_mov_b32_e32 v1, s7
	v_add_co_u32_e32 v23, vcc, s6, v20
	s_add_i32 s10, s1, 0xffffff40
	s_waitcnt lgkmcnt(2)
	v_mul_f32_e32 v0, v0, v30
	v_addc_co_u32_e32 v24, vcc, v21, v1, vcc
	s_add_i32 s2, s0, -2
	s_add_i32 s6, s5, s10
	global_store_dword v[23:24], v0, off
	v_mov_b32_e32 v24, s6
	s_lshl_b64 s[6:7], s[2:3], 2
	s_waitcnt lgkmcnt(1)
	v_fma_f32 v1, -v5, v27, v22
	v_add_co_u32_e32 v22, vcc, s6, v20
	s_add_i32 s11, s1, 0xfffffee0
	s_add_i32 s6, s0, -5
	v_mov_b32_e32 v23, s7
	s_add_i32 s2, s5, s11
	ds_read2_b32 v[24:25], v24 offset1:1
	s_lshl_b32 s7, s6, 2
	v_mov_b32_e32 v27, s2
	s_add_i32 s2, s7, s1
	s_waitcnt lgkmcnt(1)
	v_fma_f32 v1, -v0, v29, v1
	v_mov_b32_e32 v29, s2
	s_add_i32 s2, s7, s9
	v_mov_b32_e32 v31, s2
	ds_read_b32 v27, v27
	ds_read2_b32 v[29:30], v29 offset1:1
	ds_read2_b32 v[31:32], v31 offset1:1
	v_fma_f32 v7, -v5, v26, v7
	s_mov_b32 s5, s3
	v_addc_co_u32_e32 v23, vcc, v21, v23, vcc
	s_waitcnt lgkmcnt(3)
	v_mul_f32_e32 v1, v1, v25
	v_fma_f32 v7, -v0, v28, v7
	s_lshl_b64 s[4:5], s[4:5], 2
	global_store_dword v[22:23], v1, off
	v_fma_f32 v7, -v1, v24, v7
	v_mov_b32_e32 v23, s5
	v_add_co_u32_e32 v22, vcc, s4, v20
	s_waitcnt lgkmcnt(2)
	v_mul_f32_e32 v7, v7, v27
	v_addc_co_u32_e32 v23, vcc, v21, v23, vcc
	s_add_i32 s4, s7, s10
	global_store_dword v[22:23], v7, off
	v_mov_b32_e32 v22, s4
	s_add_i32 s4, s7, s11
	s_add_i32 s12, s1, 0xfffffe80
	s_add_i32 s2, s0, -4
	v_mov_b32_e32 v24, s4
	s_add_i32 s4, s7, s12
	s_add_i32 s13, s1, 0xfffffe20
	v_mov_b32_e32 v26, s4
	s_lshl_b64 s[4:5], s[2:3], 2
	s_add_i32 s2, s7, s13
	v_mov_b32_e32 v23, s2
	s_waitcnt lgkmcnt(1)
	v_fma_f32 v8, -v5, v30, v8
	ds_read_b32 v30, v23
	ds_read2_b32 v[22:23], v22 offset1:1
	ds_read2_b32 v[24:25], v24 offset1:1
	;; [unrolled: 1-line block ×3, first 2 shown]
	s_waitcnt lgkmcnt(4)
	v_fma_f32 v8, -v0, v32, v8
	v_fma_f32 v9, -v5, v29, v9
	v_mov_b32_e32 v28, s5
	v_add_co_u32_e32 v32, vcc, s4, v20
	s_waitcnt lgkmcnt(2)
	v_fma_f32 v8, -v1, v23, v8
	v_fma_f32 v9, -v0, v31, v9
	s_mov_b32 s7, s3
	v_addc_co_u32_e32 v33, vcc, v21, v28, vcc
	s_waitcnt lgkmcnt(1)
	v_fma_f32 v8, -v7, v25, v8
	v_fma_f32 v9, -v1, v22, v9
	s_lshl_b64 s[4:5], s[6:7], 2
	s_waitcnt lgkmcnt(0)
	v_mul_f32_e32 v8, v8, v27
	v_fma_f32 v9, -v7, v24, v9
	v_add_co_u32_e32 v22, vcc, s4, v20
	s_add_i32 s4, s0, -7
	v_fma_f32 v9, -v8, v26, v9
	v_mov_b32_e32 v23, s5
	s_lshl_b32 s5, s4, 2
	v_mul_f32_e32 v9, v9, v30
	v_addc_co_u32_e32 v23, vcc, v21, v23, vcc
	s_add_i32 s6, s5, s1
	global_store_dword v[22:23], v9, off
	v_mov_b32_e32 v22, s6
	s_add_i32 s6, s5, s9
	global_store_dword v[32:33], v8, off
	v_mov_b32_e32 v24, s6
	s_add_i32 s6, s5, s10
	v_mov_b32_e32 v28, s6
	s_add_i32 s6, s5, s11
	ds_read2_b32 v[22:23], v22 offset1:1
	ds_read2_b32 v[24:25], v24 offset1:1
	s_add_i32 s2, s0, -6
	v_mov_b32_e32 v30, s6
	s_lshl_b64 s[6:7], s[2:3], 2
	ds_read2_b32 v[28:29], v28 offset1:1
	ds_read2_b32 v[30:31], v30 offset1:1
	s_add_i32 s14, s1, 0xfffffdc0
	s_add_i32 s15, s1, 0xfffffd60
	v_mov_b32_e32 v27, s7
	v_add_co_u32_e32 v26, vcc, s6, v20
	s_add_i32 s2, s5, s12
	s_add_i32 s6, s5, s13
	s_add_i32 s7, s5, s14
	s_add_i32 s5, s5, s15
	s_waitcnt lgkmcnt(3)
	v_fma_f32 v11, -v5, v23, v11
	v_mov_b32_e32 v23, s5
	v_mov_b32_e32 v34, s6
	;; [unrolled: 1-line block ×3, first 2 shown]
	s_waitcnt lgkmcnt(2)
	v_fma_f32 v11, -v0, v25, v11
	v_mov_b32_e32 v25, s2
	ds_read_b32 v23, v23
	ds_read2_b32 v[32:33], v25 offset1:1
	ds_read2_b32 v[34:35], v34 offset1:1
	;; [unrolled: 1-line block ×3, first 2 shown]
	v_fma_f32 v12, -v5, v22, v12
	s_waitcnt lgkmcnt(5)
	v_fma_f32 v11, -v1, v29, v11
	v_fma_f32 v12, -v0, v24, v12
	s_waitcnt lgkmcnt(4)
	v_fma_f32 v11, -v7, v31, v11
	;; [unrolled: 3-line block ×4, first 2 shown]
	v_fma_f32 v12, -v8, v32, v12
	s_waitcnt lgkmcnt(0)
	v_mul_f32_e32 v11, v11, v37
	v_fma_f32 v12, -v9, v34, v12
	s_mov_b32 s5, s3
	v_addc_co_u32_e32 v27, vcc, v21, v27, vcc
	v_fma_f32 v12, -v11, v36, v12
	s_lshl_b64 s[4:5], s[4:5], 2
	s_add_i32 s6, s0, -9
	v_mul_f32_e32 v12, v12, v23
	v_mov_b32_e32 v23, s5
	v_add_co_u32_e32 v22, vcc, s4, v20
	s_lshl_b32 s7, s6, 2
	v_addc_co_u32_e32 v23, vcc, v21, v23, vcc
	s_add_i32 s4, s7, s1
	global_store_dword v[22:23], v12, off
	v_mov_b32_e32 v22, s4
	s_add_i32 s4, s7, s9
	v_mov_b32_e32 v24, s4
	s_add_i32 s4, s7, s10
	global_store_dword v[26:27], v11, off
	v_mov_b32_e32 v26, s4
	s_add_i32 s4, s7, s11
	v_mov_b32_e32 v30, s4
	ds_read2_b32 v[22:23], v22 offset1:1
	ds_read2_b32 v[24:25], v24 offset1:1
	;; [unrolled: 1-line block ×4, first 2 shown]
	s_add_i32 s2, s0, -8
	s_lshl_b64 s[4:5], s[2:3], 2
	s_waitcnt lgkmcnt(3)
	v_fma_f32 v14, -v5, v23, v14
	s_add_i32 s2, s7, s12
	s_add_i32 s18, s7, s15
	v_mov_b32_e32 v29, s5
	v_add_co_u32_e32 v28, vcc, s4, v20
	s_waitcnt lgkmcnt(2)
	v_fma_f32 v14, -v0, v25, v14
	s_add_i32 s4, s7, s13
	s_add_i32 s5, s7, s14
	v_mov_b32_e32 v23, s2
	v_mov_b32_e32 v38, s18
	s_waitcnt lgkmcnt(1)
	v_fma_f32 v14, -v1, v27, v14
	v_mov_b32_e32 v25, s4
	v_mov_b32_e32 v27, s5
	ds_read2_b32 v[32:33], v23 offset1:1
	ds_read2_b32 v[34:35], v25 offset1:1
	;; [unrolled: 1-line block ×4, first 2 shown]
	s_waitcnt lgkmcnt(4)
	v_fma_f32 v14, -v7, v31, v14
	s_add_i32 s4, s0, -11
	s_waitcnt lgkmcnt(3)
	v_fma_f32 v14, -v8, v33, v14
	s_lshl_b32 s5, s4, 2
	s_waitcnt lgkmcnt(2)
	v_fma_f32 v14, -v9, v35, v14
	s_add_i32 s18, s1, 0xfffffd00
	s_add_i32 s19, s5, s1
	v_fma_f32 v15, -v5, v22, v15
	s_waitcnt lgkmcnt(1)
	v_fma_f32 v14, -v11, v37, v14
	s_add_i32 s2, s7, s18
	s_add_i32 s20, s5, s9
	v_mov_b32_e32 v25, s19
	s_add_i32 s19, s1, 0xfffffca0
	v_fma_f32 v15, -v0, v24, v15
	s_waitcnt lgkmcnt(0)
	v_fma_f32 v14, -v12, v39, v14
	v_mov_b32_e32 v23, s2
	v_mov_b32_e32 v27, s20
	ds_read2_b32 v[39:40], v25 offset1:1
	ds_read2_b32 v[41:42], v27 offset1:1
	ds_read2_b32 v[43:44], v23 offset1:1
	s_add_i32 s2, s7, s19
	v_fma_f32 v15, -v1, v26, v15
	v_mov_b32_e32 v22, s2
	v_fma_f32 v15, -v7, v30, v15
	ds_read_b32 v22, v22
	v_fma_f32 v15, -v8, v32, v15
	v_fma_f32 v15, -v9, v34, v15
	;; [unrolled: 1-line block ×3, first 2 shown]
	s_waitcnt lgkmcnt(1)
	v_mul_f32_e32 v14, v14, v44
	v_fma_f32 v15, -v12, v38, v15
	s_mov_b32 s7, s3
	v_addc_co_u32_e32 v29, vcc, v21, v29, vcc
	v_fma_f32 v15, -v14, v43, v15
	s_lshl_b64 s[6:7], s[6:7], 2
	s_waitcnt lgkmcnt(0)
	v_mul_f32_e32 v15, v15, v22
	v_add_co_u32_e32 v22, vcc, s6, v20
	s_add_i32 s6, s5, s10
	v_mov_b32_e32 v23, s7
	v_mov_b32_e32 v24, s6
	s_add_i32 s6, s5, s11
	v_addc_co_u32_e32 v23, vcc, v21, v23, vcc
	v_mov_b32_e32 v26, s6
	s_add_i32 s6, s5, s12
	global_store_dword v[28:29], v14, off
	global_store_dword v[22:23], v15, off
	v_mov_b32_e32 v28, s6
	s_add_i32 s20, s5, s13
	ds_read2_b32 v[24:25], v24 offset1:1
	ds_read2_b32 v[26:27], v26 offset1:1
	;; [unrolled: 1-line block ×3, first 2 shown]
	v_mov_b32_e32 v30, s20
	v_fma_f32 v17, -v5, v40, v17
	ds_read2_b32 v[30:31], v30 offset1:1
	s_add_i32 s2, s0, -10
	v_fma_f32 v17, -v0, v42, v17
	s_lshl_b64 s[6:7], s[2:3], 2
	s_waitcnt lgkmcnt(3)
	v_fma_f32 v17, -v1, v25, v17
	s_add_i32 s2, s5, s14
	v_mov_b32_e32 v23, s7
	v_add_co_u32_e32 v22, vcc, s6, v20
	s_waitcnt lgkmcnt(2)
	v_fma_f32 v17, -v7, v27, v17
	s_add_i32 s6, s5, s15
	s_add_i32 s7, s5, s18
	;; [unrolled: 1-line block ×3, first 2 shown]
	v_mov_b32_e32 v25, s2
	s_waitcnt lgkmcnt(1)
	v_fma_f32 v17, -v8, v29, v17
	v_mov_b32_e32 v27, s6
	v_mov_b32_e32 v29, s7
	;; [unrolled: 1-line block ×3, first 2 shown]
	ds_read2_b32 v[32:33], v25 offset1:1
	ds_read2_b32 v[34:35], v27 offset1:1
	;; [unrolled: 1-line block ×4, first 2 shown]
	s_waitcnt lgkmcnt(4)
	v_fma_f32 v17, -v9, v31, v17
	s_add_i32 s6, s0, -13
	s_waitcnt lgkmcnt(3)
	v_fma_f32 v17, -v11, v33, v17
	s_lshl_b32 s7, s6, 2
	s_waitcnt lgkmcnt(2)
	v_fma_f32 v17, -v12, v35, v17
	s_add_i32 s20, s1, 0xfffffc40
	s_add_i32 s21, s7, s1
	s_waitcnt lgkmcnt(1)
	v_fma_f32 v17, -v14, v37, v17
	s_add_i32 s2, s5, s20
	s_add_i32 s22, s7, s9
	v_mov_b32_e32 v27, s21
	s_waitcnt lgkmcnt(0)
	v_fma_f32 v17, -v15, v43, v17
	v_mov_b32_e32 v25, s2
	v_mov_b32_e32 v29, s22
	ds_read2_b32 v[37:38], v27 offset1:1
	ds_read2_b32 v[43:44], v29 offset1:1
	ds_read2_b32 v[45:46], v25 offset1:1
	v_fma_f32 v18, -v5, v39, v18
	v_fma_f32 v18, -v0, v41, v18
	;; [unrolled: 1-line block ×3, first 2 shown]
	s_add_i32 s21, s1, 0xfffffbe0
	v_fma_f32 v18, -v7, v26, v18
	v_addc_co_u32_e32 v23, vcc, v21, v23, vcc
	s_waitcnt lgkmcnt(0)
	v_mul_f32_e32 v17, v17, v46
	s_add_i32 s2, s5, s21
	v_fma_f32 v18, -v8, v28, v18
	global_store_dword v[22:23], v17, off
	v_mov_b32_e32 v22, s2
	v_fma_f32 v18, -v9, v30, v18
	ds_read_b32 v22, v22
	v_fma_f32 v18, -v11, v32, v18
	v_fma_f32 v18, -v12, v34, v18
	;; [unrolled: 1-line block ×4, first 2 shown]
	s_mov_b32 s5, s3
	v_fma_f32 v18, -v17, v45, v18
	s_lshl_b64 s[4:5], s[4:5], 2
	s_waitcnt lgkmcnt(0)
	v_mul_f32_e32 v18, v18, v22
	v_add_co_u32_e32 v22, vcc, s4, v20
	s_add_i32 s4, s7, s10
	v_mov_b32_e32 v23, s5
	v_mov_b32_e32 v24, s4
	s_add_i32 s4, s7, s11
	v_addc_co_u32_e32 v23, vcc, v21, v23, vcc
	v_mov_b32_e32 v26, s4
	s_add_i32 s4, s7, s12
	global_store_dword v[22:23], v18, off
	v_mov_b32_e32 v28, s4
	s_add_i32 s22, s7, s13
	ds_read2_b32 v[24:25], v24 offset1:1
	ds_read2_b32 v[26:27], v26 offset1:1
	ds_read2_b32 v[28:29], v28 offset1:1
	v_mov_b32_e32 v30, s22
	v_fma_f32 v19, -v5, v38, v19
	ds_read2_b32 v[30:31], v30 offset1:1
	s_add_i32 s2, s0, -12
	v_fma_f32 v19, -v0, v44, v19
	s_lshl_b64 s[4:5], s[2:3], 2
	s_waitcnt lgkmcnt(3)
	v_fma_f32 v19, -v1, v25, v19
	s_add_i32 s2, s7, s14
	v_mov_b32_e32 v23, s5
	v_add_co_u32_e32 v22, vcc, s4, v20
	s_waitcnt lgkmcnt(2)
	v_fma_f32 v19, -v7, v27, v19
	s_add_i32 s4, s7, s15
	s_add_i32 s5, s7, s18
	;; [unrolled: 1-line block ×3, first 2 shown]
	v_mov_b32_e32 v25, s2
	s_waitcnt lgkmcnt(1)
	v_fma_f32 v19, -v8, v29, v19
	v_mov_b32_e32 v27, s4
	v_mov_b32_e32 v29, s5
	;; [unrolled: 1-line block ×3, first 2 shown]
	ds_read2_b32 v[32:33], v25 offset1:1
	ds_read2_b32 v[34:35], v27 offset1:1
	;; [unrolled: 1-line block ×4, first 2 shown]
	s_waitcnt lgkmcnt(4)
	v_fma_f32 v19, -v9, v31, v19
	s_waitcnt lgkmcnt(3)
	v_fma_f32 v19, -v11, v33, v19
	;; [unrolled: 2-line block ×3, first 2 shown]
	s_add_i32 s2, s7, s20
	s_add_i32 s23, s1, 0xfffffb80
	s_waitcnt lgkmcnt(1)
	v_fma_f32 v19, -v14, v39, v19
	s_add_i32 s4, s7, s21
	s_add_i32 s5, s7, s23
	v_mov_b32_e32 v25, s2
	v_fma_f32 v16, -v5, v37, v16
	s_waitcnt lgkmcnt(0)
	v_fma_f32 v19, -v15, v41, v19
	v_mov_b32_e32 v27, s4
	v_mov_b32_e32 v29, s5
	ds_read2_b32 v[35:36], v25 offset1:1
	ds_read2_b32 v[41:42], v27 offset1:1
	;; [unrolled: 1-line block ×3, first 2 shown]
	v_fma_f32 v16, -v0, v43, v16
	v_fma_f32 v16, -v1, v24, v16
	;; [unrolled: 1-line block ×3, first 2 shown]
	s_waitcnt lgkmcnt(2)
	v_fma_f32 v19, -v17, v36, v19
	v_fma_f32 v16, -v8, v28, v16
	s_waitcnt lgkmcnt(1)
	v_fma_f32 v19, -v18, v42, v19
	s_mul_i32 s22, s0, 0x64
	v_fma_f32 v16, -v9, v30, v16
	v_addc_co_u32_e32 v23, vcc, v21, v23, vcc
	s_waitcnt lgkmcnt(0)
	v_mul_f32_e32 v19, v19, v45
	s_add_i32 s2, s22, 0xfffffaec
	v_fma_f32 v16, -v11, v32, v16
	global_store_dword v[22:23], v19, off
	v_mov_b32_e32 v22, s2
	v_fma_f32 v16, -v12, v34, v16
	ds_read_b32 v22, v22
	v_fma_f32 v16, -v14, v38, v16
	v_fma_f32 v16, -v15, v40, v16
	;; [unrolled: 1-line block ×4, first 2 shown]
	s_mov_b32 s7, s3
	v_fma_f32 v16, -v19, v44, v16
	s_lshl_b64 s[4:5], s[6:7], 2
	s_waitcnt lgkmcnt(0)
	v_mul_f32_e32 v16, v16, v22
	v_add_co_u32_e32 v22, vcc, s4, v20
	s_add_i32 s4, s0, -15
	v_mov_b32_e32 v23, s5
	s_lshl_b32 s5, s4, 2
	v_addc_co_u32_e32 v23, vcc, v21, v23, vcc
	s_add_i32 s6, s5, s1
	global_store_dword v[22:23], v16, off
	v_mov_b32_e32 v22, s6
	s_add_i32 s6, s5, s9
	v_mov_b32_e32 v24, s6
	s_add_i32 s6, s5, s10
	;; [unrolled: 2-line block ×3, first 2 shown]
	v_mov_b32_e32 v30, s6
	ds_read2_b32 v[22:23], v22 offset1:1
	ds_read2_b32 v[24:25], v24 offset1:1
	;; [unrolled: 1-line block ×4, first 2 shown]
	s_add_i32 s2, s0, -14
	s_lshl_b64 s[6:7], s[2:3], 2
	s_waitcnt lgkmcnt(3)
	v_fma_f32 v13, -v5, v23, v13
	s_add_i32 s2, s5, s12
	s_add_i32 s24, s5, s15
	v_mov_b32_e32 v29, s7
	v_add_co_u32_e32 v28, vcc, s6, v20
	s_waitcnt lgkmcnt(2)
	v_fma_f32 v13, -v0, v25, v13
	s_add_i32 s6, s5, s13
	s_add_i32 s7, s5, s14
	v_mov_b32_e32 v23, s2
	v_mov_b32_e32 v38, s24
	s_waitcnt lgkmcnt(1)
	v_fma_f32 v13, -v1, v27, v13
	v_mov_b32_e32 v25, s6
	v_mov_b32_e32 v27, s7
	ds_read2_b32 v[32:33], v23 offset1:1
	ds_read2_b32 v[34:35], v25 offset1:1
	;; [unrolled: 1-line block ×4, first 2 shown]
	s_waitcnt lgkmcnt(4)
	v_fma_f32 v13, -v7, v31, v13
	s_waitcnt lgkmcnt(3)
	v_fma_f32 v13, -v8, v33, v13
	;; [unrolled: 2-line block ×3, first 2 shown]
	s_add_i32 s2, s5, s18
	s_waitcnt lgkmcnt(1)
	v_fma_f32 v13, -v11, v37, v13
	s_add_i32 s6, s5, s19
	s_add_i32 s7, s5, s20
	;; [unrolled: 1-line block ×3, first 2 shown]
	v_mov_b32_e32 v23, s2
	s_waitcnt lgkmcnt(0)
	v_fma_f32 v13, -v12, v39, v13
	v_mov_b32_e32 v25, s6
	v_mov_b32_e32 v27, s7
	;; [unrolled: 1-line block ×3, first 2 shown]
	ds_read2_b32 v[39:40], v23 offset1:1
	ds_read2_b32 v[41:42], v25 offset1:1
	;; [unrolled: 1-line block ×4, first 2 shown]
	v_fma_f32 v10, -v5, v22, v10
	s_waitcnt lgkmcnt(3)
	v_fma_f32 v13, -v14, v40, v13
	v_fma_f32 v10, -v0, v24, v10
	s_waitcnt lgkmcnt(2)
	v_fma_f32 v13, -v15, v42, v13
	s_add_i32 s2, s5, s23
	s_add_i32 s25, s1, 0xfffffb20
	;; [unrolled: 1-line block ×3, first 2 shown]
	v_fma_f32 v10, -v1, v26, v10
	s_waitcnt lgkmcnt(1)
	v_fma_f32 v13, -v17, v44, v13
	s_add_i32 s6, s5, s25
	s_add_i32 s5, s5, s24
	v_mov_b32_e32 v23, s2
	v_fma_f32 v10, -v7, v30, v10
	s_waitcnt lgkmcnt(0)
	v_fma_f32 v13, -v18, v46, v13
	v_mov_b32_e32 v25, s6
	v_mov_b32_e32 v27, s5
	ds_read2_b32 v[46:47], v23 offset1:1
	ds_read2_b32 v[48:49], v25 offset1:1
	;; [unrolled: 1-line block ×3, first 2 shown]
	v_fma_f32 v10, -v8, v32, v10
	v_fma_f32 v10, -v9, v34, v10
	;; [unrolled: 1-line block ×3, first 2 shown]
	s_waitcnt lgkmcnt(2)
	v_fma_f32 v13, -v19, v47, v13
	v_fma_f32 v10, -v12, v38, v10
	s_waitcnt lgkmcnt(1)
	v_fma_f32 v13, -v16, v49, v13
	s_add_i32 s2, s22, 0xfffffa24
	v_fma_f32 v10, -v14, v39, v10
	s_waitcnt lgkmcnt(0)
	v_mul_f32_e32 v59, v13, v51
	v_mov_b32_e32 v13, s2
	v_fma_f32 v10, -v15, v41, v10
	ds_read_b32 v13, v13
	v_fma_f32 v10, -v17, v43, v10
	v_fma_f32 v10, -v18, v45, v10
	;; [unrolled: 1-line block ×4, first 2 shown]
	s_mov_b32 s5, s3
	s_sub_i32 s6, s0, 17
	v_addc_co_u32_e32 v29, vcc, v21, v29, vcc
	v_fma_f32 v10, -v59, v50, v10
	s_lshl_b64 s[4:5], s[4:5], 2
	s_lshl_b32 s7, s6, 2
	s_waitcnt lgkmcnt(0)
	v_mul_f32_e32 v60, v10, v13
	v_mov_b32_e32 v10, s5
	v_add_co_u32_e32 v22, vcc, s4, v20
	s_add_i32 s4, s7, s1
	v_addc_co_u32_e32 v23, vcc, v21, v10, vcc
	v_mov_b32_e32 v10, s4
	s_add_i32 s4, s7, s9
	v_mov_b32_e32 v13, s4
	s_add_i32 s4, s7, s10
	global_store_dword v[28:29], v59, off
	global_store_dword v[22:23], v60, off
	v_mov_b32_e32 v26, s4
	s_add_i32 s4, s7, s11
	v_mov_b32_e32 v30, s4
	ds_read2_b32 v[22:23], v10 offset1:1
	ds_read2_b32 v[24:25], v13 offset1:1
	;; [unrolled: 1-line block ×4, first 2 shown]
	s_add_i32 s2, s0, -16
	s_lshl_b64 s[4:5], s[2:3], 2
	s_waitcnt lgkmcnt(3)
	v_fma_f32 v6, -v5, v23, v6
	s_add_i32 s2, s7, s12
	v_mov_b32_e32 v29, s5
	v_add_co_u32_e32 v28, vcc, s4, v20
	s_waitcnt lgkmcnt(2)
	v_fma_f32 v6, -v0, v25, v6
	s_add_i32 s4, s7, s13
	s_add_i32 s5, s7, s14
	s_add_i32 s26, s7, s15
	v_mov_b32_e32 v10, s2
	s_waitcnt lgkmcnt(1)
	v_fma_f32 v6, -v1, v27, v6
	v_mov_b32_e32 v13, s4
	v_mov_b32_e32 v23, s5
	;; [unrolled: 1-line block ×3, first 2 shown]
	ds_read2_b32 v[32:33], v10 offset1:1
	ds_read2_b32 v[34:35], v13 offset1:1
	;; [unrolled: 1-line block ×4, first 2 shown]
	s_waitcnt lgkmcnt(4)
	v_fma_f32 v6, -v7, v31, v6
	s_waitcnt lgkmcnt(3)
	v_fma_f32 v6, -v8, v33, v6
	;; [unrolled: 2-line block ×3, first 2 shown]
	s_add_i32 s2, s7, s18
	s_waitcnt lgkmcnt(1)
	v_fma_f32 v6, -v11, v37, v6
	s_add_i32 s4, s7, s19
	s_add_i32 s5, s7, s20
	;; [unrolled: 1-line block ×3, first 2 shown]
	v_mov_b32_e32 v10, s2
	s_waitcnt lgkmcnt(0)
	v_fma_f32 v6, -v12, v39, v6
	v_mov_b32_e32 v13, s4
	v_mov_b32_e32 v23, s5
	;; [unrolled: 1-line block ×3, first 2 shown]
	ds_read2_b32 v[39:40], v10 offset1:1
	ds_read2_b32 v[41:42], v13 offset1:1
	;; [unrolled: 1-line block ×4, first 2 shown]
	s_add_i32 s2, s7, s23
	s_waitcnt lgkmcnt(3)
	v_fma_f32 v6, -v14, v40, v6
	s_waitcnt lgkmcnt(2)
	v_fma_f32 v6, -v15, v42, v6
	s_add_i32 s5, s1, 0xfffffa60
	s_waitcnt lgkmcnt(1)
	v_fma_f32 v6, -v17, v44, v6
	s_add_i32 s4, s7, s25
	s_add_i32 s26, s7, s24
	;; [unrolled: 1-line block ×3, first 2 shown]
	v_mov_b32_e32 v10, s2
	v_fma_f32 v4, -v5, v22, v4
	s_waitcnt lgkmcnt(0)
	v_fma_f32 v6, -v18, v46, v6
	v_mov_b32_e32 v13, s4
	v_mov_b32_e32 v23, s26
	;; [unrolled: 1-line block ×3, first 2 shown]
	ds_read2_b32 v[46:47], v10 offset1:1
	ds_read2_b32 v[48:49], v13 offset1:1
	;; [unrolled: 1-line block ×4, first 2 shown]
	v_fma_f32 v4, -v0, v24, v4
	s_sub_i32 s4, s0, 19
	v_fma_f32 v4, -v1, v26, v4
	s_waitcnt lgkmcnt(3)
	v_fma_f32 v6, -v19, v47, v6
	s_lshl_b32 s27, s4, 2
	v_fma_f32 v4, -v7, v30, v4
	s_waitcnt lgkmcnt(2)
	v_fma_f32 v6, -v16, v49, v6
	s_add_i32 s26, s1, 0xfffffa00
	s_add_i32 s1, s27, s1
	v_fma_f32 v4, -v8, v32, v4
	s_waitcnt lgkmcnt(1)
	v_fma_f32 v6, -v59, v51, v6
	s_add_i32 s2, s7, s26
	s_add_i32 s7, s27, s9
	v_mov_b32_e32 v13, s1
	v_fma_f32 v4, -v9, v34, v4
	s_waitcnt lgkmcnt(0)
	v_fma_f32 v6, -v60, v53, v6
	v_mov_b32_e32 v10, s2
	v_mov_b32_e32 v23, s7
	ds_read2_b32 v[53:54], v13 offset1:1
	ds_read2_b32 v[55:56], v23 offset1:1
	;; [unrolled: 1-line block ×3, first 2 shown]
	v_fma_f32 v4, -v11, v36, v4
	v_fma_f32 v4, -v12, v38, v4
	v_fma_f32 v4, -v14, v39, v4
	v_fma_f32 v4, -v15, v41, v4
	s_add_i32 s1, s22, 0xfffff95c
	v_fma_f32 v4, -v17, v43, v4
	s_waitcnt lgkmcnt(0)
	v_mul_f32_e32 v27, v6, v58
	v_mov_b32_e32 v6, s1
	v_fma_f32 v4, -v18, v45, v4
	ds_read_b32 v6, v6
	v_fma_f32 v4, -v19, v46, v4
	v_fma_f32 v4, -v16, v48, v4
	;; [unrolled: 1-line block ×4, first 2 shown]
	s_mov_b32 s7, s3
	v_addc_co_u32_e32 v29, vcc, v21, v29, vcc
	v_fma_f32 v4, -v27, v57, v4
	s_lshl_b64 s[6:7], s[6:7], 2
	global_store_dword v[28:29], v27, off
	s_waitcnt lgkmcnt(0)
	v_mul_f32_e32 v28, v4, v6
	v_mov_b32_e32 v4, s7
	v_add_co_u32_e32 v22, vcc, s6, v20
	v_fma_f32 v3, -v5, v54, v3
	s_add_i32 s1, s27, s10
	v_addc_co_u32_e32 v23, vcc, v21, v4, vcc
	v_fma_f32 v10, -v0, v56, v3
	v_mov_b32_e32 v3, s1
	s_add_i32 s1, s27, s11
	global_store_dword v[22:23], v28, off
	v_mov_b32_e32 v6, s1
	s_add_i32 s1, s27, s12
	v_mov_b32_e32 v13, s1
	ds_read2_b32 v[3:4], v3 offset1:1
	ds_read2_b32 v[22:23], v6 offset1:1
	;; [unrolled: 1-line block ×3, first 2 shown]
	s_add_i32 s1, s27, s13
	v_fma_f32 v2, -v5, v53, v2
	v_mov_b32_e32 v5, s1
	s_add_i32 s1, s27, s14
	ds_read2_b32 v[5:6], v5 offset1:1
	s_waitcnt lgkmcnt(3)
	v_fma_f32 v4, -v1, v4, v10
	v_mov_b32_e32 v10, s1
	s_add_i32 s1, s27, s15
	v_fma_f32 v0, -v0, v55, v2
	v_mov_b32_e32 v2, s1
	s_add_i32 s1, s27, s18
	s_waitcnt lgkmcnt(2)
	v_fma_f32 v4, -v7, v23, v4
	v_mov_b32_e32 v13, s1
	s_add_i32 s1, s27, s19
	s_waitcnt lgkmcnt(1)
	v_fma_f32 v4, -v8, v25, v4
	v_mov_b32_e32 v25, s1
	v_fma_f32 v0, -v1, v3, v0
	v_fma_f32 v7, -v7, v22, v0
	ds_read2_b32 v[0:1], v10 offset1:1
	ds_read2_b32 v[2:3], v2 offset1:1
	;; [unrolled: 1-line block ×4, first 2 shown]
	s_waitcnt lgkmcnt(4)
	v_fma_f32 v4, -v9, v6, v4
	s_waitcnt lgkmcnt(3)
	v_fma_f32 v1, -v11, v1, v4
	s_add_i32 s1, s27, s20
	s_waitcnt lgkmcnt(2)
	v_fma_f32 v1, -v12, v3, v1
	v_mov_b32_e32 v3, s1
	s_add_i32 s1, s27, s21
	v_mov_b32_e32 v6, s1
	s_add_i32 s1, s27, s23
	v_fma_f32 v4, -v8, v24, v7
	v_mov_b32_e32 v7, s1
	v_fma_f32 v13, -v9, v5, v4
	ds_read2_b32 v[3:4], v3 offset1:1
	ds_read2_b32 v[5:6], v6 offset1:1
	ds_read2_b32 v[7:8], v7 offset1:1
	s_waitcnt lgkmcnt(4)
	v_fma_f32 v1, -v14, v23, v1
	s_waitcnt lgkmcnt(3)
	v_fma_f32 v1, -v15, v26, v1
	s_add_i32 s1, s27, s25
	v_mov_b32_e32 v9, s1
	s_waitcnt lgkmcnt(2)
	v_fma_f32 v1, -v17, v4, v1
	ds_read2_b32 v[9:10], v9 offset1:1
	s_waitcnt lgkmcnt(2)
	v_fma_f32 v1, -v18, v6, v1
	s_add_i32 s1, s27, s24
	s_waitcnt lgkmcnt(1)
	v_fma_f32 v4, -v19, v8, v1
	v_mov_b32_e32 v1, s1
	s_add_i32 s1, s27, s5
	v_fma_f32 v0, -v11, v0, v13
	v_mov_b32_e32 v6, s1
	s_add_i32 s1, s27, s26
	s_add_i32 s5, s1, 0xffffffa0
	v_fma_f32 v0, -v12, v2, v0
	v_mov_b32_e32 v8, s1
	v_mov_b32_e32 v2, s5
	v_fma_f32 v24, -v14, v22, v0
	ds_read2_b32 v[0:1], v1 offset1:1
	ds_read2_b32 v[11:12], v6 offset1:1
	;; [unrolled: 1-line block ×4, first 2 shown]
	s_waitcnt lgkmcnt(4)
	v_fma_f32 v2, -v16, v10, v4
	s_waitcnt lgkmcnt(3)
	v_fma_f32 v1, -v59, v1, v2
	;; [unrolled: 2-line block ×4, first 2 shown]
	s_addk_i32 s1, 0xff40
	v_fma_f32 v6, -v15, v25, v24
	s_waitcnt lgkmcnt(0)
	v_fma_f32 v4, -v28, v23, v1
	v_mov_b32_e32 v1, s1
	s_add_i32 s1, s22, 0xfffff894
	v_fma_f32 v3, -v17, v3, v6
	v_mov_b32_e32 v2, s1
	v_fma_f32 v3, -v18, v5, v3
	ds_read_b32 v10, v2
	ds_read2_b32 v[1:2], v1 offset1:1
	v_fma_f32 v3, -v19, v7, v3
	v_fma_f32 v3, -v16, v9, v3
	v_fma_f32 v0, -v59, v0, v3
	s_sub_i32 s2, s0, 18
	v_fma_f32 v0, -v60, v11, v0
	s_lshl_b64 s[6:7], s[2:3], 2
	v_fma_f32 v0, -v27, v13, v0
	v_mov_b32_e32 v8, s7
	v_add_co_u32_e32 v14, vcc, s6, v20
	s_waitcnt lgkmcnt(0)
	v_mul_f32_e32 v2, v4, v2
	v_fma_f32 v0, -v28, v22, v0
	s_mov_b32 s5, s3
	v_addc_co_u32_e32 v15, vcc, v21, v8, vcc
	v_fma_f32 v0, -v2, v1, v0
	s_lshl_b64 s[2:3], s[4:5], 2
	global_store_dword v[14:15], v2, off
	v_mul_f32_e32 v2, v0, v10
	v_mov_b32_e32 v1, s3
	v_add_co_u32_e32 v0, vcc, s2, v20
	v_addc_co_u32_e32 v1, vcc, v21, v1, vcc
	s_sub_i32 s0, s0, 20
	global_store_dword v[0:1], v2, off
.LBB27_34:
	s_cmp_lt_i32 s0, 0
	s_cbranch_scc1 .LBB27_51
; %bb.35:
	s_and_b32 s1, s0, 3
	s_cmp_eq_u32 s1, 3
	s_mul_i32 s1, s17, 0x60
	s_mov_b32 s2, s0
	s_cbranch_scc1 .LBB27_40
; %bb.36:
	s_add_i32 s2, s0, 1
	s_and_b32 s6, s2, 3
	s_lshl_b32 s2, s0, 2
	s_add_i32 s2, s1, s2
	s_add_i32 s7, s2, 0xffffffa0
	s_mov_b32 s5, 0
	s_mov_b32 s2, s0
	;; [unrolled: 1-line block ×3, first 2 shown]
	s_branch .LBB27_38
.LBB27_37:                              ;   in Loop: Header=BB27_38 Depth=1
	s_mul_i32 s3, s2, 0x64
	v_mov_b32_e32 v3, s3
	ds_read_b32 v3, v3
	s_add_i32 s2, s2, -1
	s_add_i32 s9, s9, 1
	s_add_i32 s7, s7, -4
	s_cmp_lg_u32 s9, s6
	s_waitcnt lgkmcnt(0)
	v_mul_f32_e32 v2, v2, v3
	global_store_dword v[0:1], v2, off
	s_cbranch_scc0 .LBB27_40
.LBB27_38:                              ; =>This Loop Header: Depth=1
                                        ;     Child Loop BB27_39 Depth 2
	s_mov_b32 s3, s5
	s_lshl_b64 s[10:11], s[2:3], 2
	v_mov_b32_e32 v1, s11
	v_add_co_u32_e32 v0, vcc, s10, v20
	v_addc_co_u32_e32 v1, vcc, v21, v1, vcc
	global_load_dword v2, v[0:1], off
	s_mov_b32 s3, s7
	s_cmp_le_i32 s8, s2
	s_mov_b32 s4, s8
	s_waitcnt vmcnt(0)
	v_mul_f32_e32 v2, s16, v2
	s_cbranch_scc1 .LBB27_37
.LBB27_39:                              ;   Parent Loop BB27_38 Depth=1
                                        ; =>  This Inner Loop Header: Depth=2
	s_lshl_b64 s[10:11], s[4:5], 2
	v_mov_b32_e32 v4, s11
	v_add_co_u32_e32 v3, vcc, s10, v20
	v_addc_co_u32_e32 v4, vcc, v21, v4, vcc
	global_load_dword v3, v[3:4], off
	v_mov_b32_e32 v4, s3
	ds_read_b32 v4, v4
	s_add_i32 s4, s4, -1
	s_addk_i32 s3, 0xffa0
	s_cmp_gt_i32 s4, s2
	s_waitcnt vmcnt(0) lgkmcnt(0)
	v_fma_f32 v2, -v3, v4, v2
	s_cbranch_scc1 .LBB27_39
	s_branch .LBB27_37
.LBB27_40:
	s_cmp_lt_u32 s0, 3
	s_cbranch_scc1 .LBB27_51
; %bb.41:
	s_lshl_b32 s0, s2, 2
	s_add_i32 s0, s1, s0
	s_add_i32 s6, s0, 0xffffffa0
	;; [unrolled: 1-line block ×5, first 2 shown]
	s_mov_b32 s1, 0
	s_branch .LBB27_43
.LBB27_42:                              ;   in Loop: Header=BB27_43 Depth=1
	s_add_i32 s0, s3, 0xffffff9c
	v_mov_b32_e32 v3, s0
	ds_read_b32 v3, v3
	s_add_i32 s0, s2, -4
	s_add_i32 s6, s6, -16
	;; [unrolled: 1-line block ×5, first 2 shown]
	s_waitcnt lgkmcnt(0)
	v_mul_f32_e32 v2, v2, v3
	s_cmp_lt_i32 s2, 4
	s_mov_b32 s2, s0
	global_store_dword v[0:1], v2, off
	s_cbranch_scc1 .LBB27_51
.LBB27_43:                              ; =>This Loop Header: Depth=1
                                        ;     Child Loop BB27_44 Depth 2
                                        ;     Child Loop BB27_46 Depth 2
                                        ;     Child Loop BB27_48 Depth 2
                                        ;     Child Loop BB27_50 Depth 2
	s_mov_b32 s3, s1
	s_lshl_b64 s[4:5], s[2:3], 2
	v_mov_b32_e32 v0, s5
	v_add_co_u32_e32 v2, vcc, s4, v20
	v_addc_co_u32_e32 v3, vcc, v21, v0, vcc
	global_load_dword v0, v[2:3], off
	s_mov_b32 s3, s6
	s_cmp_le_i32 s8, s2
	s_mov_b32 s0, s8
	s_waitcnt vmcnt(0)
	v_mul_f32_e32 v4, s16, v0
	s_cbranch_scc1 .LBB27_45
.LBB27_44:                              ;   Parent Loop BB27_43 Depth=1
                                        ; =>  This Inner Loop Header: Depth=2
	s_lshl_b64 s[4:5], s[0:1], 2
	v_mov_b32_e32 v1, s5
	v_add_co_u32_e32 v0, vcc, s4, v20
	v_addc_co_u32_e32 v1, vcc, v21, v1, vcc
	global_load_dword v0, v[0:1], off
	v_mov_b32_e32 v1, s3
	ds_read_b32 v1, v1
	s_add_i32 s0, s0, -1
	s_addk_i32 s3, 0xffa0
	s_cmp_gt_i32 s0, s2
	s_waitcnt vmcnt(0) lgkmcnt(0)
	v_fma_f32 v4, -v0, v1, v4
	s_cbranch_scc1 .LBB27_44
.LBB27_45:                              ;   in Loop: Header=BB27_43 Depth=1
	s_add_i32 s0, s2, -1
	s_lshl_b64 s[4:5], s[0:1], 2
	v_mov_b32_e32 v1, s5
	v_add_co_u32_e32 v0, vcc, s4, v20
	v_addc_co_u32_e32 v1, vcc, v21, v1, vcc
	global_load_dword v5, v[0:1], off
	s_mul_i32 s3, s2, 0x64
	v_mov_b32_e32 v6, s3
	ds_read_b32 v6, v6
	s_mov_b32 s4, s7
	s_cmp_le_i32 s17, s2
	s_mov_b32 s0, s17
	s_waitcnt lgkmcnt(0)
	v_mul_f32_e32 v4, v4, v6
	global_store_dword v[2:3], v4, off
	s_waitcnt vmcnt(1)
	v_mul_f32_e32 v4, s16, v5
	s_cbranch_scc1 .LBB27_47
.LBB27_46:                              ;   Parent Loop BB27_43 Depth=1
                                        ; =>  This Inner Loop Header: Depth=2
	s_add_i32 s0, s0, -1
	s_lshl_b64 s[12:13], s[0:1], 2
	v_mov_b32_e32 v3, s13
	v_add_co_u32_e32 v2, vcc, s12, v20
	v_addc_co_u32_e32 v3, vcc, v21, v3, vcc
	global_load_dword v2, v[2:3], off
	v_mov_b32_e32 v3, s4
	ds_read_b32 v3, v3
	s_addk_i32 s4, 0xffa0
	s_cmp_gt_i32 s0, s2
	s_waitcnt vmcnt(0) lgkmcnt(0)
	v_fma_f32 v4, -v2, v3, v4
	s_cbranch_scc1 .LBB27_46
.LBB27_47:                              ;   in Loop: Header=BB27_43 Depth=1
	s_add_i32 s4, s2, -2
	s_mov_b32 s5, s1
	s_lshl_b64 s[12:13], s[4:5], 2
	v_mov_b32_e32 v3, s13
	v_add_co_u32_e32 v2, vcc, s12, v20
	v_addc_co_u32_e32 v3, vcc, v21, v3, vcc
	global_load_dword v5, v[2:3], off
	s_addk_i32 s3, 0xff9c
	v_mov_b32_e32 v6, s3
	ds_read_b32 v6, v6
	s_mov_b32 s5, s9
	s_cmp_le_i32 s8, s4
	s_mov_b32 s0, s8
	s_waitcnt lgkmcnt(0)
	v_mul_f32_e32 v4, v4, v6
	global_store_dword v[0:1], v4, off
	s_waitcnt vmcnt(1)
	v_mul_f32_e32 v4, s16, v5
	s_cbranch_scc1 .LBB27_49
.LBB27_48:                              ;   Parent Loop BB27_43 Depth=1
                                        ; =>  This Inner Loop Header: Depth=2
	s_lshl_b64 s[12:13], s[0:1], 2
	v_mov_b32_e32 v1, s13
	v_add_co_u32_e32 v0, vcc, s12, v20
	v_addc_co_u32_e32 v1, vcc, v21, v1, vcc
	global_load_dword v0, v[0:1], off
	v_mov_b32_e32 v1, s5
	ds_read_b32 v1, v1
	s_add_i32 s0, s0, -1
	s_addk_i32 s5, 0xffa0
	s_cmp_gt_i32 s0, s4
	s_waitcnt vmcnt(0) lgkmcnt(0)
	v_fma_f32 v4, -v0, v1, v4
	s_cbranch_scc1 .LBB27_48
.LBB27_49:                              ;   in Loop: Header=BB27_43 Depth=1
	s_add_i32 s4, s2, -3
	s_mov_b32 s5, s1
	s_lshl_b64 s[12:13], s[4:5], 2
	v_mov_b32_e32 v1, s13
	v_add_co_u32_e32 v0, vcc, s12, v20
	v_addc_co_u32_e32 v1, vcc, v21, v1, vcc
	global_load_dword v5, v[0:1], off
	s_addk_i32 s3, 0xff9c
	v_mov_b32_e32 v6, s3
	ds_read_b32 v6, v6
	s_mov_b32 s5, s10
	s_cmp_le_i32 s8, s4
	s_mov_b32 s0, s8
	s_waitcnt lgkmcnt(0)
	v_mul_f32_e32 v4, v4, v6
	global_store_dword v[2:3], v4, off
	s_waitcnt vmcnt(1)
	v_mul_f32_e32 v2, s16, v5
	s_cbranch_scc1 .LBB27_42
.LBB27_50:                              ;   Parent Loop BB27_43 Depth=1
                                        ; =>  This Inner Loop Header: Depth=2
	s_lshl_b64 s[12:13], s[0:1], 2
	v_mov_b32_e32 v4, s13
	v_add_co_u32_e32 v3, vcc, s12, v20
	v_addc_co_u32_e32 v4, vcc, v21, v4, vcc
	global_load_dword v3, v[3:4], off
	v_mov_b32_e32 v4, s5
	ds_read_b32 v4, v4
	s_add_i32 s0, s0, -1
	s_addk_i32 s5, 0xffa0
	s_cmp_gt_i32 s0, s4
	s_waitcnt vmcnt(0) lgkmcnt(0)
	v_fma_f32 v2, -v3, v4, v2
	s_cbranch_scc1 .LBB27_50
	s_branch .LBB27_42
.LBB27_51:
	s_endpgm
	.section	.rodata,"a",@progbits
	.p2align	6, 0x0
	.amdhsa_kernel _ZL30rocblas_trsm_small_left_deviceILi24ELi24ELb0EffPKfPfEv13rocblas_fill_18rocblas_operation_17rocblas_diagonal_iiT3_T4_lilT5_lili
		.amdhsa_group_segment_fixed_size 2304
		.amdhsa_private_segment_fixed_size 0
		.amdhsa_kernarg_size 352
		.amdhsa_user_sgpr_count 6
		.amdhsa_user_sgpr_private_segment_buffer 1
		.amdhsa_user_sgpr_dispatch_ptr 0
		.amdhsa_user_sgpr_queue_ptr 0
		.amdhsa_user_sgpr_kernarg_segment_ptr 1
		.amdhsa_user_sgpr_dispatch_id 0
		.amdhsa_user_sgpr_flat_scratch_init 0
		.amdhsa_user_sgpr_private_segment_size 0
		.amdhsa_uses_dynamic_stack 0
		.amdhsa_system_sgpr_private_segment_wavefront_offset 0
		.amdhsa_system_sgpr_workgroup_id_x 1
		.amdhsa_system_sgpr_workgroup_id_y 0
		.amdhsa_system_sgpr_workgroup_id_z 1
		.amdhsa_system_sgpr_workgroup_info 0
		.amdhsa_system_vgpr_workitem_id 0
		.amdhsa_next_free_vgpr 61
		.amdhsa_next_free_sgpr 77
		.amdhsa_reserve_vcc 1
		.amdhsa_reserve_flat_scratch 0
		.amdhsa_float_round_mode_32 0
		.amdhsa_float_round_mode_16_64 0
		.amdhsa_float_denorm_mode_32 3
		.amdhsa_float_denorm_mode_16_64 3
		.amdhsa_dx10_clamp 1
		.amdhsa_ieee_mode 1
		.amdhsa_fp16_overflow 0
		.amdhsa_exception_fp_ieee_invalid_op 0
		.amdhsa_exception_fp_denorm_src 0
		.amdhsa_exception_fp_ieee_div_zero 0
		.amdhsa_exception_fp_ieee_overflow 0
		.amdhsa_exception_fp_ieee_underflow 0
		.amdhsa_exception_fp_ieee_inexact 0
		.amdhsa_exception_int_div_zero 0
	.end_amdhsa_kernel
	.section	.text._ZL30rocblas_trsm_small_left_deviceILi24ELi24ELb0EffPKfPfEv13rocblas_fill_18rocblas_operation_17rocblas_diagonal_iiT3_T4_lilT5_lili,"axG",@progbits,_ZL30rocblas_trsm_small_left_deviceILi24ELi24ELb0EffPKfPfEv13rocblas_fill_18rocblas_operation_17rocblas_diagonal_iiT3_T4_lilT5_lili,comdat
.Lfunc_end27:
	.size	_ZL30rocblas_trsm_small_left_deviceILi24ELi24ELb0EffPKfPfEv13rocblas_fill_18rocblas_operation_17rocblas_diagonal_iiT3_T4_lilT5_lili, .Lfunc_end27-_ZL30rocblas_trsm_small_left_deviceILi24ELi24ELb0EffPKfPfEv13rocblas_fill_18rocblas_operation_17rocblas_diagonal_iiT3_T4_lilT5_lili
                                        ; -- End function
	.set _ZL30rocblas_trsm_small_left_deviceILi24ELi24ELb0EffPKfPfEv13rocblas_fill_18rocblas_operation_17rocblas_diagonal_iiT3_T4_lilT5_lili.num_vgpr, 61
	.set _ZL30rocblas_trsm_small_left_deviceILi24ELi24ELb0EffPKfPfEv13rocblas_fill_18rocblas_operation_17rocblas_diagonal_iiT3_T4_lilT5_lili.num_agpr, 0
	.set _ZL30rocblas_trsm_small_left_deviceILi24ELi24ELb0EffPKfPfEv13rocblas_fill_18rocblas_operation_17rocblas_diagonal_iiT3_T4_lilT5_lili.numbered_sgpr, 28
	.set _ZL30rocblas_trsm_small_left_deviceILi24ELi24ELb0EffPKfPfEv13rocblas_fill_18rocblas_operation_17rocblas_diagonal_iiT3_T4_lilT5_lili.num_named_barrier, 0
	.set _ZL30rocblas_trsm_small_left_deviceILi24ELi24ELb0EffPKfPfEv13rocblas_fill_18rocblas_operation_17rocblas_diagonal_iiT3_T4_lilT5_lili.private_seg_size, 0
	.set _ZL30rocblas_trsm_small_left_deviceILi24ELi24ELb0EffPKfPfEv13rocblas_fill_18rocblas_operation_17rocblas_diagonal_iiT3_T4_lilT5_lili.uses_vcc, 1
	.set _ZL30rocblas_trsm_small_left_deviceILi24ELi24ELb0EffPKfPfEv13rocblas_fill_18rocblas_operation_17rocblas_diagonal_iiT3_T4_lilT5_lili.uses_flat_scratch, 0
	.set _ZL30rocblas_trsm_small_left_deviceILi24ELi24ELb0EffPKfPfEv13rocblas_fill_18rocblas_operation_17rocblas_diagonal_iiT3_T4_lilT5_lili.has_dyn_sized_stack, 0
	.set _ZL30rocblas_trsm_small_left_deviceILi24ELi24ELb0EffPKfPfEv13rocblas_fill_18rocblas_operation_17rocblas_diagonal_iiT3_T4_lilT5_lili.has_recursion, 0
	.set _ZL30rocblas_trsm_small_left_deviceILi24ELi24ELb0EffPKfPfEv13rocblas_fill_18rocblas_operation_17rocblas_diagonal_iiT3_T4_lilT5_lili.has_indirect_call, 0
	.section	.AMDGPU.csdata,"",@progbits
; Kernel info:
; codeLenInByte = 16740
; TotalNumSgprs: 32
; NumVgprs: 61
; ScratchSize: 0
; MemoryBound: 0
; FloatMode: 240
; IeeeMode: 1
; LDSByteSize: 2304 bytes/workgroup (compile time only)
; SGPRBlocks: 10
; VGPRBlocks: 15
; NumSGPRsForWavesPerEU: 81
; NumVGPRsForWavesPerEU: 61
; Occupancy: 4
; WaveLimiterHint : 1
; COMPUTE_PGM_RSRC2:SCRATCH_EN: 0
; COMPUTE_PGM_RSRC2:USER_SGPR: 6
; COMPUTE_PGM_RSRC2:TRAP_HANDLER: 0
; COMPUTE_PGM_RSRC2:TGID_X_EN: 1
; COMPUTE_PGM_RSRC2:TGID_Y_EN: 0
; COMPUTE_PGM_RSRC2:TGID_Z_EN: 1
; COMPUTE_PGM_RSRC2:TIDIG_COMP_CNT: 0
	.section	.text._ZL38rocblas_trsm_small_left_device_sharedBILi24ELi24ELb1EffPKfPfEv13rocblas_fill_18rocblas_operation_17rocblas_diagonal_iiT3_T4_lilT5_lili,"axG",@progbits,_ZL38rocblas_trsm_small_left_device_sharedBILi24ELi24ELb1EffPKfPfEv13rocblas_fill_18rocblas_operation_17rocblas_diagonal_iiT3_T4_lilT5_lili,comdat
	.globl	_ZL38rocblas_trsm_small_left_device_sharedBILi24ELi24ELb1EffPKfPfEv13rocblas_fill_18rocblas_operation_17rocblas_diagonal_iiT3_T4_lilT5_lili ; -- Begin function _ZL38rocblas_trsm_small_left_device_sharedBILi24ELi24ELb1EffPKfPfEv13rocblas_fill_18rocblas_operation_17rocblas_diagonal_iiT3_T4_lilT5_lili
	.p2align	8
	.type	_ZL38rocblas_trsm_small_left_device_sharedBILi24ELi24ELb1EffPKfPfEv13rocblas_fill_18rocblas_operation_17rocblas_diagonal_iiT3_T4_lilT5_lili,@function
_ZL38rocblas_trsm_small_left_device_sharedBILi24ELi24ELb1EffPKfPfEv13rocblas_fill_18rocblas_operation_17rocblas_diagonal_iiT3_T4_lilT5_lili: ; @_ZL38rocblas_trsm_small_left_device_sharedBILi24ELi24ELb1EffPKfPfEv13rocblas_fill_18rocblas_operation_17rocblas_diagonal_iiT3_T4_lilT5_lili
; %bb.0:
	s_load_dwordx4 s[8:11], s[4:5], 0x4
	s_load_dword s17, s[4:5], 0x14
	s_load_dwordx4 s[0:3], s[4:5], 0x30
	s_load_dwordx2 s[12:13], s[4:5], 0x40
	s_waitcnt lgkmcnt(0)
	s_min_i32 s16, s10, 24
	v_cmp_gt_i32_e32 vcc, s16, v0
	s_and_saveexec_b64 s[14:15], vcc
	s_cbranch_execz .LBB28_6
; %bb.1:
	s_load_dword s18, s[4:5], 0x28
	s_load_dwordx4 s[20:23], s[4:5], 0x18
	s_mul_i32 s1, s1, s7
	s_mul_hi_u32 s19, s0, s7
	s_add_i32 s1, s19, s1
	s_mul_i32 s0, s0, s7
	s_waitcnt lgkmcnt(0)
	s_ashr_i32 s19, s18, 31
	s_lshl_b64 s[0:1], s[0:1], 2
	s_add_u32 s20, s20, s0
	s_addc_u32 s21, s21, s1
	s_lshl_b64 s[0:1], s[22:23], 2
	s_add_u32 s0, s20, s0
	s_addc_u32 s1, s21, s1
	v_lshlrev_b32_e32 v3, 2, v0
	v_mov_b32_e32 v2, s1
	v_add_co_u32_e32 v1, vcc, s0, v3
	s_lshl_b64 s[0:1], s[18:19], 2
	v_addc_co_u32_e32 v2, vcc, 0, v2, vcc
	v_mov_b32_e32 v4, s1
	v_mov_b32_e32 v5, v3
	s_mov_b32 s1, s16
.LBB28_2:                               ; =>This Inner Loop Header: Depth=1
	global_load_dword v6, v[1:2], off
	v_add_co_u32_e32 v1, vcc, s0, v1
	s_add_i32 s1, s1, -1
	v_addc_co_u32_e32 v2, vcc, v2, v4, vcc
	s_cmp_eq_u32 s1, 0
	s_waitcnt vmcnt(0)
	ds_write_b32 v5, v6
	v_add_u32_e32 v5, 0x60, v5
	s_cbranch_scc0 .LBB28_2
; %bb.3:
	v_mul_u32_u24_e32 v1, 0x60, v0
	s_cmpk_lg_i32 s9, 0x84
	v_mov_b32_e32 v2, 1.0
	v_add_u32_e32 v1, v3, v1
	s_cbranch_scc0 .LBB28_5
; %bb.4:
	ds_read_b32 v2, v1
	s_waitcnt lgkmcnt(0)
	v_div_scale_f32 v3, s[0:1], v2, v2, 1.0
	v_div_scale_f32 v4, vcc, 1.0, v2, 1.0
	v_rcp_f32_e32 v5, v3
	v_fma_f32 v6, -v3, v5, 1.0
	v_fmac_f32_e32 v5, v6, v5
	v_mul_f32_e32 v6, v4, v5
	v_fma_f32 v7, -v3, v6, v4
	v_fmac_f32_e32 v6, v7, v5
	v_fma_f32 v3, -v3, v6, v4
	v_div_fmas_f32 v3, v3, v5, v6
	v_div_fixup_f32 v2, v3, v2, 1.0
.LBB28_5:
	ds_write_b32 v1, v2
.LBB28_6:
	s_or_b64 exec, exec, s[14:15]
	s_load_dword s0, s[4:5], 0x60
	s_load_dwordx2 s[14:15], s[4:5], 0x50
	s_load_dword s9, s[4:5], 0x48
	s_waitcnt lgkmcnt(0)
	s_mul_i32 s1, s15, s7
	s_mul_hi_u32 s5, s14, s7
	s_mul_i32 s4, s14, s7
	s_add_i32 s5, s5, s1
	s_lshl_b64 s[4:5], s[4:5], 2
	s_add_u32 s1, s2, s4
	s_addc_u32 s4, s3, s5
	s_lshl_b64 s[2:3], s[12:13], 2
	s_add_u32 s2, s1, s2
	s_mul_i32 s1, s6, 0xffffffe8
	s_addc_u32 s3, s4, s3
	s_add_i32 s0, s0, -1
	s_add_i32 s1, s11, s1
	s_cmp_ge_u32 s6, s0
	s_mul_i32 s6, s6, 24
	s_cselect_b32 s4, s1, 24
	s_mul_hi_i32 s1, s9, s6
	s_mul_i32 s0, s9, s6
	s_lshl_b64 s[0:1], s[0:1], 2
	s_add_u32 s6, s2, s0
	s_addc_u32 s7, s3, s1
	s_cmp_gt_i32 s10, 0
	v_cmp_gt_i32_e64 s[0:1], s4, v0
	s_cselect_b64 s[2:3], -1, 0
	s_and_b64 s[12:13], s[0:1], s[2:3]
	s_and_saveexec_b64 s[4:5], s[12:13]
	s_cbranch_execz .LBB28_9
; %bb.7:
	v_mad_i64_i32 v[1:2], s[12:13], s9, v0, 0
	v_mov_b32_e32 v3, s7
	s_mov_b32 s11, s16
	v_lshlrev_b64 v[1:2], 2, v[1:2]
	v_add_co_u32_e32 v1, vcc, s6, v1
	v_addc_co_u32_e32 v2, vcc, v3, v2, vcc
	v_mov_b32_e32 v3, 0x900
	v_lshl_or_b32 v3, v0, 2, v3
.LBB28_8:                               ; =>This Inner Loop Header: Depth=1
	global_load_dword v4, v[1:2], off
	s_add_i32 s11, s11, -1
	v_add_co_u32_e32 v1, vcc, 4, v1
	v_addc_co_u32_e32 v2, vcc, 0, v2, vcc
	s_cmp_lg_u32 s11, 0
	s_waitcnt vmcnt(0)
	v_mul_f32_e32 v4, s17, v4
	ds_write_b32 v3, v4
	v_add_u32_e32 v3, 0x60, v3
	s_cbranch_scc1 .LBB28_8
.LBB28_9:
	s_or_b64 exec, exec, s[4:5]
	v_mov_b32_e32 v1, 0x900
	s_cmpk_eq_i32 s8, 0x6f
	v_lshl_or_b32 v21, v0, 2, v1
	s_mov_b64 s[4:5], -1
	s_waitcnt lgkmcnt(0)
	; wave barrier
	s_cbranch_scc1 .LBB28_32
; %bb.10:
	s_add_i32 s4, s16, -1
	s_cmp_gt_i32 s10, 23
	s_mov_b32 s5, -1
	s_cbranch_scc0 .LBB28_12
; %bb.11:
	v_add_u32_e32 v42, 0x800, v21
	v_add_u32_e32 v43, 0x400, v21
	;; [unrolled: 1-line block ×3, first 2 shown]
	v_mov_b32_e32 v5, 0
	ds_read2_b32 v[7:8], v42 offset0:16 offset1:40
	ds_read2_b32 v[13:14], v43 offset0:224 offset1:248
	;; [unrolled: 1-line block ×11, first 2 shown]
	ds_read2_b32 v[1:2], v21 offset1:24
	ds_read_b32 v6, v5 offset:2300
	v_mov_b32_e32 v9, 0x834
	v_mov_b32_e32 v10, 0x774
	v_mov_b32_e32 v11, 0x76c
	ds_read2_b32 v[17:18], v9 offset1:1
	ds_read2_b32 v[19:20], v10 offset1:1
	;; [unrolled: 1-line block ×3, first 2 shown]
	ds_read_b64 v[32:33], v5 offset:2200
	s_movk_i32 s11, 0x600
	s_waitcnt lgkmcnt(4)
	v_mul_f32_e32 v6, v8, v6
	v_add_u32_e64 v8, s11, 0
	ds_read2_b32 v[40:41], v8 offset0:95 offset1:143
	ds_read_b128 v[9:12], v5 offset:2000
	s_waitcnt lgkmcnt(2)
	v_fma_f32 v7, -v6, v33, v7
	v_mul_f32_e32 v7, v7, v32
	s_movk_i32 s8, 0x400
	s_waitcnt lgkmcnt(1)
	v_fma_f32 v8, -v6, v41, v14
	v_fma_f32 v8, -v7, v18, v8
	s_waitcnt lgkmcnt(0)
	v_fma_f32 v12, -v6, v12, v13
	v_mul_f32_e32 v8, v8, v17
	v_fma_f32 v11, -v7, v11, v12
	v_fma_f32 v10, -v8, v10, v11
	v_mul_f32_e32 v9, v10, v9
	v_fma_f32 v10, -v6, v40, v16
	ds_read_b64 v[16:17], v5 offset:1816
	ds_read2_b64 v[11:14], v5 offset0:225 offset1:226
	v_fma_f32 v10, -v7, v20, v10
	v_fma_f32 v10, -v8, v19, v10
	;; [unrolled: 1-line block ×3, first 2 shown]
	s_waitcnt lgkmcnt(1)
	v_fma_f32 v15, -v6, v17, v15
	v_fma_f32 v15, -v7, v16, v15
	s_waitcnt lgkmcnt(0)
	v_fma_f32 v14, -v8, v14, v15
	v_mul_f32_e32 v10, v10, v30
	v_fma_f32 v13, -v9, v13, v14
	v_add_u32_e64 v33, s8, 0
	v_fma_f32 v12, -v10, v12, v13
	ds_read2_b32 v[30:31], v33 offset0:127 offset1:175
	v_mul_f32_e32 v11, v12, v11
	v_mov_b32_e32 v12, 0x6b4
	ds_read2_b32 v[12:13], v12 offset1:1
	ds_write2_b32 v42, v7, v6 offset0:16 offset1:40
	ds_write2_b32 v43, v9, v8 offset0:224 offset1:248
	;; [unrolled: 1-line block ×3, first 2 shown]
	v_mov_b32_e32 v15, 0x6ac
	s_waitcnt lgkmcnt(4)
	v_fma_f32 v14, -v6, v31, v23
	v_mov_b32_e32 v16, 0x6a4
	v_mov_b32_e32 v23, 0x5f4
	ds_read2_b32 v[17:18], v15 offset1:1
	ds_read2_b32 v[19:20], v16 offset1:1
	;; [unrolled: 1-line block ×3, first 2 shown]
	s_waitcnt lgkmcnt(6)
	v_fma_f32 v13, -v7, v13, v14
	v_fma_f32 v12, -v8, v12, v13
	ds_read_b128 v[13:16], v5 offset:1616
	s_waitcnt lgkmcnt(3)
	v_fma_f32 v12, -v9, v18, v12
	v_fma_f32 v12, -v10, v17, v12
	s_waitcnt lgkmcnt(2)
	v_fma_f32 v12, -v11, v20, v12
	v_mul_f32_e32 v12, v12, v19
	ds_read_b128 v[17:20], v5 offset:1600
	s_waitcnt lgkmcnt(1)
	v_fma_f32 v16, -v6, v16, v22
	v_fma_f32 v15, -v7, v15, v16
	;; [unrolled: 1-line block ×4, first 2 shown]
	s_waitcnt lgkmcnt(0)
	v_fma_f32 v13, -v10, v20, v13
	v_fma_f32 v14, -v6, v30, v25
	;; [unrolled: 1-line block ×6, first 2 shown]
	v_mov_b32_e32 v14, 0x5ec
	ds_read2_b32 v[14:15], v14 offset1:1
	v_mul_f32_e32 v13, v13, v17
	ds_write2_b32 v43, v13, v12 offset0:128 offset1:152
	v_mov_b32_e32 v16, 0x5e4
	v_mov_b32_e32 v19, 0x5dc
	;; [unrolled: 1-line block ×3, first 2 shown]
	ds_read2_b32 v[16:17], v16 offset1:1
	ds_read2_b32 v[19:20], v19 offset1:1
	;; [unrolled: 1-line block ×3, first 2 shown]
	s_waitcnt lgkmcnt(4)
	v_fma_f32 v15, -v9, v15, v18
	v_fma_f32 v14, -v10, v14, v15
	ds_read_b64 v[22:23], v5 offset:1432
	s_waitcnt lgkmcnt(3)
	v_fma_f32 v14, -v11, v17, v14
	v_fma_f32 v14, -v12, v16, v14
	ds_read2_b64 v[15:18], v5 offset0:177 offset1:178
	s_waitcnt lgkmcnt(3)
	v_fma_f32 v14, -v13, v20, v14
	v_mul_f32_e32 v14, v14, v19
	s_waitcnt lgkmcnt(1)
	v_fma_f32 v19, -v6, v23, v24
	v_fma_f32 v19, -v7, v22, v19
	ds_read2_b64 v[22:25], v5 offset0:175 offset1:176
	s_waitcnt lgkmcnt(1)
	v_fma_f32 v18, -v8, v18, v19
	v_fma_f32 v17, -v9, v17, v18
	;; [unrolled: 1-line block ×4, first 2 shown]
	ds_read_b128 v[16:19], v5 offset:1232
	s_waitcnt lgkmcnt(1)
	v_fma_f32 v15, -v12, v25, v15
	ds_read2_b32 v[32:33], v33 offset0:31 offset1:79
	v_fma_f32 v15, -v13, v24, v15
	v_fma_f32 v15, -v14, v23, v15
	v_mul_f32_e32 v15, v15, v22
	v_mov_b32_e32 v22, 0x52c
	ds_read2_b32 v[22:23], v22 offset1:1
	s_waitcnt lgkmcnt(1)
	v_fma_f32 v20, -v6, v33, v27
	ds_write2_b32 v43, v15, v14 offset0:80 offset1:104
	v_fma_f32 v20, -v7, v31, v20
	v_mov_b32_e32 v24, 0x524
	v_fma_f32 v20, -v8, v30, v20
	v_mov_b32_e32 v27, 0x51c
	v_mov_b32_e32 v33, 0x514
	ds_read2_b32 v[24:25], v24 offset1:1
	ds_read2_b32 v[30:31], v27 offset1:1
	;; [unrolled: 1-line block ×3, first 2 shown]
	s_waitcnt lgkmcnt(4)
	v_fma_f32 v20, -v9, v23, v20
	v_fma_f32 v20, -v10, v22, v20
	s_waitcnt lgkmcnt(2)
	v_fma_f32 v20, -v11, v25, v20
	v_fma_f32 v20, -v12, v24, v20
	ds_read_b128 v[22:25], v5 offset:1216
	s_waitcnt lgkmcnt(2)
	v_fma_f32 v20, -v13, v31, v20
	v_fma_f32 v19, -v6, v19, v26
	;; [unrolled: 1-line block ×4, first 2 shown]
	s_waitcnt lgkmcnt(1)
	v_fma_f32 v20, -v15, v41, v20
	v_fma_f32 v17, -v8, v17, v18
	v_mul_f32_e32 v42, v20, v40
	v_fma_f32 v20, -v9, v16, v17
	ds_read_b128 v[16:19], v5 offset:1200
	s_waitcnt lgkmcnt(1)
	v_fma_f32 v20, -v10, v25, v20
	v_fma_f32 v20, -v11, v24, v20
	;; [unrolled: 1-line block ×4, first 2 shown]
	s_waitcnt lgkmcnt(0)
	v_fma_f32 v19, -v14, v19, v20
	v_fma_f32 v18, -v15, v18, v19
	;; [unrolled: 1-line block ×3, first 2 shown]
	v_mul_f32_e32 v45, v17, v16
	v_mov_b32_e32 v16, 0x474
	ds_read2_b32 v[16:17], v16 offset1:1
	ds_write2_b32 v43, v45, v42 offset0:32 offset1:56
	v_mov_b32_e32 v18, 0x46c
	v_mov_b32_e32 v22, 0x464
	v_mov_b32_e32 v24, 0x45c
	v_fma_f32 v20, -v6, v32, v29
	ds_read2_b32 v[18:19], v18 offset1:1
	ds_read2_b32 v[22:23], v22 offset1:1
	;; [unrolled: 1-line block ×3, first 2 shown]
	s_waitcnt lgkmcnt(4)
	v_fma_f32 v17, -v7, v17, v20
	v_fma_f32 v16, -v8, v16, v17
	s_waitcnt lgkmcnt(2)
	v_fma_f32 v16, -v9, v19, v16
	v_fma_f32 v16, -v10, v18, v16
	s_waitcnt lgkmcnt(1)
	v_fma_f32 v16, -v11, v23, v16
	v_fma_f32 v18, -v12, v22, v16
	v_mov_b32_e32 v16, 0x454
	ds_read2_b32 v[16:17], v16 offset1:1
	v_mov_b32_e32 v19, 0x44c
	s_waitcnt lgkmcnt(1)
	v_fma_f32 v18, -v13, v25, v18
	ds_read2_b32 v[22:23], v19 offset1:1
	v_fma_f32 v18, -v14, v24, v18
	ds_read_b64 v[24:25], v5 offset:1048
	s_waitcnt lgkmcnt(2)
	v_fma_f32 v17, -v15, v17, v18
	v_fma_f32 v20, -v42, v16, v17
	ds_read2_b64 v[16:19], v5 offset0:129 offset1:130
	s_waitcnt lgkmcnt(2)
	v_fma_f32 v20, -v45, v23, v20
	v_mul_f32_e32 v43, v20, v22
	s_waitcnt lgkmcnt(1)
	v_fma_f32 v20, -v6, v25, v28
	v_fma_f32 v20, -v7, v24, v20
	ds_read2_b64 v[22:25], v5 offset0:127 offset1:128
	s_waitcnt lgkmcnt(1)
	v_fma_f32 v19, -v8, v19, v20
	v_fma_f32 v18, -v9, v18, v19
	;; [unrolled: 1-line block ×4, first 2 shown]
	ds_read2_b64 v[16:19], v5 offset0:125 offset1:126
	s_waitcnt lgkmcnt(1)
	v_fma_f32 v20, -v12, v25, v20
	v_fma_f32 v20, -v13, v24, v20
	;; [unrolled: 1-line block ×4, first 2 shown]
	s_waitcnt lgkmcnt(0)
	v_fma_f32 v19, -v42, v19, v20
	v_fma_f32 v18, -v45, v18, v19
	;; [unrolled: 1-line block ×3, first 2 shown]
	ds_read2_b32 v[40:41], v5 offset0:191 offset1:239
	ds_read2_b32 v[17:18], v5 offset0:237 offset1:238
	v_mul_f32_e32 v46, v19, v16
	ds_read2_b32 v[19:20], v5 offset0:235 offset1:236
	ds_read2_b32 v[22:23], v5 offset0:233 offset1:234
	s_waitcnt lgkmcnt(3)
	v_fma_f32 v16, -v6, v41, v35
	s_waitcnt lgkmcnt(2)
	v_fma_f32 v16, -v7, v18, v16
	v_fma_f32 v16, -v8, v17, v16
	s_waitcnt lgkmcnt(1)
	v_fma_f32 v18, -v9, v20, v16
	ds_read2_b32 v[16:17], v5 offset0:231 offset1:232
	v_fma_f32 v18, -v10, v19, v18
	s_waitcnt lgkmcnt(1)
	v_fma_f32 v20, -v11, v23, v18
	ds_read2_b32 v[18:19], v5 offset0:229 offset1:230
	v_fma_f32 v20, -v12, v22, v20
	ds_read2_b32 v[22:23], v5 offset0:227 offset1:228
	s_waitcnt lgkmcnt(2)
	v_fma_f32 v17, -v13, v17, v20
	v_fma_f32 v16, -v14, v16, v17
	s_waitcnt lgkmcnt(1)
	v_fma_f32 v16, -v15, v19, v16
	ds_read2_b32 v[24:25], v5 offset0:225 offset1:226
	v_fma_f32 v16, -v42, v18, v16
	s_waitcnt lgkmcnt(1)
	v_fma_f32 v16, -v45, v23, v16
	v_fma_f32 v20, -v43, v22, v16
	ds_read_b128 v[16:19], v5 offset:848
	ds_write2_b32 v44, v46, v43 offset0:112 offset1:136
	s_waitcnt lgkmcnt(2)
	v_fma_f32 v20, -v46, v25, v20
	v_mul_f32_e32 v41, v20, v24
	ds_read_b128 v[22:25], v5 offset:800
	ds_read_b128 v[26:29], v5 offset:816
	;; [unrolled: 1-line block ×3, first 2 shown]
	s_waitcnt lgkmcnt(4)
	v_fma_f32 v19, -v6, v19, v34
	v_fma_f32 v18, -v7, v18, v19
	;; [unrolled: 1-line block ×4, first 2 shown]
	s_waitcnt lgkmcnt(0)
	v_fma_f32 v16, -v10, v33, v16
	v_fma_f32 v16, -v11, v32, v16
	;; [unrolled: 1-line block ×9, first 2 shown]
	ds_read2_b32 v[16:17], v5 offset0:189 offset1:190
	v_fma_f32 v18, -v46, v24, v18
	v_fma_f32 v18, -v41, v23, v18
	v_mul_f32_e32 v44, v18, v22
	ds_read2_b32 v[18:19], v5 offset0:187 offset1:188
	ds_read2_b32 v[22:23], v5 offset0:185 offset1:186
	v_fma_f32 v20, -v6, v40, v37
	s_waitcnt lgkmcnt(2)
	v_fma_f32 v17, -v7, v17, v20
	v_fma_f32 v16, -v8, v16, v17
	s_waitcnt lgkmcnt(1)
	v_fma_f32 v19, -v9, v19, v16
	ds_read2_b32 v[16:17], v5 offset0:183 offset1:184
	v_fma_f32 v18, -v10, v18, v19
	s_waitcnt lgkmcnt(1)
	v_fma_f32 v20, -v11, v23, v18
	ds_read2_b32 v[18:19], v5 offset0:181 offset1:182
	v_fma_f32 v20, -v12, v22, v20
	ds_read2_b32 v[22:23], v5 offset0:179 offset1:180
	ds_read_b64 v[25:26], v5 offset:664
	s_waitcnt lgkmcnt(3)
	v_fma_f32 v17, -v13, v17, v20
	v_fma_f32 v16, -v14, v16, v17
	s_waitcnt lgkmcnt(2)
	v_fma_f32 v19, -v15, v19, v16
	ds_read2_b32 v[16:17], v5 offset0:177 offset1:178
	v_fma_f32 v18, -v42, v18, v19
	s_waitcnt lgkmcnt(2)
	v_fma_f32 v18, -v45, v23, v18
	ds_read2_b32 v[23:24], v5 offset0:175 offset1:176
	v_fma_f32 v18, -v43, v22, v18
	s_waitcnt lgkmcnt(1)
	v_fma_f32 v17, -v46, v17, v18
	v_fma_f32 v16, -v41, v16, v17
	ds_write2_b32 v21, v44, v41 offset0:192 offset1:216
	s_waitcnt lgkmcnt(1)
	v_fma_f32 v20, -v44, v24, v16
	ds_read2_b64 v[16:19], v5 offset0:81 offset1:82
	v_mul_f32_e32 v37, v20, v23
	v_fma_f32 v20, -v6, v26, v36
	v_fma_f32 v20, -v7, v25, v20
	ds_read2_b64 v[22:25], v5 offset0:79 offset1:80
	s_waitcnt lgkmcnt(1)
	v_fma_f32 v19, -v8, v19, v20
	v_fma_f32 v18, -v9, v18, v19
	;; [unrolled: 1-line block ×4, first 2 shown]
	s_waitcnt lgkmcnt(0)
	v_fma_f32 v20, -v12, v25, v16
	ds_read2_b64 v[16:19], v5 offset0:77 offset1:78
	v_fma_f32 v20, -v13, v24, v20
	v_fma_f32 v20, -v14, v23, v20
	;; [unrolled: 1-line block ×3, first 2 shown]
	ds_read2_b64 v[22:25], v5 offset0:75 offset1:76
	s_waitcnt lgkmcnt(1)
	v_fma_f32 v19, -v42, v19, v20
	v_fma_f32 v18, -v45, v18, v19
	v_fma_f32 v17, -v43, v17, v18
	v_fma_f32 v16, -v46, v16, v17
	s_waitcnt lgkmcnt(0)
	v_fma_f32 v16, -v41, v25, v16
	v_fma_f32 v16, -v44, v24, v16
	;; [unrolled: 1-line block ×3, first 2 shown]
	ds_read2_b32 v[34:35], v5 offset0:95 offset1:143
	ds_read2_b32 v[16:17], v5 offset0:141 offset1:142
	v_mul_f32_e32 v36, v18, v22
	ds_read2_b32 v[18:19], v5 offset0:139 offset1:140
	ds_read2_b32 v[22:23], v5 offset0:137 offset1:138
	s_waitcnt lgkmcnt(3)
	v_fma_f32 v20, -v6, v35, v39
	s_waitcnt lgkmcnt(2)
	v_fma_f32 v17, -v7, v17, v20
	v_fma_f32 v16, -v8, v16, v17
	s_waitcnt lgkmcnt(1)
	v_fma_f32 v19, -v9, v19, v16
	ds_read2_b32 v[16:17], v5 offset0:135 offset1:136
	v_fma_f32 v18, -v10, v18, v19
	s_waitcnt lgkmcnt(1)
	v_fma_f32 v20, -v11, v23, v18
	ds_read2_b32 v[18:19], v5 offset0:133 offset1:134
	v_fma_f32 v20, -v12, v22, v20
	ds_read2_b32 v[22:23], v5 offset0:131 offset1:132
	s_waitcnt lgkmcnt(2)
	v_fma_f32 v17, -v13, v17, v20
	v_fma_f32 v16, -v14, v16, v17
	s_waitcnt lgkmcnt(1)
	v_fma_f32 v19, -v15, v19, v16
	ds_read2_b32 v[16:17], v5 offset0:129 offset1:130
	v_fma_f32 v18, -v42, v18, v19
	s_waitcnt lgkmcnt(1)
	v_fma_f32 v18, -v45, v23, v18
	v_fma_f32 v18, -v43, v22, v18
	ds_read2_b32 v[22:23], v5 offset0:127 offset1:128
	ds_read2_b32 v[24:25], v5 offset0:125 offset1:126
	s_waitcnt lgkmcnt(2)
	v_fma_f32 v17, -v46, v17, v18
	v_fma_f32 v20, -v41, v16, v17
	ds_read_b128 v[16:19], v5 offset:464
	s_waitcnt lgkmcnt(2)
	v_fma_f32 v20, -v44, v23, v20
	v_fma_f32 v20, -v37, v22, v20
	ds_write2_b32 v21, v36, v37 offset0:144 offset1:168
	s_waitcnt lgkmcnt(2)
	v_fma_f32 v20, -v36, v25, v20
	v_mul_f32_e32 v35, v20, v24
	ds_read_b128 v[22:25], v5 offset:432
	ds_read_b128 v[26:29], v5 offset:448
	s_waitcnt lgkmcnt(3)
	v_fma_f32 v19, -v6, v19, v38
	v_fma_f32 v18, -v7, v18, v19
	;; [unrolled: 1-line block ×4, first 2 shown]
	s_waitcnt lgkmcnt(0)
	v_fma_f32 v20, -v10, v29, v20
	v_fma_f32 v20, -v11, v28, v20
	;; [unrolled: 1-line block ×3, first 2 shown]
	ds_read_b128 v[16:19], v5 offset:400
	ds_read_b128 v[30:33], v5 offset:416
	v_fma_f32 v20, -v13, v26, v20
	v_fma_f32 v20, -v14, v25, v20
	;; [unrolled: 1-line block ×5, first 2 shown]
	s_waitcnt lgkmcnt(0)
	v_fma_f32 v20, -v43, v33, v20
	v_fma_f32 v20, -v46, v32, v20
	;; [unrolled: 1-line block ×7, first 2 shown]
	ds_read2_b32 v[17:18], v5 offset0:93 offset1:94
	v_mul_f32_e32 v28, v19, v16
	ds_read2_b32 v[19:20], v5 offset0:91 offset1:92
	v_fma_f32 v4, -v6, v34, v4
	ds_read2_b32 v[22:23], v5 offset0:89 offset1:90
	s_waitcnt lgkmcnt(2)
	v_fma_f32 v4, -v7, v18, v4
	v_fma_f32 v4, -v8, v17, v4
	ds_read2_b32 v[16:17], v5 offset0:87 offset1:88
	s_waitcnt lgkmcnt(2)
	v_fma_f32 v4, -v9, v20, v4
	;; [unrolled: 4-line block ×4, first 2 shown]
	v_fma_f32 v4, -v14, v16, v4
	ds_read2_b32 v[16:17], v5 offset0:81 offset1:82
	ds_read2_b32 v[24:25], v5 offset0:75 offset1:76
	s_waitcnt lgkmcnt(3)
	v_fma_f32 v4, -v15, v19, v4
	v_fma_f32 v4, -v42, v18, v4
	ds_read2_b32 v[18:19], v5 offset0:79 offset1:80
	s_waitcnt lgkmcnt(3)
	v_fma_f32 v4, -v45, v23, v4
	v_fma_f32 v4, -v43, v22, v4
	;; [unrolled: 4-line block ×3, first 2 shown]
	ds_read_b64 v[26:27], v5 offset:280
	s_waitcnt lgkmcnt(2)
	v_fma_f32 v4, -v44, v19, v4
	v_fma_f32 v4, -v37, v18, v4
	ds_read2_b64 v[16:19], v5 offset0:33 offset1:34
	s_waitcnt lgkmcnt(2)
	v_fma_f32 v4, -v36, v23, v4
	v_fma_f32 v4, -v35, v22, v4
	;; [unrolled: 1-line block ×3, first 2 shown]
	s_waitcnt lgkmcnt(1)
	v_fma_f32 v3, -v6, v27, v3
	v_mul_f32_e32 v29, v4, v24
	v_fma_f32 v3, -v7, v26, v3
	ds_read2_b64 v[22:25], v5 offset0:31 offset1:32
	s_waitcnt lgkmcnt(1)
	v_fma_f32 v3, -v8, v19, v3
	v_fma_f32 v3, -v9, v18, v3
	v_fma_f32 v3, -v10, v17, v3
	v_fma_f32 v3, -v11, v16, v3
	ds_read2_b64 v[16:19], v5 offset0:29 offset1:30
	s_waitcnt lgkmcnt(1)
	v_fma_f32 v3, -v12, v25, v3
	v_fma_f32 v3, -v13, v24, v3
	v_fma_f32 v3, -v14, v23, v3
	;; [unrolled: 6-line block ×4, first 2 shown]
	v_fma_f32 v3, -v36, v22, v3
	s_waitcnt lgkmcnt(0)
	v_fma_f32 v3, -v35, v19, v3
	ds_write2_b32 v21, v28, v35 offset0:96 offset1:120
	v_fma_f32 v3, -v28, v18, v3
	v_fma_f32 v17, -v29, v17, v3
	ds_read_b32 v18, v5 offset:188
	ds_read2_b32 v[3:4], v5 offset0:45 offset1:46
	v_mul_f32_e32 v26, v17, v16
	ds_read2_b32 v[16:17], v5 offset0:43 offset1:44
	ds_read2_b32 v[22:23], v5 offset0:27 offset1:28
	s_waitcnt lgkmcnt(3)
	v_fma_f32 v2, -v6, v18, v2
	s_waitcnt lgkmcnt(2)
	v_fma_f32 v2, -v7, v4, v2
	ds_read2_b32 v[18:19], v5 offset0:41 offset1:42
	v_fma_f32 v2, -v8, v3, v2
	s_waitcnt lgkmcnt(2)
	v_fma_f32 v4, -v9, v17, v2
	ds_read2_b32 v[2:3], v5 offset0:39 offset1:40
	v_fma_f32 v4, -v10, v16, v4
	ds_read2_b32 v[16:17], v5 offset0:37 offset1:38
	s_waitcnt lgkmcnt(2)
	v_fma_f32 v4, -v11, v19, v4
	v_fma_f32 v4, -v12, v18, v4
	s_waitcnt lgkmcnt(1)
	v_fma_f32 v18, -v13, v3, v4
	ds_read2_b32 v[3:4], v5 offset0:35 offset1:36
	v_fma_f32 v2, -v14, v2, v18
	s_waitcnt lgkmcnt(1)
	v_fma_f32 v2, -v15, v17, v2
	ds_read2_b32 v[17:18], v5 offset0:33 offset1:34
	;; [unrolled: 4-line block ×4, first 2 shown]
	v_fma_f32 v4, -v41, v17, v4
	s_waitcnt lgkmcnt(1)
	v_fma_f32 v4, -v44, v20, v4
	v_fma_f32 v4, -v37, v19, v4
	ds_write2_b32 v21, v26, v29 offset0:48 offset1:72
	s_waitcnt lgkmcnt(1)
	v_fma_f32 v16, -v36, v3, v4
	v_fma_f32 v2, -v35, v2, v16
	ds_read_b128 v[16:19], v5 offset:80
	ds_read2_b32 v[3:4], v5 offset0:25 offset1:26
	v_fma_f32 v2, -v28, v23, v2
	v_fma_f32 v2, -v29, v22, v2
	ds_read_b128 v[22:25], v5 offset:64
	s_waitcnt lgkmcnt(2)
	v_fma_f32 v1, -v6, v19, v1
	v_fma_f32 v1, -v7, v18, v1
	;; [unrolled: 1-line block ×4, first 2 shown]
	s_waitcnt lgkmcnt(1)
	v_fma_f32 v2, -v26, v4, v2
	s_waitcnt lgkmcnt(0)
	v_fma_f32 v1, -v10, v25, v1
	v_mul_f32_e32 v20, v2, v3
	v_fma_f32 v10, -v11, v24, v1
	ds_read_b128 v[1:4], v5 offset:32
	ds_read_b128 v[6:9], v5 offset:48
	v_fma_f32 v10, -v12, v23, v10
	v_fma_f32 v22, -v13, v22, v10
	ds_read_b128 v[10:13], v5
	ds_read_b128 v[16:19], v5 offset:16
	s_waitcnt lgkmcnt(2)
	v_fma_f32 v5, -v14, v9, v22
	v_fma_f32 v5, -v15, v8, v5
	;; [unrolled: 1-line block ×8, first 2 shown]
	s_waitcnt lgkmcnt(0)
	v_fma_f32 v1, -v37, v19, v1
	v_fma_f32 v1, -v36, v18, v1
	;; [unrolled: 1-line block ×7, first 2 shown]
	v_mul_f32_e32 v1, v1, v10
	ds_write2_b32 v21, v1, v20 offset1:24
	s_cmp_gt_i32 s5, -1
	s_cbranch_scc1 .LBB28_13
	s_branch .LBB28_31
.LBB28_12:
	s_mov_b32 s5, s4
	s_cmp_gt_i32 s5, -1
	s_cbranch_scc0 .LBB28_31
.LBB28_13:
	s_cmp_lt_u32 s5, 19
	s_cbranch_scc1 .LBB28_18
; %bb.14:
	s_mul_i32 s8, s5, 0x60
	v_add_u32_e32 v3, s8, v21
	v_add_u32_e32 v1, 0xffffffa0, v3
	;; [unrolled: 1-line block ×8, first 2 shown]
	ds_read_b32 v5, v3
	ds_read_b32 v6, v1
	;; [unrolled: 1-line block ×8, first 2 shown]
	v_add_u32_e32 v1, 0xfffffd00, v3
	v_add_u32_e32 v12, 0xfffffb80, v3
	;; [unrolled: 1-line block ×8, first 2 shown]
	ds_read_b32 v15, v1
	ds_read_b32 v17, v2
	;; [unrolled: 1-line block ×8, first 2 shown]
	v_add_u32_e32 v1, 0xfffffa00, v3
	v_add_u32_e32 v2, 0xfffff9a0, v3
	;; [unrolled: 1-line block ×4, first 2 shown]
	ds_read_b32 v9, v1
	ds_read_b32 v4, v2
	;; [unrolled: 1-line block ×4, first 2 shown]
	s_cmp_le_i32 s4, s5
	s_cbranch_scc1 .LBB28_17
; %bb.15:
	s_mul_i32 s11, s16, 0x60
	v_lshl_add_u32 v23, v0, 2, s11
	s_lshl_b32 s11, s16, 2
	s_add_i32 s11, s8, s11
	v_add_u32_e32 v23, 0x8a0, v23
	s_addk_i32 s11, 0xf8dc
	s_mov_b32 s12, s4
.LBB28_16:                              ; =>This Inner Loop Header: Depth=1
	v_mov_b32_e32 v32, s11
	v_add_u32_e32 v40, 0x400, v32
	v_add_u32_e32 v42, 0x200, v32
	ds_read_b32 v44, v23
	ds_read2_b32 v[24:25], v32 offset0:192 offset1:216
	ds_read2_b32 v[26:27], v32 offset0:144 offset1:168
	;; [unrolled: 1-line block ×4, first 2 shown]
	ds_read2_b32 v[32:33], v32 offset1:24
	ds_read2_b32 v[34:35], v40 offset0:176 offset1:200
	ds_read2_b32 v[36:37], v40 offset0:128 offset1:152
	;; [unrolled: 1-line block ×5, first 2 shown]
	s_add_i32 s12, s12, -1
	s_add_i32 s11, s11, -4
	v_add_u32_e32 v23, 0xffffffa0, v23
	s_cmp_gt_i32 s12, s5
	s_waitcnt lgkmcnt(9)
	v_fma_f32 v19, -v44, v25, v19
	v_fma_f32 v22, -v44, v24, v22
	s_waitcnt lgkmcnt(8)
	v_fma_f32 v20, -v44, v27, v20
	v_fma_f32 v18, -v44, v26, v18
	;; [unrolled: 3-line block ×10, first 2 shown]
	s_cbranch_scc1 .LBB28_16
.LBB28_17:
	s_mul_i32 s11, s5, 0x64
	v_mov_b32_e32 v23, s11
	s_add_i32 s11, s8, 0xffffffa0
	s_lshl_b32 s8, s5, 2
	s_add_i32 s8, s11, s8
	s_add_i32 s12, s8, -4
	ds_read_b32 v27, v23
	v_mov_b32_e32 v23, s12
	s_add_i32 s12, s8, 0xffffffa0
	v_mov_b32_e32 v25, s12
	s_add_i32 s12, s8, 0xffffff98
	v_mov_b32_e32 v26, s12
	ds_read2_b32 v[23:24], v23 offset1:1
	ds_read_b32 v28, v25
	ds_read2_b32 v[25:26], v26 offset1:1
	s_waitcnt lgkmcnt(3)
	v_mul_f32_e32 v5, v5, v27
	ds_write_b32 v3, v5
	s_waitcnt lgkmcnt(3)
	v_fma_f32 v3, -v5, v24, v6
	v_mul_f32_e32 v6, v3, v23
	s_waitcnt lgkmcnt(2)
	v_fma_f32 v7, -v5, v28, v7
	v_add_u32_e32 v3, s11, v21
	s_waitcnt lgkmcnt(1)
	v_fma_f32 v7, -v6, v26, v7
	v_mul_f32_e32 v7, v7, v25
	v_add_u32_e32 v23, 0xffffffa0, v3
	s_add_i32 s11, s8, 0xffffff3c
	ds_write_b32 v23, v7
	v_mov_b32_e32 v23, s11
	ds_read2_b32 v[23:24], v23 offset1:1
	s_add_i32 s11, s8, 0xffffff34
	v_mov_b32_e32 v25, s11
	s_add_i32 s11, s8, 0xfffffee0
	v_mov_b32_e32 v27, s11
	s_add_i32 s11, s8, 0xfffffed8
	ds_write_b32 v3, v6
	v_mov_b32_e32 v28, s11
	ds_read2_b32 v[25:26], v25 offset1:1
	ds_read_b32 v29, v27
	ds_read2_b32 v[27:28], v28 offset1:1
	s_waitcnt lgkmcnt(4)
	v_fma_f32 v8, -v5, v24, v8
	v_fma_f32 v8, -v6, v23, v8
	s_waitcnt lgkmcnt(2)
	v_fma_f32 v8, -v7, v26, v8
	v_mul_f32_e32 v8, v8, v25
	v_add_u32_e32 v23, 0xffffff40, v3
	s_add_i32 s11, s8, 0xfffffed0
	ds_write_b32 v23, v8
	s_waitcnt lgkmcnt(2)
	v_fma_f32 v10, -v5, v29, v10
	v_mov_b32_e32 v23, s11
	s_add_i32 s11, s8, 0xfffffe7c
	s_waitcnt lgkmcnt(1)
	v_fma_f32 v10, -v6, v28, v10
	v_mov_b32_e32 v25, s11
	s_add_i32 s11, s8, 0xfffffe74
	v_fma_f32 v10, -v7, v27, v10
	v_mov_b32_e32 v27, s11
	s_add_i32 s11, s8, 0xfffffe6c
	v_mov_b32_e32 v29, s11
	ds_read2_b32 v[23:24], v23 offset1:1
	ds_read2_b32 v[25:26], v25 offset1:1
	;; [unrolled: 1-line block ×4, first 2 shown]
	s_add_i32 s11, s8, 0xfffffe20
	s_sub_i32 s5, s5, 20
	s_waitcnt lgkmcnt(2)
	v_fma_f32 v11, -v5, v26, v11
	v_fma_f32 v11, -v6, v25, v11
	;; [unrolled: 1-line block ×3, first 2 shown]
	s_waitcnt lgkmcnt(1)
	v_fma_f32 v11, -v7, v28, v11
	v_mul_f32_e32 v10, v10, v23
	v_fma_f32 v11, -v8, v27, v11
	v_add_u32_e32 v23, 0xfffffee0, v3
	s_waitcnt lgkmcnt(0)
	v_fma_f32 v11, -v10, v30, v11
	ds_write_b32 v23, v10
	v_mul_f32_e32 v11, v11, v29
	v_add_u32_e32 v23, 0xfffffe80, v3
	ds_write_b32 v23, v11
	v_mov_b32_e32 v23, s11
	s_add_i32 s11, s8, 0xfffffe18
	v_mov_b32_e32 v24, s11
	ds_read_b32 v29, v23
	ds_read2_b32 v[23:24], v24 offset1:1
	s_add_i32 s11, s8, 0xfffffe10
	v_mov_b32_e32 v25, s11
	s_add_i32 s11, s8, 0xfffffe08
	v_mov_b32_e32 v27, s11
	ds_read2_b32 v[25:26], v25 offset1:1
	ds_read2_b32 v[27:28], v27 offset1:1
	s_waitcnt lgkmcnt(3)
	v_fma_f32 v13, -v5, v29, v13
	s_waitcnt lgkmcnt(2)
	v_fma_f32 v13, -v6, v24, v13
	v_fma_f32 v13, -v7, v23, v13
	s_waitcnt lgkmcnt(1)
	v_fma_f32 v13, -v8, v26, v13
	;; [unrolled: 3-line block ×3, first 2 shown]
	v_mul_f32_e32 v13, v13, v27
	v_add_u32_e32 v23, 0xfffffe20, v3
	s_add_i32 s11, s8, 0xfffffdbc
	ds_write_b32 v23, v13
	v_mov_b32_e32 v23, s11
	ds_read2_b32 v[23:24], v23 offset1:1
	s_add_i32 s11, s8, 0xfffffdb4
	v_mov_b32_e32 v25, s11
	s_add_i32 s11, s8, 0xfffffdac
	v_mov_b32_e32 v27, s11
	;; [unrolled: 2-line block ×3, first 2 shown]
	ds_read2_b32 v[25:26], v25 offset1:1
	ds_read2_b32 v[27:28], v27 offset1:1
	;; [unrolled: 1-line block ×3, first 2 shown]
	s_waitcnt lgkmcnt(3)
	v_fma_f32 v14, -v5, v24, v14
	v_fma_f32 v14, -v6, v23, v14
	s_waitcnt lgkmcnt(2)
	v_fma_f32 v14, -v7, v26, v14
	v_fma_f32 v14, -v8, v25, v14
	;; [unrolled: 3-line block ×3, first 2 shown]
	s_waitcnt lgkmcnt(0)
	v_fma_f32 v14, -v13, v30, v14
	v_mul_f32_e32 v14, v14, v29
	v_add_u32_e32 v23, 0xfffffdc0, v3
	s_add_i32 s11, s8, 0xfffffd60
	ds_write_b32 v23, v14
	v_mov_b32_e32 v23, s11
	s_add_i32 s11, s8, 0xfffffd58
	v_mov_b32_e32 v24, s11
	ds_read_b32 v29, v23
	ds_read2_b32 v[23:24], v24 offset1:1
	s_add_i32 s11, s8, 0xfffffd50
	v_mov_b32_e32 v25, s11
	s_add_i32 s11, s8, 0xfffffd48
	v_mov_b32_e32 v27, s11
	ds_read2_b32 v[25:26], v25 offset1:1
	ds_read2_b32 v[27:28], v27 offset1:1
	s_waitcnt lgkmcnt(3)
	v_fma_f32 v15, -v5, v29, v15
	s_waitcnt lgkmcnt(2)
	v_fma_f32 v15, -v6, v24, v15
	s_add_i32 s11, s8, 0xfffffd40
	v_fma_f32 v15, -v7, v23, v15
	v_mov_b32_e32 v23, s11
	ds_read2_b32 v[23:24], v23 offset1:1
	s_waitcnt lgkmcnt(2)
	v_fma_f32 v15, -v8, v26, v15
	v_fma_f32 v15, -v10, v25, v15
	s_waitcnt lgkmcnt(1)
	v_fma_f32 v15, -v11, v28, v15
	v_fma_f32 v15, -v13, v27, v15
	s_waitcnt lgkmcnt(0)
	v_fma_f32 v15, -v14, v24, v15
	v_mul_f32_e32 v15, v15, v23
	v_add_u32_e32 v23, 0xfffffd60, v3
	s_add_i32 s11, s8, 0xfffffcfc
	ds_write_b32 v23, v15
	v_mov_b32_e32 v23, s11
	ds_read2_b32 v[23:24], v23 offset1:1
	s_add_i32 s11, s8, 0xfffffcf4
	v_mov_b32_e32 v25, s11
	s_add_i32 s11, s8, 0xfffffcec
	v_mov_b32_e32 v27, s11
	;; [unrolled: 2-line block ×3, first 2 shown]
	ds_read2_b32 v[25:26], v25 offset1:1
	ds_read2_b32 v[27:28], v27 offset1:1
	;; [unrolled: 1-line block ×3, first 2 shown]
	s_waitcnt lgkmcnt(3)
	v_fma_f32 v17, -v5, v24, v17
	v_fma_f32 v17, -v6, v23, v17
	s_add_i32 s11, s8, 0xfffffcdc
	s_waitcnt lgkmcnt(2)
	v_fma_f32 v17, -v7, v26, v17
	v_mov_b32_e32 v23, s11
	v_fma_f32 v17, -v8, v25, v17
	ds_read2_b32 v[23:24], v23 offset1:1
	s_waitcnt lgkmcnt(2)
	v_fma_f32 v17, -v10, v28, v17
	v_fma_f32 v17, -v11, v27, v17
	s_add_i32 s11, s8, 0xfffffca0
	s_waitcnt lgkmcnt(1)
	v_fma_f32 v17, -v13, v30, v17
	v_mov_b32_e32 v25, s11
	v_fma_f32 v17, -v14, v29, v17
	ds_read_b32 v25, v25
	s_waitcnt lgkmcnt(1)
	v_fma_f32 v17, -v15, v24, v17
	v_mul_f32_e32 v17, v17, v23
	v_add_u32_e32 v23, 0xfffffd00, v3
	s_add_i32 s11, s8, 0xfffffc98
	ds_write_b32 v23, v17
	v_mov_b32_e32 v23, s11
	ds_read2_b32 v[23:24], v23 offset1:1
	s_add_i32 s11, s8, 0xfffffc90
	s_waitcnt lgkmcnt(2)
	v_fma_f32 v19, -v5, v25, v19
	v_mov_b32_e32 v25, s11
	s_add_i32 s11, s8, 0xfffffc88
	v_mov_b32_e32 v27, s11
	s_add_i32 s11, s8, 0xfffffc80
	v_mov_b32_e32 v29, s11
	ds_read2_b32 v[25:26], v25 offset1:1
	ds_read2_b32 v[27:28], v27 offset1:1
	;; [unrolled: 1-line block ×3, first 2 shown]
	s_waitcnt lgkmcnt(3)
	v_fma_f32 v19, -v6, v24, v19
	v_fma_f32 v19, -v7, v23, v19
	s_add_i32 s11, s8, 0xfffffc78
	s_waitcnt lgkmcnt(2)
	v_fma_f32 v19, -v8, v26, v19
	v_mov_b32_e32 v23, s11
	v_fma_f32 v19, -v10, v25, v19
	ds_read2_b32 v[23:24], v23 offset1:1
	s_waitcnt lgkmcnt(2)
	v_fma_f32 v19, -v11, v28, v19
	v_fma_f32 v19, -v13, v27, v19
	s_waitcnt lgkmcnt(1)
	v_fma_f32 v19, -v14, v30, v19
	v_fma_f32 v19, -v15, v29, v19
	s_waitcnt lgkmcnt(0)
	v_fma_f32 v19, -v17, v24, v19
	v_mul_f32_e32 v19, v19, v23
	v_add_u32_e32 v23, 0xfffffca0, v3
	s_add_i32 s11, s8, 0xfffffc3c
	ds_write_b32 v23, v19
	v_mov_b32_e32 v23, s11
	ds_read2_b32 v[23:24], v23 offset1:1
	s_add_i32 s11, s8, 0xfffffc34
	v_mov_b32_e32 v25, s11
	s_add_i32 s11, s8, 0xfffffc2c
	v_mov_b32_e32 v27, s11
	;; [unrolled: 2-line block ×3, first 2 shown]
	ds_read2_b32 v[25:26], v25 offset1:1
	ds_read2_b32 v[27:28], v27 offset1:1
	;; [unrolled: 1-line block ×3, first 2 shown]
	s_waitcnt lgkmcnt(3)
	v_fma_f32 v22, -v5, v24, v22
	v_fma_f32 v22, -v6, v23, v22
	s_waitcnt lgkmcnt(2)
	v_fma_f32 v22, -v7, v26, v22
	s_add_i32 s11, s8, 0xfffffc1c
	v_fma_f32 v24, -v8, v25, v22
	v_mov_b32_e32 v22, s11
	ds_read2_b32 v[22:23], v22 offset1:1
	s_waitcnt lgkmcnt(2)
	v_fma_f32 v24, -v10, v28, v24
	v_fma_f32 v24, -v11, v27, v24
	s_waitcnt lgkmcnt(1)
	v_fma_f32 v24, -v13, v30, v24
	v_fma_f32 v24, -v14, v29, v24
	s_add_i32 s11, s8, 0xfffffc14
	s_waitcnt lgkmcnt(0)
	v_fma_f32 v25, -v15, v23, v24
	v_mov_b32_e32 v23, s11
	ds_read2_b32 v[23:24], v23 offset1:1
	v_fma_f32 v22, -v17, v22, v25
	s_add_i32 s11, s8, 0xfffffbe0
	v_mov_b32_e32 v25, s11
	s_add_i32 s11, s8, 0xfffffbd8
	s_waitcnt lgkmcnt(0)
	v_fma_f32 v22, -v19, v24, v22
	v_mul_f32_e32 v30, v22, v23
	v_add_u32_e32 v22, 0xfffffc40, v3
	ds_read_b32 v25, v25
	ds_write_b32 v22, v30
	v_mov_b32_e32 v22, s11
	ds_read2_b32 v[22:23], v22 offset1:1
	s_add_i32 s11, s8, 0xfffffbd0
	v_mov_b32_e32 v24, s11
	s_add_i32 s11, s8, 0xfffffbc8
	v_mov_b32_e32 v26, s11
	;; [unrolled: 2-line block ×3, first 2 shown]
	s_waitcnt lgkmcnt(2)
	v_fma_f32 v20, -v5, v25, v20
	ds_read2_b32 v[24:25], v24 offset1:1
	ds_read2_b32 v[26:27], v26 offset1:1
	;; [unrolled: 1-line block ×3, first 2 shown]
	s_waitcnt lgkmcnt(3)
	v_fma_f32 v20, -v6, v23, v20
	v_fma_f32 v20, -v7, v22, v20
	s_add_i32 s11, s8, 0xfffffbb8
	s_waitcnt lgkmcnt(2)
	v_fma_f32 v20, -v8, v25, v20
	v_mov_b32_e32 v22, s11
	v_fma_f32 v20, -v10, v24, v20
	ds_read2_b32 v[22:23], v22 offset1:1
	s_add_i32 s11, s8, 0xfffffbb0
	s_waitcnt lgkmcnt(2)
	v_fma_f32 v20, -v11, v27, v20
	v_mov_b32_e32 v24, s11
	v_fma_f32 v20, -v13, v26, v20
	ds_read2_b32 v[24:25], v24 offset1:1
	s_waitcnt lgkmcnt(2)
	v_fma_f32 v20, -v14, v29, v20
	v_fma_f32 v20, -v15, v28, v20
	s_waitcnt lgkmcnt(1)
	v_fma_f32 v20, -v17, v23, v20
	v_fma_f32 v20, -v19, v22, v20
	s_waitcnt lgkmcnt(0)
	v_fma_f32 v20, -v30, v25, v20
	v_mul_f32_e32 v20, v20, v24
	v_add_u32_e32 v22, 0xfffffbe0, v3
	s_add_i32 s11, s8, 0xfffffb7c
	ds_write_b32 v22, v20
	v_mov_b32_e32 v22, s11
	ds_read2_b32 v[22:23], v22 offset1:1
	s_add_i32 s11, s8, 0xfffffb74
	v_mov_b32_e32 v24, s11
	s_add_i32 s11, s8, 0xfffffb6c
	v_mov_b32_e32 v26, s11
	s_add_i32 s11, s8, 0xfffffb64
	v_mov_b32_e32 v28, s11
	ds_read2_b32 v[24:25], v24 offset1:1
	ds_read2_b32 v[26:27], v26 offset1:1
	;; [unrolled: 1-line block ×3, first 2 shown]
	s_waitcnt lgkmcnt(3)
	v_fma_f32 v18, -v5, v23, v18
	v_fma_f32 v18, -v6, v22, v18
	s_add_i32 s11, s8, 0xfffffb5c
	s_waitcnt lgkmcnt(2)
	v_fma_f32 v18, -v7, v25, v18
	v_mov_b32_e32 v22, s11
	v_fma_f32 v18, -v8, v24, v18
	ds_read2_b32 v[22:23], v22 offset1:1
	s_waitcnt lgkmcnt(2)
	v_fma_f32 v18, -v10, v27, v18
	v_fma_f32 v18, -v11, v26, v18
	s_add_i32 s11, s8, 0xfffffb54
	v_mov_b32_e32 v24, s11
	s_waitcnt lgkmcnt(1)
	v_fma_f32 v18, -v13, v29, v18
	ds_read2_b32 v[24:25], v24 offset1:1
	v_fma_f32 v18, -v14, v28, v18
	s_waitcnt lgkmcnt(1)
	v_fma_f32 v18, -v15, v23, v18
	s_add_i32 s11, s8, 0xfffffb4c
	v_fma_f32 v18, -v17, v22, v18
	v_mov_b32_e32 v22, s11
	ds_read2_b32 v[22:23], v22 offset1:1
	s_waitcnt lgkmcnt(1)
	v_fma_f32 v18, -v19, v25, v18
	s_add_i32 s11, s8, 0xfffffb20
	v_fma_f32 v18, -v30, v24, v18
	v_mov_b32_e32 v24, s11
	ds_read_b32 v24, v24
	s_waitcnt lgkmcnt(1)
	v_fma_f32 v18, -v20, v23, v18
	v_mul_f32_e32 v18, v18, v22
	v_add_u32_e32 v22, 0xfffffb80, v3
	s_add_i32 s11, s8, 0xfffffb18
	ds_write_b32 v22, v18
	v_mov_b32_e32 v22, s11
	ds_read2_b32 v[22:23], v22 offset1:1
	s_add_i32 s11, s8, 0xfffffb10
	s_waitcnt lgkmcnt(2)
	v_fma_f32 v16, -v5, v24, v16
	v_mov_b32_e32 v24, s11
	s_add_i32 s11, s8, 0xfffffb08
	v_mov_b32_e32 v26, s11
	s_add_i32 s11, s8, 0xfffffb00
	v_mov_b32_e32 v28, s11
	ds_read2_b32 v[24:25], v24 offset1:1
	ds_read2_b32 v[26:27], v26 offset1:1
	;; [unrolled: 1-line block ×3, first 2 shown]
	s_waitcnt lgkmcnt(3)
	v_fma_f32 v16, -v6, v23, v16
	v_fma_f32 v16, -v7, v22, v16
	s_add_i32 s11, s8, 0xfffffaf8
	s_waitcnt lgkmcnt(2)
	v_fma_f32 v16, -v8, v25, v16
	v_mov_b32_e32 v22, s11
	s_add_i32 s11, s8, 0xfffffaf0
	v_fma_f32 v16, -v10, v24, v16
	v_mov_b32_e32 v24, s11
	s_waitcnt lgkmcnt(1)
	v_fma_f32 v16, -v11, v27, v16
	ds_read2_b32 v[22:23], v22 offset1:1
	ds_read2_b32 v[24:25], v24 offset1:1
	v_fma_f32 v16, -v13, v26, v16
	s_add_i32 s11, s8, 0xfffffae8
	s_waitcnt lgkmcnt(2)
	v_fma_f32 v16, -v14, v29, v16
	v_mov_b32_e32 v26, s11
	v_fma_f32 v16, -v15, v28, v16
	ds_read2_b32 v[26:27], v26 offset1:1
	s_waitcnt lgkmcnt(2)
	v_fma_f32 v16, -v17, v23, v16
	v_fma_f32 v16, -v19, v22, v16
	s_waitcnt lgkmcnt(1)
	v_fma_f32 v16, -v30, v25, v16
	v_fma_f32 v16, -v20, v24, v16
	s_waitcnt lgkmcnt(0)
	v_fma_f32 v16, -v18, v27, v16
	v_mul_f32_e32 v16, v16, v26
	v_add_u32_e32 v22, 0xfffffb20, v3
	s_add_i32 s11, s8, 0xfffffabc
	ds_write_b32 v22, v16
	v_mov_b32_e32 v22, s11
	ds_read2_b32 v[22:23], v22 offset1:1
	s_add_i32 s11, s8, 0xfffffab4
	v_mov_b32_e32 v24, s11
	s_add_i32 s11, s8, 0xfffffaac
	v_mov_b32_e32 v26, s11
	;; [unrolled: 2-line block ×3, first 2 shown]
	ds_read2_b32 v[24:25], v24 offset1:1
	ds_read2_b32 v[26:27], v26 offset1:1
	;; [unrolled: 1-line block ×3, first 2 shown]
	s_waitcnt lgkmcnt(3)
	v_fma_f32 v12, -v5, v23, v12
	v_fma_f32 v12, -v6, v22, v12
	s_add_i32 s11, s8, 0xfffffa9c
	s_waitcnt lgkmcnt(2)
	v_fma_f32 v12, -v7, v25, v12
	v_mov_b32_e32 v22, s11
	s_add_i32 s11, s8, 0xfffffa94
	v_fma_f32 v12, -v8, v24, v12
	v_mov_b32_e32 v24, s11
	s_waitcnt lgkmcnt(1)
	v_fma_f32 v12, -v10, v27, v12
	ds_read2_b32 v[22:23], v22 offset1:1
	ds_read2_b32 v[24:25], v24 offset1:1
	v_fma_f32 v12, -v11, v26, v12
	s_waitcnt lgkmcnt(2)
	v_fma_f32 v12, -v13, v29, v12
	s_add_i32 s11, s8, 0xfffffa8c
	v_fma_f32 v12, -v14, v28, v12
	v_mov_b32_e32 v26, s11
	ds_read2_b32 v[26:27], v26 offset1:1
	s_waitcnt lgkmcnt(2)
	v_fma_f32 v12, -v15, v23, v12
	s_add_i32 s11, s8, 0xfffffa84
	v_fma_f32 v12, -v17, v22, v12
	v_mov_b32_e32 v22, s11
	ds_read2_b32 v[22:23], v22 offset1:1
	s_waitcnt lgkmcnt(2)
	v_fma_f32 v12, -v19, v25, v12
	s_add_i32 s11, s8, 0xfffffa60
	v_fma_f32 v12, -v30, v24, v12
	v_mov_b32_e32 v24, s11
	ds_read_b32 v24, v24
	s_waitcnt lgkmcnt(2)
	v_fma_f32 v12, -v20, v27, v12
	v_fma_f32 v12, -v18, v26, v12
	s_waitcnt lgkmcnt(1)
	v_fma_f32 v12, -v16, v23, v12
	v_mul_f32_e32 v12, v12, v22
	v_add_u32_e32 v22, 0xfffffac0, v3
	s_add_i32 s11, s8, 0xfffffa58
	ds_write_b32 v22, v12
	v_mov_b32_e32 v22, s11
	ds_read2_b32 v[22:23], v22 offset1:1
	s_add_i32 s11, s8, 0xfffffa50
	s_waitcnt lgkmcnt(2)
	v_fma_f32 v9, -v5, v24, v9
	v_mov_b32_e32 v24, s11
	s_add_i32 s11, s8, 0xfffffa48
	v_mov_b32_e32 v26, s11
	s_add_i32 s11, s8, 0xfffffa40
	v_mov_b32_e32 v28, s11
	ds_read2_b32 v[24:25], v24 offset1:1
	ds_read2_b32 v[26:27], v26 offset1:1
	;; [unrolled: 1-line block ×3, first 2 shown]
	s_waitcnt lgkmcnt(3)
	v_fma_f32 v9, -v6, v23, v9
	v_fma_f32 v9, -v7, v22, v9
	s_add_i32 s11, s8, 0xfffffa38
	s_waitcnt lgkmcnt(2)
	v_fma_f32 v9, -v8, v25, v9
	v_mov_b32_e32 v22, s11
	v_fma_f32 v9, -v10, v24, v9
	ds_read2_b32 v[22:23], v22 offset1:1
	s_waitcnt lgkmcnt(2)
	v_fma_f32 v9, -v11, v27, v9
	s_add_i32 s11, s8, 0xfffffa30
	v_fma_f32 v9, -v13, v26, v9
	v_mov_b32_e32 v24, s11
	s_add_i32 s11, s8, 0xfffffa28
	s_waitcnt lgkmcnt(1)
	v_fma_f32 v9, -v14, v29, v9
	v_mov_b32_e32 v26, s11
	v_fma_f32 v9, -v15, v28, v9
	ds_read2_b32 v[24:25], v24 offset1:1
	ds_read2_b32 v[26:27], v26 offset1:1
	s_waitcnt lgkmcnt(2)
	v_fma_f32 v9, -v17, v23, v9
	s_add_i32 s11, s8, 0xfffffa20
	v_fma_f32 v9, -v19, v22, v9
	v_mov_b32_e32 v22, s11
	ds_read2_b32 v[22:23], v22 offset1:1
	s_waitcnt lgkmcnt(2)
	v_fma_f32 v9, -v30, v25, v9
	v_fma_f32 v9, -v20, v24, v9
	s_waitcnt lgkmcnt(1)
	v_fma_f32 v9, -v18, v27, v9
	v_fma_f32 v9, -v16, v26, v9
	s_waitcnt lgkmcnt(0)
	v_fma_f32 v9, -v12, v23, v9
	v_mul_f32_e32 v31, v9, v22
	v_add_u32_e32 v9, 0xfffffa60, v3
	s_add_i32 s11, s8, 0xfffff9fc
	ds_write_b32 v9, v31
	v_mov_b32_e32 v9, s11
	ds_read2_b32 v[22:23], v9 offset1:1
	s_add_i32 s11, s8, 0xfffff9f4
	v_mov_b32_e32 v9, s11
	s_add_i32 s11, s8, 0xfffff9ec
	v_mov_b32_e32 v26, s11
	;; [unrolled: 2-line block ×3, first 2 shown]
	ds_read2_b32 v[24:25], v9 offset1:1
	ds_read2_b32 v[26:27], v26 offset1:1
	;; [unrolled: 1-line block ×3, first 2 shown]
	s_waitcnt lgkmcnt(3)
	v_fma_f32 v4, -v5, v23, v4
	v_fma_f32 v4, -v6, v22, v4
	s_waitcnt lgkmcnt(2)
	v_fma_f32 v4, -v7, v25, v4
	s_add_i32 s11, s8, 0xfffff9dc
	v_fma_f32 v4, -v8, v24, v4
	v_mov_b32_e32 v9, s11
	s_waitcnt lgkmcnt(1)
	v_fma_f32 v4, -v10, v27, v4
	ds_read2_b32 v[22:23], v9 offset1:1
	s_add_i32 s11, s8, 0xfffff9d4
	v_fma_f32 v4, -v11, v26, v4
	v_mov_b32_e32 v9, s11
	s_add_i32 s11, s8, 0xfffff9cc
	s_waitcnt lgkmcnt(1)
	v_fma_f32 v4, -v13, v29, v4
	v_mov_b32_e32 v26, s11
	s_add_i32 s11, s8, 0xfffff9c4
	v_fma_f32 v4, -v14, v28, v4
	v_mov_b32_e32 v28, s11
	ds_read2_b32 v[24:25], v9 offset1:1
	ds_read2_b32 v[26:27], v26 offset1:1
	;; [unrolled: 1-line block ×3, first 2 shown]
	s_waitcnt lgkmcnt(3)
	v_fma_f32 v4, -v15, v23, v4
	v_fma_f32 v4, -v17, v22, v4
	s_add_i32 s11, s8, 0xfffff9bc
	s_waitcnt lgkmcnt(2)
	v_fma_f32 v4, -v19, v25, v4
	v_mov_b32_e32 v9, s11
	v_fma_f32 v4, -v30, v24, v4
	ds_read2_b32 v[22:23], v9 offset1:1
	s_waitcnt lgkmcnt(2)
	v_fma_f32 v4, -v20, v27, v4
	v_fma_f32 v4, -v18, v26, v4
	s_waitcnt lgkmcnt(1)
	v_fma_f32 v4, -v16, v29, v4
	s_add_i32 s11, s8, 0xfffff9a0
	v_fma_f32 v4, -v12, v28, v4
	v_mov_b32_e32 v9, s11
	ds_read_b32 v9, v9
	s_waitcnt lgkmcnt(1)
	v_fma_f32 v4, -v31, v23, v4
	v_mul_f32_e32 v32, v4, v22
	v_add_u32_e32 v4, 0xfffffa00, v3
	s_add_i32 s11, s8, 0xfffff998
	ds_write_b32 v4, v32
	v_mov_b32_e32 v4, s11
	ds_read2_b32 v[22:23], v4 offset1:1
	s_add_i32 s11, s8, 0xfffff990
	v_mov_b32_e32 v4, s11
	s_add_i32 s11, s8, 0xfffff988
	s_waitcnt lgkmcnt(2)
	v_fma_f32 v2, -v5, v9, v2
	v_mov_b32_e32 v9, s11
	s_add_i32 s11, s8, 0xfffff980
	v_mov_b32_e32 v28, s11
	ds_read2_b32 v[24:25], v4 offset1:1
	ds_read2_b32 v[26:27], v9 offset1:1
	;; [unrolled: 1-line block ×3, first 2 shown]
	s_waitcnt lgkmcnt(3)
	v_fma_f32 v2, -v6, v23, v2
	v_fma_f32 v2, -v7, v22, v2
	s_waitcnt lgkmcnt(2)
	v_fma_f32 v2, -v8, v25, v2
	s_add_i32 s11, s8, 0xfffff978
	v_fma_f32 v2, -v10, v24, v2
	v_mov_b32_e32 v4, s11
	s_waitcnt lgkmcnt(1)
	v_fma_f32 v2, -v11, v27, v2
	ds_read2_b32 v[22:23], v4 offset1:1
	s_add_i32 s11, s8, 0xfffff970
	v_fma_f32 v2, -v13, v26, v2
	v_mov_b32_e32 v4, s11
	s_add_i32 s11, s8, 0xfffff968
	s_waitcnt lgkmcnt(1)
	v_fma_f32 v2, -v14, v29, v2
	v_mov_b32_e32 v9, s11
	s_add_i32 s11, s8, 0xfffff960
	v_fma_f32 v2, -v15, v28, v2
	v_mov_b32_e32 v28, s11
	ds_read2_b32 v[24:25], v4 offset1:1
	ds_read2_b32 v[26:27], v9 offset1:1
	;; [unrolled: 1-line block ×3, first 2 shown]
	s_waitcnt lgkmcnt(3)
	v_fma_f32 v2, -v17, v23, v2
	v_fma_f32 v2, -v19, v22, v2
	s_add_i32 s11, s8, 0xfffff958
	s_waitcnt lgkmcnt(2)
	v_fma_f32 v2, -v30, v25, v2
	v_mov_b32_e32 v4, s11
	v_fma_f32 v2, -v20, v24, v2
	ds_read2_b32 v[22:23], v4 offset1:1
	s_waitcnt lgkmcnt(2)
	v_fma_f32 v2, -v18, v27, v2
	v_fma_f32 v2, -v16, v26, v2
	s_waitcnt lgkmcnt(1)
	v_fma_f32 v2, -v12, v29, v2
	v_fma_f32 v2, -v31, v28, v2
	s_waitcnt lgkmcnt(0)
	v_fma_f32 v2, -v32, v23, v2
	v_mul_f32_e32 v33, v2, v22
	v_add_u32_e32 v2, 0xfffff9a0, v3
	s_add_i32 s11, s8, 0xfffff93c
	ds_write_b32 v2, v33
	v_mov_b32_e32 v2, s11
	ds_read2_b32 v[22:23], v2 offset1:1
	s_add_i32 s11, s8, 0xfffff934
	v_mov_b32_e32 v2, s11
	s_add_i32 s11, s8, 0xfffff92c
	v_mov_b32_e32 v4, s11
	s_add_i32 s11, s8, 0xfffff924
	v_mov_b32_e32 v9, s11
	ds_read2_b32 v[24:25], v2 offset1:1
	ds_read2_b32 v[26:27], v4 offset1:1
	;; [unrolled: 1-line block ×3, first 2 shown]
	s_waitcnt lgkmcnt(3)
	v_fma_f32 v1, -v5, v23, v1
	v_fma_f32 v1, -v6, v22, v1
	s_waitcnt lgkmcnt(2)
	v_fma_f32 v1, -v7, v25, v1
	v_fma_f32 v1, -v8, v24, v1
	s_waitcnt lgkmcnt(1)
	v_fma_f32 v1, -v10, v27, v1
	v_fma_f32 v1, -v11, v26, v1
	s_waitcnt lgkmcnt(0)
	v_fma_f32 v1, -v13, v29, v1
	s_add_i32 s11, s8, 0xfffff91c
	v_fma_f32 v10, -v14, v28, v1
	v_mov_b32_e32 v1, s11
	ds_read2_b32 v[1:2], v1 offset1:1
	s_add_i32 s11, s8, 0xfffff914
	v_mov_b32_e32 v4, s11
	s_add_i32 s11, s8, 0xfffff90c
	v_mov_b32_e32 v6, s11
	;; [unrolled: 2-line block ×3, first 2 shown]
	ds_read2_b32 v[4:5], v4 offset1:1
	ds_read2_b32 v[6:7], v6 offset1:1
	ds_read2_b32 v[8:9], v8 offset1:1
	s_waitcnt lgkmcnt(3)
	v_fma_f32 v2, -v15, v2, v10
	v_fma_f32 v1, -v17, v1, v2
	s_waitcnt lgkmcnt(2)
	v_fma_f32 v1, -v19, v5, v1
	v_fma_f32 v1, -v30, v4, v1
	s_waitcnt lgkmcnt(1)
	v_fma_f32 v1, -v20, v7, v1
	s_add_i32 s11, s8, 0xfffff8fc
	v_fma_f32 v6, -v18, v6, v1
	v_mov_b32_e32 v1, s11
	ds_read2_b32 v[1:2], v1 offset1:1
	s_addk_i32 s8, 0xf8f4
	v_mov_b32_e32 v4, s8
	ds_read2_b32 v[4:5], v4 offset1:1
	s_waitcnt lgkmcnt(2)
	v_fma_f32 v6, -v16, v9, v6
	v_fma_f32 v6, -v12, v8, v6
	s_waitcnt lgkmcnt(1)
	v_fma_f32 v2, -v31, v2, v6
	v_fma_f32 v1, -v32, v1, v2
	s_waitcnt lgkmcnt(0)
	v_fma_f32 v1, -v33, v5, v1
	v_mul_f32_e32 v1, v1, v4
	v_add_u32_e32 v2, 0xfffff940, v3
	ds_write_b32 v2, v1
.LBB28_18:
	s_cmp_lt_i32 s5, 0
	s_cbranch_scc1 .LBB28_31
; %bb.19:
	s_bitcmp1_b32 s5, 0
	s_cselect_b64 s[12:13], -1, 0
	s_and_b64 vcc, exec, s[12:13]
	s_mov_b32 s8, s5
	s_cbranch_vccnz .LBB28_24
; %bb.20:
	s_mul_i32 s8, s5, 0x60
	v_add_u32_e32 v1, s8, v21
	ds_read_b32 v2, v1
	s_cmp_le_i32 s4, s5
	s_cbranch_scc1 .LBB28_23
; %bb.21:
	s_lshl_b32 s11, s16, 2
	s_add_i32 s8, s8, s11
	s_mul_i32 s11, s16, 0x60
	v_lshl_add_u32 v3, v0, 2, s11
	s_add_i32 s8, s8, -4
	v_add_u32_e32 v3, 0x8a0, v3
	s_mov_b32 s11, s4
.LBB28_22:                              ; =>This Inner Loop Header: Depth=1
	v_mov_b32_e32 v5, s8
	ds_read_b32 v4, v3
	ds_read_b32 v5, v5
	s_add_i32 s11, s11, -1
	s_add_i32 s8, s8, -4
	v_add_u32_e32 v3, 0xffffffa0, v3
	s_cmp_gt_i32 s11, s5
	s_waitcnt lgkmcnt(0)
	v_fma_f32 v2, -v4, v5, v2
	s_cbranch_scc1 .LBB28_22
.LBB28_23:
	s_mul_i32 s8, s5, 0x64
	v_mov_b32_e32 v3, s8
	ds_read_b32 v3, v3
	s_add_i32 s8, s5, -1
	s_waitcnt lgkmcnt(0)
	v_mul_f32_e32 v2, v2, v3
	ds_write_b32 v1, v2
.LBB28_24:
	s_cmp_eq_u32 s5, 0
	s_cbranch_scc1 .LBB28_31
; %bb.25:
	s_mul_i32 s5, s8, 0x60
	s_lshl_b32 s11, s16, 2
	s_mul_i32 s12, s16, 0x60
	s_add_i32 s11, s5, s11
	v_lshl_add_u32 v1, v0, 2, s12
	s_add_i32 s5, s11, -4
	v_add_u32_e32 v1, 0x8a0, v1
	s_addk_i32 s11, 0xff9c
	s_branch .LBB28_27
.LBB28_26:                              ;   in Loop: Header=BB28_27 Depth=1
	s_addk_i32 s12, 0xff9c
	v_mov_b32_e32 v3, s12
	ds_read_b32 v3, v3
	s_add_i32 s12, s8, -2
	s_addk_i32 s5, 0xff40
	s_addk_i32 s11, 0xff40
	s_cmp_lt_i32 s8, 2
	s_waitcnt lgkmcnt(0)
	v_mul_f32_e32 v3, v5, v3
	s_mov_b32 s8, s12
	ds_write_b32 v2, v3
	s_cbranch_scc1 .LBB28_31
.LBB28_27:                              ; =>This Loop Header: Depth=1
                                        ;     Child Loop BB28_28 Depth 2
                                        ;     Child Loop BB28_30 Depth 2
	s_mul_i32 s13, s8, 0x60
	v_add_u32_e32 v3, s13, v21
	ds_read_b32 v4, v3
	s_cmp_le_i32 s4, s8
	v_mov_b32_e32 v2, v1
	s_mov_b32 s12, s5
	s_mov_b32 s14, s4
	s_cbranch_scc1 .LBB28_29
.LBB28_28:                              ;   Parent Loop BB28_27 Depth=1
                                        ; =>  This Inner Loop Header: Depth=2
	v_mov_b32_e32 v6, s12
	ds_read_b32 v5, v2
	ds_read_b32 v6, v6
	s_add_i32 s14, s14, -1
	s_add_i32 s12, s12, -4
	v_add_u32_e32 v2, 0xffffffa0, v2
	s_cmp_gt_i32 s14, s8
	s_waitcnt lgkmcnt(0)
	v_fma_f32 v4, -v5, v6, v4
	s_cbranch_scc1 .LBB28_28
.LBB28_29:                              ;   in Loop: Header=BB28_27 Depth=1
	s_mul_i32 s12, s8, 0x64
	v_mov_b32_e32 v2, s12
	ds_read_b32 v6, v2
	s_addk_i32 s13, 0xffa0
	v_add_u32_e32 v2, s13, v21
	ds_read_b32 v5, v2
	s_cmp_le_i32 s16, s8
	s_waitcnt lgkmcnt(1)
	v_mul_f32_e32 v4, v4, v6
	ds_write_b32 v3, v4
	v_mov_b32_e32 v3, v1
	s_mov_b32 s13, s11
	s_mov_b32 s14, s16
	s_cbranch_scc1 .LBB28_26
.LBB28_30:                              ;   Parent Loop BB28_27 Depth=1
                                        ; =>  This Inner Loop Header: Depth=2
	v_mov_b32_e32 v6, s13
	ds_read_b32 v4, v3
	ds_read_b32 v6, v6
	s_add_i32 s14, s14, -1
	s_add_i32 s13, s13, -4
	v_add_u32_e32 v3, 0xffffffa0, v3
	s_cmp_gt_i32 s14, s8
	s_waitcnt lgkmcnt(0)
	v_fma_f32 v5, -v4, v6, v5
	s_cbranch_scc1 .LBB28_30
	s_branch .LBB28_26
.LBB28_31:
	s_mov_b64 s[4:5], 0
.LBB28_32:
	s_and_b64 vcc, exec, s[4:5]
	s_cbranch_vccz .LBB28_46
; %bb.33:
	s_cmp_gt_i32 s10, 23
	s_cselect_b64 s[4:5], -1, 0
	s_and_b64 vcc, exec, s[4:5]
	s_cbranch_vccz .LBB28_35
; %bb.34:
	v_add_u32_e32 v44, 0x200, v21
	v_add_u32_e32 v18, 0x400, v21
	v_mov_b32_e32 v10, 0
	ds_read2_b32 v[11:12], v21 offset1:24
	ds_read2_b32 v[16:17], v21 offset0:48 offset1:72
	ds_read2_b32 v[19:20], v21 offset0:96 offset1:120
	;; [unrolled: 1-line block ×10, first 2 shown]
	ds_read_b128 v[1:4], v10
	ds_read2_b32 v[22:23], v10 offset0:27 offset1:28
	ds_read2_b32 v[24:25], v10 offset0:75 offset1:76
	v_add_u32_e32 v9, 0x800, v21
	ds_read2_b32 v[5:6], v9 offset0:16 offset1:40
	s_waitcnt lgkmcnt(3)
	v_mul_f32_e32 v11, v11, v1
	v_fma_f32 v12, -v11, v2, v12
	ds_read2_b32 v[1:2], v10 offset0:25 offset1:26
	s_movk_i32 s8, 0x400
	ds_read2_b64 v[26:29], v10 offset0:27 offset1:28
	s_waitcnt lgkmcnt(1)
	v_mul_f32_e32 v12, v12, v1
	v_fma_f32 v1, -v11, v3, v16
	ds_read2_b64 v[13:16], v10 offset0:25 offset1:26
	v_fma_f32 v1, -v12, v2, v1
	ds_write2_b32 v21, v11, v12 offset1:24
	s_waitcnt lgkmcnt(1)
	v_mul_f32_e32 v13, v1, v13
	v_fma_f32 v1, -v11, v4, v17
	v_fma_f32 v1, -v12, v22, v1
	;; [unrolled: 1-line block ×3, first 2 shown]
	v_mul_f32_e32 v14, v1, v24
	ds_read_b128 v[1:4], v10 offset:16
	ds_write2_b32 v21, v13, v14 offset0:48 offset1:72
	s_waitcnt lgkmcnt(1)
	v_fma_f32 v1, -v11, v1, v19
	v_fma_f32 v1, -v12, v23, v1
	v_fma_f32 v1, -v13, v15, v1
	v_fma_f32 v1, -v14, v25, v1
	ds_read_b128 v[22:25], v10 offset:400
	v_fma_f32 v17, -v11, v2, v20
	ds_read2_b32 v[19:20], v10 offset0:125 offset1:126
	s_waitcnt lgkmcnt(1)
	v_mul_f32_e32 v15, v1, v22
	ds_read2_b32 v[1:2], v10 offset0:29 offset1:30
	s_waitcnt lgkmcnt(0)
	v_fma_f32 v1, -v12, v1, v17
	v_fma_f32 v1, -v13, v16, v1
	ds_read2_b32 v[16:17], v10 offset0:77 offset1:78
	s_waitcnt lgkmcnt(0)
	v_fma_f32 v1, -v14, v16, v1
	v_fma_f32 v1, -v15, v23, v1
	v_mul_f32_e32 v16, v1, v19
	v_fma_f32 v1, -v11, v3, v33
	v_fma_f32 v1, -v12, v2, v1
	;; [unrolled: 1-line block ×5, first 2 shown]
	ds_read2_b64 v[30:33], v10 offset0:75 offset1:76
	v_fma_f32 v1, -v16, v20, v1
	ds_read2_b32 v[19:20], v10 offset0:31 offset1:32
	ds_read2_b32 v[22:23], v10 offset0:79 offset1:80
	ds_write2_b32 v21, v15, v16 offset0:96 offset1:120
	s_waitcnt lgkmcnt(3)
	v_mul_f32_e32 v17, v1, v30
	v_fma_f32 v1, -v11, v4, v34
	s_waitcnt lgkmcnt(2)
	v_fma_f32 v1, -v12, v19, v1
	v_fma_f32 v1, -v13, v27, v1
	s_waitcnt lgkmcnt(1)
	v_fma_f32 v1, -v14, v22, v1
	v_fma_f32 v1, -v15, v25, v1
	ds_read2_b32 v[25:26], v10 offset0:127 offset1:128
	s_waitcnt lgkmcnt(0)
	v_fma_f32 v1, -v16, v25, v1
	v_fma_f32 v1, -v17, v31, v1
	ds_read2_b32 v[30:31], v10 offset0:175 offset1:176
	s_waitcnt lgkmcnt(0)
	v_mul_f32_e32 v19, v1, v30
	ds_read_b128 v[1:4], v10 offset:32
	ds_write2_b32 v21, v17, v19 offset0:144 offset1:168
	s_waitcnt lgkmcnt(1)
	v_fma_f32 v1, -v11, v1, v37
	v_fma_f32 v1, -v12, v20, v1
	;; [unrolled: 1-line block ×4, first 2 shown]
	ds_read_b128 v[22:25], v10 offset:416
	ds_read_b128 v[34:37], v10 offset:800
	s_waitcnt lgkmcnt(1)
	v_fma_f32 v1, -v15, v22, v1
	v_fma_f32 v1, -v16, v26, v1
	;; [unrolled: 1-line block ×4, first 2 shown]
	s_waitcnt lgkmcnt(0)
	v_mul_f32_e32 v20, v1, v34
	v_fma_f32 v22, -v11, v2, v38
	ds_read2_b32 v[1:2], v10 offset0:33 offset1:34
	ds_read2_b32 v[38:39], v10 offset0:225 offset1:226
	s_waitcnt lgkmcnt(1)
	v_fma_f32 v1, -v12, v1, v22
	v_fma_f32 v1, -v13, v29, v1
	ds_read2_b32 v[29:30], v10 offset0:81 offset1:82
	s_waitcnt lgkmcnt(0)
	v_fma_f32 v1, -v14, v29, v1
	v_fma_f32 v1, -v15, v23, v1
	ds_read2_b32 v[22:23], v10 offset0:129 offset1:130
	ds_read2_b64 v[26:29], v10 offset0:29 offset1:30
	s_waitcnt lgkmcnt(1)
	v_fma_f32 v1, -v16, v22, v1
	v_fma_f32 v1, -v17, v33, v1
	ds_read2_b32 v[33:34], v10 offset0:177 offset1:178
	s_waitcnt lgkmcnt(0)
	v_fma_f32 v1, -v19, v33, v1
	v_fma_f32 v1, -v20, v35, v1
	v_mul_f32_e32 v22, v1, v38
	v_fma_f32 v1, -v11, v3, v41
	v_fma_f32 v1, -v12, v2, v1
	;; [unrolled: 1-line block ×4, first 2 shown]
	ds_read2_b64 v[30:33], v10 offset0:77 offset1:78
	v_fma_f32 v1, -v15, v24, v1
	v_fma_f32 v1, -v16, v23, v1
	v_mov_b32_e32 v2, 0x44c
	ds_write2_b32 v21, v20, v22 offset0:192 offset1:216
	s_waitcnt lgkmcnt(1)
	v_fma_f32 v1, -v17, v30, v1
	v_fma_f32 v1, -v19, v34, v1
	v_fma_f32 v1, -v20, v36, v1
	v_fma_f32 v1, -v22, v39, v1
	ds_read2_b64 v[38:41], v10 offset0:125 offset1:126
	ds_read2_b32 v[34:35], v10 offset0:35 offset1:36
	s_waitcnt lgkmcnt(1)
	v_mul_f32_e32 v23, v1, v38
	v_fma_f32 v1, -v11, v4, v42
	ds_read2_b32 v[42:43], v10 offset0:131 offset1:132
	ds_read2_b32 v[47:48], v2 offset1:1
	s_waitcnt lgkmcnt(2)
	v_fma_f32 v1, -v12, v34, v1
	v_fma_f32 v1, -v13, v27, v1
	ds_read2_b32 v[26:27], v10 offset0:83 offset1:84
	s_waitcnt lgkmcnt(0)
	v_fma_f32 v1, -v14, v26, v1
	v_fma_f32 v1, -v15, v25, v1
	;; [unrolled: 1-line block ×4, first 2 shown]
	ds_read2_b32 v[30:31], v10 offset0:179 offset1:180
	s_waitcnt lgkmcnt(0)
	v_fma_f32 v1, -v19, v30, v1
	v_fma_f32 v1, -v20, v37, v1
	ds_read2_b32 v[37:38], v10 offset0:227 offset1:228
	s_waitcnt lgkmcnt(0)
	v_fma_f32 v1, -v22, v37, v1
	v_fma_f32 v1, -v23, v39, v1
	v_mul_f32_e32 v24, v1, v47
	ds_read_b128 v[1:4], v10 offset:48
	ds_write2_b32 v44, v23, v24 offset0:112 offset1:136
	s_waitcnt lgkmcnt(1)
	v_fma_f32 v1, -v11, v1, v45
	v_fma_f32 v1, -v12, v35, v1
	;; [unrolled: 1-line block ×4, first 2 shown]
	ds_read_b128 v[25:28], v10 offset:432
	ds_read_b128 v[34:37], v10 offset:816
	v_fma_f32 v30, -v11, v2, v46
	ds_read2_b32 v[46:47], v10 offset0:133 offset1:134
	s_waitcnt lgkmcnt(2)
	v_fma_f32 v1, -v15, v25, v1
	v_fma_f32 v1, -v16, v43, v1
	;; [unrolled: 1-line block ×4, first 2 shown]
	ds_read_b128 v[42:45], v10 offset:1200
	s_waitcnt lgkmcnt(2)
	v_fma_f32 v1, -v20, v34, v1
	v_fma_f32 v1, -v22, v38, v1
	;; [unrolled: 1-line block ×4, first 2 shown]
	s_waitcnt lgkmcnt(0)
	v_mul_f32_e32 v25, v1, v42
	ds_read2_b32 v[1:2], v10 offset0:37 offset1:38
	ds_read2_b32 v[38:39], v10 offset0:85 offset1:86
	s_waitcnt lgkmcnt(1)
	v_fma_f32 v1, -v12, v1, v30
	v_fma_f32 v1, -v13, v29, v1
	s_waitcnt lgkmcnt(0)
	v_fma_f32 v1, -v14, v38, v1
	v_fma_f32 v1, -v15, v26, v1
	;; [unrolled: 1-line block ×4, first 2 shown]
	ds_read2_b32 v[32:33], v10 offset0:181 offset1:182
	v_mov_b32_e32 v26, 0x454
	s_waitcnt lgkmcnt(0)
	v_fma_f32 v1, -v19, v32, v1
	v_fma_f32 v1, -v20, v35, v1
	ds_read2_b32 v[34:35], v10 offset0:229 offset1:230
	ds_read2_b64 v[29:32], v10 offset0:31 offset1:32
	s_waitcnt lgkmcnt(1)
	v_fma_f32 v1, -v22, v34, v1
	v_fma_f32 v1, -v23, v41, v1
	ds_read2_b32 v[41:42], v26 offset1:1
	v_mov_b32_e32 v26, 0x514
	ds_read2_b32 v[51:52], v26 offset1:1
	s_waitcnt lgkmcnt(1)
	v_fma_f32 v1, -v24, v41, v1
	v_fma_f32 v1, -v25, v43, v1
	s_waitcnt lgkmcnt(0)
	v_mul_f32_e32 v26, v1, v51
	v_fma_f32 v1, -v11, v3, v49
	v_fma_f32 v1, -v12, v2, v1
	v_fma_f32 v1, -v13, v29, v1
	v_fma_f32 v1, -v14, v39, v1
	ds_read2_b64 v[38:41], v10 offset0:79 offset1:80
	v_fma_f32 v1, -v15, v27, v1
	v_fma_f32 v1, -v16, v47, v1
	ds_read2_b64 v[46:49], v10 offset0:175 offset1:176
	v_mov_b32_e32 v2, 0x45c
	s_waitcnt lgkmcnt(1)
	v_fma_f32 v1, -v17, v38, v1
	v_fma_f32 v1, -v19, v33, v1
	;; [unrolled: 1-line block ×4, first 2 shown]
	ds_read2_b64 v[33:36], v10 offset0:127 offset1:128
	ds_write2_b32 v18, v25, v26 offset0:32 offset1:56
	s_waitcnt lgkmcnt(1)
	v_fma_f32 v1, -v23, v33, v1
	v_fma_f32 v1, -v24, v42, v1
	ds_read2_b32 v[42:43], v10 offset0:39 offset1:40
	v_fma_f32 v1, -v25, v44, v1
	v_fma_f32 v1, -v26, v52, v1
	v_mul_f32_e32 v27, v1, v46
	v_fma_f32 v1, -v11, v4, v50
	ds_read2_b32 v[50:51], v10 offset0:231 offset1:232
	s_waitcnt lgkmcnt(1)
	v_fma_f32 v1, -v12, v42, v1
	v_fma_f32 v1, -v13, v30, v1
	ds_read2_b32 v[29:30], v10 offset0:87 offset1:88
	s_waitcnt lgkmcnt(0)
	v_fma_f32 v1, -v14, v29, v1
	;; [unrolled: 4-line block ×4, first 2 shown]
	v_fma_f32 v1, -v20, v37, v1
	v_fma_f32 v1, -v22, v50, v1
	;; [unrolled: 1-line block ×3, first 2 shown]
	ds_read2_b32 v[33:34], v2 offset1:1
	v_mov_b32_e32 v2, 0x51c
	s_waitcnt lgkmcnt(0)
	v_fma_f32 v1, -v24, v33, v1
	v_fma_f32 v1, -v25, v45, v1
	ds_read2_b32 v[45:46], v2 offset1:1
	v_mov_b32_e32 v2, 0x5dc
	ds_read2_b32 v[53:54], v2 offset1:1
	s_waitcnt lgkmcnt(1)
	v_fma_f32 v1, -v26, v45, v1
	v_fma_f32 v1, -v27, v47, v1
	s_waitcnt lgkmcnt(0)
	v_mul_f32_e32 v28, v1, v53
	ds_read_b128 v[1:4], v10 offset:64
	ds_write2_b32 v18, v27, v28 offset0:80 offset1:104
	s_waitcnt lgkmcnt(1)
	v_fma_f32 v1, -v11, v1, v57
	v_fma_f32 v1, -v12, v43, v1
	ds_read_b128 v[42:45], v10 offset:448
	v_fma_f32 v1, -v13, v31, v1
	v_fma_f32 v1, -v14, v30, v1
	;; [unrolled: 1-line block ×3, first 2 shown]
	s_waitcnt lgkmcnt(0)
	v_fma_f32 v1, -v15, v42, v1
	v_fma_f32 v1, -v16, v29, v1
	;; [unrolled: 1-line block ×4, first 2 shown]
	ds_read_b128 v[37:40], v10 offset:832
	s_waitcnt lgkmcnt(0)
	v_fma_f32 v1, -v20, v37, v1
	v_fma_f32 v1, -v22, v51, v1
	ds_read_b128 v[50:53], v10 offset:1216
	v_fma_f32 v1, -v23, v35, v1
	v_fma_f32 v1, -v24, v34, v1
	ds_read2_b32 v[34:35], v10 offset0:89 offset1:90
	s_waitcnt lgkmcnt(1)
	v_fma_f32 v1, -v25, v50, v1
	v_fma_f32 v1, -v26, v46, v1
	;; [unrolled: 1-line block ×4, first 2 shown]
	ds_read_b128 v[54:57], v10 offset:1600
	ds_read2_b32 v[46:47], v10 offset0:233 offset1:234
	s_waitcnt lgkmcnt(1)
	v_mul_f32_e32 v29, v1, v54
	ds_read2_b32 v[1:2], v10 offset0:41 offset1:42
	s_waitcnt lgkmcnt(0)
	v_fma_f32 v1, -v12, v1, v30
	v_fma_f32 v1, -v13, v32, v1
	;; [unrolled: 1-line block ×4, first 2 shown]
	ds_read2_b32 v[42:43], v10 offset0:137 offset1:138
	ds_read2_b64 v[31:34], v10 offset0:33 offset1:34
	v_mov_b32_e32 v30, 0x464
	ds_read2_b32 v[58:59], v30 offset1:1
	v_mov_b32_e32 v30, 0x524
	s_waitcnt lgkmcnt(2)
	v_fma_f32 v1, -v16, v42, v1
	v_fma_f32 v1, -v17, v41, v1
	ds_read2_b32 v[41:42], v10 offset0:185 offset1:186
	s_waitcnt lgkmcnt(0)
	v_fma_f32 v1, -v19, v41, v1
	v_fma_f32 v1, -v20, v38, v1
	;; [unrolled: 1-line block ×6, first 2 shown]
	ds_read2_b32 v[50:51], v30 offset1:1
	v_mov_b32_e32 v30, 0x5e4
	s_waitcnt lgkmcnt(0)
	v_fma_f32 v1, -v26, v50, v1
	v_fma_f32 v1, -v27, v49, v1
	ds_read2_b32 v[49:50], v30 offset1:1
	v_mov_b32_e32 v30, 0x6a4
	s_waitcnt lgkmcnt(0)
	v_fma_f32 v1, -v28, v49, v1
	v_fma_f32 v1, -v29, v55, v1
	ds_read2_b32 v[54:55], v30 offset1:1
	s_waitcnt lgkmcnt(0)
	v_mul_f32_e32 v30, v1, v54
	v_fma_f32 v1, -v11, v3, v61
	v_fma_f32 v1, -v12, v2, v1
	;; [unrolled: 1-line block ×4, first 2 shown]
	ds_read2_b64 v[35:38], v10 offset0:81 offset1:82
	v_fma_f32 v1, -v15, v44, v1
	v_fma_f32 v1, -v16, v43, v1
	v_mov_b32_e32 v2, 0x46c
	ds_write2_b32 v18, v29, v30 offset0:128 offset1:152
	s_waitcnt lgkmcnt(1)
	v_fma_f32 v1, -v17, v35, v1
	v_fma_f32 v1, -v19, v42, v1
	ds_read2_b64 v[41:44], v10 offset0:129 offset1:130
	v_fma_f32 v1, -v20, v39, v1
	v_fma_f32 v1, -v22, v47, v1
	ds_read2_b64 v[46:49], v10 offset0:177 offset1:178
	s_waitcnt lgkmcnt(1)
	v_fma_f32 v1, -v23, v41, v1
	v_fma_f32 v1, -v24, v59, v1
	;; [unrolled: 1-line block ×4, first 2 shown]
	s_waitcnt lgkmcnt(0)
	v_fma_f32 v1, -v27, v46, v1
	ds_read2_b64 v[58:61], v10 offset0:225 offset1:226
	v_fma_f32 v1, -v28, v50, v1
	ds_read2_b32 v[50:51], v10 offset0:43 offset1:44
	v_fma_f32 v1, -v29, v56, v1
	v_fma_f32 v1, -v30, v55, v1
	ds_read2_b32 v[54:55], v10 offset0:91 offset1:92
	s_waitcnt lgkmcnt(2)
	v_mul_f32_e32 v31, v1, v58
	v_fma_f32 v1, -v11, v4, v62
	ds_read2_b32 v[62:63], v10 offset0:235 offset1:236
	ds_read2_b32 v[64:65], v2 offset1:1
	s_waitcnt lgkmcnt(3)
	v_fma_f32 v1, -v12, v50, v1
	v_fma_f32 v1, -v13, v32, v1
	v_mov_b32_e32 v2, 0x52c
	ds_read2_b32 v[66:67], v2 offset1:1
	s_waitcnt lgkmcnt(3)
	v_fma_f32 v1, -v14, v54, v1
	v_fma_f32 v1, -v15, v45, v1
	ds_read2_b32 v[45:46], v10 offset0:139 offset1:140
	v_mov_b32_e32 v2, 0x5ec
	ds_read2_b32 v[68:69], v2 offset1:1
	s_waitcnt lgkmcnt(1)
	v_fma_f32 v1, -v16, v45, v1
	v_fma_f32 v1, -v17, v36, v1
	ds_read2_b32 v[35:36], v10 offset0:187 offset1:188
	s_waitcnt lgkmcnt(0)
	v_fma_f32 v1, -v19, v35, v1
	v_fma_f32 v1, -v20, v40, v1
	;; [unrolled: 1-line block ×8, first 2 shown]
	ds_read_b128 v[39:42], v10 offset:464
	v_fma_f32 v1, -v28, v68, v1
	v_mov_b32_e32 v2, 0x6ac
	v_fma_f32 v1, -v29, v57, v1
	ds_read2_b32 v[57:58], v2 offset1:1
	v_mov_b32_e32 v2, 0x76c
	ds_read2_b32 v[70:71], v2 offset1:1
	s_waitcnt lgkmcnt(1)
	v_fma_f32 v1, -v30, v57, v1
	v_fma_f32 v1, -v31, v59, v1
	s_waitcnt lgkmcnt(0)
	v_mul_f32_e32 v32, v1, v70
	ds_read_b128 v[1:4], v10 offset:80
	ds_write2_b32 v18, v31, v32 offset0:176 offset1:200
	s_waitcnt lgkmcnt(1)
	v_fma_f32 v1, -v11, v1, v7
	v_fma_f32 v1, -v12, v51, v1
	;; [unrolled: 1-line block ×4, first 2 shown]
	ds_read_b128 v[50:53], v10 offset:848
	ds_read_b128 v[54:57], v10 offset:1232
	v_fma_f32 v1, -v15, v39, v1
	v_fma_f32 v1, -v16, v46, v1
	;; [unrolled: 1-line block ×4, first 2 shown]
	s_waitcnt lgkmcnt(1)
	v_fma_f32 v1, -v20, v50, v1
	v_fma_f32 v1, -v22, v63, v1
	;; [unrolled: 1-line block ×4, first 2 shown]
	s_waitcnt lgkmcnt(0)
	v_fma_f32 v1, -v25, v54, v1
	v_fma_f32 v1, -v26, v67, v1
	;; [unrolled: 1-line block ×3, first 2 shown]
	ds_read_b128 v[45:48], v10 offset:1616
	ds_read_b128 v[62:65], v10 offset:2000
	v_fma_f32 v1, -v28, v69, v1
	v_fma_f32 v7, -v11, v2, v8
	ds_read2_b32 v[35:36], v10 offset0:189 offset1:190
	s_waitcnt lgkmcnt(2)
	v_fma_f32 v1, -v29, v45, v1
	v_fma_f32 v1, -v30, v58, v1
	;; [unrolled: 1-line block ×4, first 2 shown]
	s_waitcnt lgkmcnt(1)
	v_mul_f32_e32 v60, v1, v62
	ds_read2_b32 v[1:2], v10 offset0:45 offset1:46
	s_waitcnt lgkmcnt(0)
	v_fma_f32 v1, -v12, v1, v7
	ds_read2_b32 v[7:8], v10 offset0:93 offset1:94
	v_fma_f32 v1, -v13, v34, v1
	ds_read2_b32 v[33:34], v10 offset0:141 offset1:142
	s_waitcnt lgkmcnt(1)
	v_fma_f32 v1, -v14, v7, v1
	v_fma_f32 v1, -v15, v40, v1
	v_mov_b32_e32 v7, 0x474
	ds_read2_b32 v[39:40], v7 offset1:1
	s_waitcnt lgkmcnt(1)
	v_fma_f32 v1, -v16, v33, v1
	v_fma_f32 v1, -v17, v38, v1
	ds_read2_b32 v[37:38], v10 offset0:237 offset1:238
	v_fma_f32 v1, -v19, v35, v1
	v_fma_f32 v1, -v20, v51, v1
	v_mov_b32_e32 v7, 0x534
	s_waitcnt lgkmcnt(0)
	v_fma_f32 v1, -v22, v37, v1
	v_fma_f32 v1, -v23, v44, v1
	ds_read2_b32 v[43:44], v7 offset1:1
	v_fma_f32 v1, -v24, v39, v1
	v_fma_f32 v1, -v25, v55, v1
	v_mov_b32_e32 v7, 0x5f4
	s_waitcnt lgkmcnt(0)
	v_fma_f32 v1, -v26, v43, v1
	v_fma_f32 v1, -v27, v49, v1
	ds_read2_b32 v[49:50], v7 offset1:1
	v_mov_b32_e32 v7, 0x6b4
	s_waitcnt lgkmcnt(0)
	v_fma_f32 v1, -v28, v49, v1
	v_fma_f32 v1, -v29, v46, v1
	ds_read2_b32 v[45:46], v7 offset1:1
	v_mov_b32_e32 v7, 0x774
	ds_read2_b32 v[54:55], v7 offset1:1
	v_mov_b32_e32 v7, 0x834
	ds_read2_b32 v[58:59], v7 offset1:1
	s_waitcnt lgkmcnt(2)
	v_fma_f32 v1, -v30, v45, v1
	v_fma_f32 v1, -v31, v61, v1
	s_waitcnt lgkmcnt(1)
	v_fma_f32 v1, -v32, v54, v1
	v_fma_f32 v1, -v60, v63, v1
	s_waitcnt lgkmcnt(0)
	v_mul_f32_e32 v43, v1, v58
	v_fma_f32 v1, -v11, v3, v5
	v_fma_f32 v3, -v12, v2, v1
	ds_read_b64 v[1:2], v10 offset:280
	v_add_u32_e64 v5, s8, 0
	s_movk_i32 s8, 0x600
	ds_write2_b32 v18, v60, v43 offset0:224 offset1:248
	s_waitcnt lgkmcnt(1)
	v_fma_f32 v1, -v13, v1, v3
	v_fma_f32 v1, -v14, v8, v1
	ds_read_b64 v[7:8], v10 offset:664
	v_fma_f32 v1, -v15, v41, v1
	v_fma_f32 v1, -v16, v34, v1
	ds_read_b64 v[33:34], v10 offset:1048
	s_waitcnt lgkmcnt(1)
	v_fma_f32 v1, -v17, v7, v1
	v_fma_f32 v1, -v19, v36, v1
	;; [unrolled: 1-line block ×4, first 2 shown]
	ds_read_b64 v[35:36], v10 offset:1432
	ds_read_b64 v[37:38], v10 offset:1816
	s_waitcnt lgkmcnt(2)
	v_fma_f32 v1, -v23, v33, v1
	v_fma_f32 v1, -v24, v40, v1
	;; [unrolled: 1-line block ×4, first 2 shown]
	ds_read_b64 v[39:40], v10 offset:2200
	s_waitcnt lgkmcnt(2)
	v_fma_f32 v1, -v27, v35, v1
	v_fma_f32 v1, -v28, v50, v1
	;; [unrolled: 1-line block ×4, first 2 shown]
	s_waitcnt lgkmcnt(1)
	v_fma_f32 v1, -v31, v37, v1
	v_fma_f32 v1, -v32, v55, v1
	;; [unrolled: 1-line block ×4, first 2 shown]
	s_waitcnt lgkmcnt(0)
	v_mul_f32_e32 v3, v1, v39
	v_fma_f32 v1, -v11, v4, v6
	ds_read_b32 v4, v10 offset:188
	s_waitcnt lgkmcnt(0)
	v_fma_f32 v1, -v12, v4, v1
	v_fma_f32 v4, -v13, v2, v1
	ds_read2_b32 v[1:2], v10 offset0:95 offset1:143
	s_waitcnt lgkmcnt(0)
	v_fma_f32 v1, -v14, v1, v4
	v_fma_f32 v1, -v15, v42, v1
	v_fma_f32 v1, -v16, v2, v1
	v_fma_f32 v4, -v17, v8, v1
	ds_read2_b32 v[1:2], v10 offset0:191 offset1:239
	s_waitcnt lgkmcnt(0)
	v_fma_f32 v1, -v19, v1, v4
	v_fma_f32 v1, -v20, v53, v1
	;; [unrolled: 6-line block ×4, first 2 shown]
	v_fma_f32 v1, -v30, v2, v1
	v_fma_f32 v4, -v31, v38, v1
	v_add_u32_e64 v1, s8, 0
	ds_read2_b32 v[1:2], v1 offset0:95 offset1:143
	s_mov_b32 s8, 24
	s_waitcnt lgkmcnt(0)
	v_fma_f32 v1, -v32, v1, v4
	v_fma_f32 v1, -v60, v65, v1
	;; [unrolled: 1-line block ×3, first 2 shown]
	ds_read_b32 v2, v10 offset:2300
	v_fma_f32 v1, -v3, v40, v1
	s_waitcnt lgkmcnt(0)
	v_mul_f32_e32 v1, v1, v2
	ds_write2_b32 v9, v3, v1 offset0:16 offset1:40
	s_cmp_lt_i32 s8, s16
	s_cbranch_scc1 .LBB28_36
	s_branch .LBB28_46
.LBB28_35:
	s_mov_b32 s8, 0
	s_cmp_lt_i32 s8, s16
	s_cbranch_scc0 .LBB28_46
.LBB28_36:
	s_add_i32 s10, s8, 19
	s_cmp_ge_u32 s10, s16
	s_cbranch_scc1 .LBB28_41
; %bb.37:
	s_mul_i32 s11, s8, 0x60
	v_add_u32_e32 v22, s11, v21
	v_add_u32_e32 v1, 0x200, v22
	ds_read2_b32 v[19:20], v22 offset1:24
	ds_read2_b32 v[17:18], v22 offset0:48 offset1:72
	ds_read2_b32 v[15:16], v22 offset0:96 offset1:120
	;; [unrolled: 1-line block ×5, first 2 shown]
	v_add_u32_e32 v1, 0x400, v22
	ds_read2_b32 v[7:8], v1 offset0:32 offset1:56
	ds_read2_b32 v[5:6], v1 offset0:80 offset1:104
	;; [unrolled: 1-line block ×4, first 2 shown]
	s_andn2_b64 vcc, exec, s[4:5]
	s_lshl_b32 s4, s8, 2
	s_cbranch_vccnz .LBB28_40
; %bb.38:
	v_mov_b32_e32 v23, 0x900
	v_lshl_or_b32 v23, v0, 2, v23
	s_mov_b32 s5, s4
	s_mov_b32 s12, s8
.LBB28_39:                              ; =>This Inner Loop Header: Depth=1
	v_mov_b32_e32 v40, s5
	ds_read_b32 v44, v23
	ds_read_b128 v[24:27], v40
	ds_read_b128 v[28:31], v40 offset:16
	ds_read_b128 v[32:35], v40 offset:32
	;; [unrolled: 1-line block ×4, first 2 shown]
	s_add_i32 s12, s12, -1
	s_addk_i32 s5, 0x60
	v_add_u32_e32 v23, 0x60, v23
	s_cmp_lg_u32 s12, 0
	s_waitcnt lgkmcnt(4)
	v_fma_f32 v19, -v44, v24, v19
	v_fma_f32 v20, -v44, v25, v20
	v_fma_f32 v17, -v44, v26, v17
	v_fma_f32 v18, -v44, v27, v18
	s_waitcnt lgkmcnt(3)
	v_fma_f32 v15, -v44, v28, v15
	v_fma_f32 v16, -v44, v29, v16
	v_fma_f32 v13, -v44, v30, v13
	v_fma_f32 v14, -v44, v31, v14
	;; [unrolled: 5-line block ×5, first 2 shown]
	s_cbranch_scc1 .LBB28_39
.LBB28_40:
	s_add_i32 s5, s4, s11
	v_mov_b32_e32 v30, s5
	ds_read_b128 v[23:26], v30
	ds_read_b128 v[31:34], v30 offset:16
	s_add_i32 s12, s11, 0x60
	s_add_i32 s13, s11, 0xc0
	;; [unrolled: 1-line block ×3, first 2 shown]
	s_waitcnt lgkmcnt(1)
	v_mul_f32_e32 v29, v19, v23
	v_fma_f32 v23, -v29, v24, v20
	ds_read2_b32 v[19:20], v30 offset0:25 offset1:26
	ds_read2_b64 v[35:38], v30 offset0:25 offset1:26
	v_fma_f32 v17, -v29, v25, v17
	s_waitcnt lgkmcnt(2)
	v_fma_f32 v15, -v29, v31, v15
	v_fma_f32 v13, -v29, v33, v13
	s_waitcnt lgkmcnt(1)
	v_mul_f32_e32 v19, v23, v19
	v_fma_f32 v17, -v19, v20, v17
	v_add_u32_e32 v23, s12, v21
	s_add_i32 s12, s4, s12
	s_waitcnt lgkmcnt(0)
	v_mul_f32_e32 v20, v17, v35
	v_add_u32_e32 v17, s13, v21
	ds_write_b32 v17, v20
	v_fma_f32 v17, -v29, v26, v18
	v_mov_b32_e32 v18, s12
	ds_write_b32 v23, v19
	ds_read2_b32 v[23:24], v18 offset0:3 offset1:4
	ds_read2_b32 v[25:26], v30 offset0:75 offset1:76
	s_add_i32 s12, s4, s13
	s_add_i32 s13, s11, 0x120
	ds_write_b32 v22, v29
	s_waitcnt lgkmcnt(2)
	v_fma_f32 v17, -v19, v23, v17
	v_fma_f32 v17, -v20, v36, v17
	;; [unrolled: 1-line block ×3, first 2 shown]
	s_waitcnt lgkmcnt(1)
	v_mul_f32_e32 v17, v17, v25
	v_fma_f32 v15, -v20, v37, v15
	v_fma_f32 v15, -v17, v26, v15
	ds_read_b128 v[24:27], v30 offset:400
	v_add_u32_e32 v23, s13, v21
	ds_write_b32 v23, v17
	s_add_i32 s13, s4, s13
	s_waitcnt lgkmcnt(1)
	v_mul_f32_e32 v23, v15, v24
	v_add_u32_e32 v15, s14, v21
	ds_write_b32 v15, v23
	v_fma_f32 v15, -v29, v32, v16
	ds_read2_b32 v[31:32], v18 offset0:5 offset1:6
	v_mov_b32_e32 v16, s13
	s_add_i32 s13, s4, s14
	s_add_i32 s14, s11, 0x1e0
	v_mov_b32_e32 v65, s13
	s_waitcnt lgkmcnt(0)
	v_fma_f32 v15, -v19, v31, v15
	v_fma_f32 v15, -v20, v38, v15
	ds_read2_b32 v[38:39], v16 offset0:5 offset1:6
	v_mov_b32_e32 v31, s12
	s_add_i32 s12, s4, s14
	v_mov_b32_e32 v28, s12
	ds_read2_b32 v[46:47], v28 offset0:7 offset1:8
	s_waitcnt lgkmcnt(1)
	v_fma_f32 v15, -v17, v38, v15
	ds_read2_b64 v[35:38], v31 offset0:3 offset1:4
	v_fma_f32 v15, -v23, v25, v15
	ds_read2_b32 v[24:25], v30 offset0:125 offset1:126
	v_fma_f32 v13, -v19, v32, v13
	s_waitcnt lgkmcnt(1)
	v_fma_f32 v13, -v20, v35, v13
	v_fma_f32 v13, -v17, v39, v13
	ds_read2_b64 v[39:42], v30 offset0:75 offset1:76
	s_waitcnt lgkmcnt(1)
	v_mul_f32_e32 v24, v15, v24
	v_fma_f32 v13, -v23, v26, v13
	v_add_u32_e32 v15, s14, v21
	v_fma_f32 v13, -v24, v25, v13
	s_add_i32 s14, s11, 0x240
	s_waitcnt lgkmcnt(0)
	v_mul_f32_e32 v26, v13, v39
	v_add_u32_e32 v13, s14, v21
	ds_write_b32 v15, v24
	ds_write_b32 v13, v26
	v_fma_f32 v15, -v29, v34, v14
	ds_read2_b32 v[13:14], v18 offset0:7 offset1:8
	s_add_i32 s12, s4, s14
	s_add_i32 s14, s11, 0x2a0
	;; [unrolled: 1-line block ×3, first 2 shown]
	v_mov_b32_e32 v67, s12
	s_waitcnt lgkmcnt(0)
	v_fma_f32 v13, -v19, v13, v15
	v_fma_f32 v13, -v20, v36, v13
	ds_read2_b32 v[35:36], v16 offset0:7 offset1:8
	v_add_u32_e32 v15, s14, v21
	s_add_i32 s14, s11, 0x300
	s_waitcnt lgkmcnt(0)
	v_fma_f32 v13, -v17, v35, v13
	ds_read_b128 v[32:35], v30 offset:32
	v_fma_f32 v13, -v23, v27, v13
	v_fma_f32 v13, -v24, v46, v13
	ds_read_b128 v[43:46], v65 offset:32
	v_fma_f32 v13, -v26, v40, v13
	s_waitcnt lgkmcnt(1)
	v_fma_f32 v11, -v29, v32, v11
	ds_read2_b32 v[39:40], v30 offset0:175 offset1:176
	v_fma_f32 v11, -v19, v14, v11
	v_fma_f32 v11, -v20, v37, v11
	;; [unrolled: 1-line block ×3, first 2 shown]
	s_waitcnt lgkmcnt(1)
	v_fma_f32 v11, -v23, v43, v11
	v_fma_f32 v11, -v24, v47, v11
	ds_read_b128 v[47:50], v30 offset:800
	v_fma_f32 v12, -v29, v33, v12
	ds_read2_b32 v[32:33], v18 offset0:9 offset1:10
	s_waitcnt lgkmcnt(2)
	v_mul_f32_e32 v13, v13, v39
	v_fma_f32 v11, -v26, v41, v11
	v_fma_f32 v11, -v13, v40, v11
	ds_read2_b32 v[39:40], v16 offset0:9 offset1:10
	s_waitcnt lgkmcnt(2)
	v_mul_f32_e32 v11, v11, v47
	v_add_u32_e32 v14, s14, v21
	s_waitcnt lgkmcnt(1)
	v_fma_f32 v12, -v19, v32, v12
	ds_write_b32 v14, v11
	v_fma_f32 v12, -v20, v38, v12
	v_mov_b32_e32 v14, s13
	ds_read2_b32 v[51:52], v14 offset0:9 offset1:10
	s_waitcnt lgkmcnt(2)
	v_fma_f32 v12, -v17, v39, v12
	v_fma_f32 v12, -v23, v44, v12
	ds_read2_b32 v[43:44], v28 offset0:9 offset1:10
	ds_read2_b64 v[36:39], v31 offset0:5 offset1:6
	v_fma_f32 v9, -v29, v34, v9
	v_fma_f32 v9, -v19, v33, v9
	ds_write_b32 v15, v13
	s_waitcnt lgkmcnt(2)
	v_fma_f32 v12, -v24, v43, v12
	s_waitcnt lgkmcnt(1)
	v_fma_f32 v9, -v20, v36, v9
	v_fma_f32 v12, -v26, v42, v12
	;; [unrolled: 1-line block ×3, first 2 shown]
	ds_read2_b64 v[40:43], v67 offset0:5 offset1:6
	v_fma_f32 v12, -v13, v51, v12
	v_fma_f32 v9, -v23, v45, v9
	;; [unrolled: 1-line block ×3, first 2 shown]
	ds_read2_b32 v[47:48], v30 offset0:225 offset1:226
	v_fma_f32 v9, -v24, v44, v9
	s_waitcnt lgkmcnt(1)
	v_fma_f32 v9, -v26, v40, v9
	v_fma_f32 v9, -v13, v52, v9
	ds_read2_b64 v[51:54], v30 offset0:125 offset1:126
	s_add_i32 s13, s4, s14
	s_waitcnt lgkmcnt(1)
	v_mul_f32_e32 v15, v12, v47
	s_add_i32 s14, s11, 0x360
	v_fma_f32 v9, -v11, v49, v9
	v_add_u32_e32 v12, s14, v21
	s_add_i32 s12, s4, s14
	v_fma_f32 v9, -v15, v48, v9
	s_add_i32 s14, s11, 0x3c0
	s_waitcnt lgkmcnt(0)
	v_mul_f32_e32 v25, v9, v51
	v_add_u32_e32 v9, s14, v21
	ds_write_b32 v12, v15
	ds_write_b32 v9, v25
	v_fma_f32 v12, -v29, v35, v10
	ds_read2_b32 v[9:10], v18 offset0:11 offset1:12
	ds_read2_b32 v[47:48], v28 offset0:11 offset1:12
	;; [unrolled: 1-line block ×3, first 2 shown]
	v_mov_b32_e32 v27, s12
	ds_read2_b32 v[55:56], v27 offset0:11 offset1:12
	s_waitcnt lgkmcnt(3)
	v_fma_f32 v9, -v19, v9, v12
	v_fma_f32 v9, -v20, v37, v9
	s_waitcnt lgkmcnt(1)
	v_fma_f32 v9, -v17, v35, v9
	v_fma_f32 v9, -v23, v46, v9
	;; [unrolled: 1-line block ×4, first 2 shown]
	ds_read2_b32 v[40:41], v14 offset0:11 offset1:12
	ds_read_b128 v[32:35], v30 offset:48
	ds_read_b128 v[44:47], v65 offset:48
	s_add_i32 s12, s4, s14
	s_add_i32 s14, s5, 0x44c
	s_waitcnt lgkmcnt(2)
	v_fma_f32 v9, -v13, v40, v9
	v_fma_f32 v9, -v11, v50, v9
	v_fma_f32 v9, -v15, v55, v9
	v_mov_b32_e32 v12, s14
	v_fma_f32 v9, -v25, v52, v9
	ds_read2_b32 v[51:52], v12 offset1:1
	s_waitcnt lgkmcnt(2)
	v_fma_f32 v7, -v29, v32, v7
	v_fma_f32 v7, -v19, v10, v7
	;; [unrolled: 1-line block ×4, first 2 shown]
	s_waitcnt lgkmcnt(1)
	v_fma_f32 v7, -v23, v44, v7
	v_mov_b32_e32 v66, s13
	s_waitcnt lgkmcnt(0)
	v_mul_f32_e32 v9, v9, v51
	v_fma_f32 v7, -v24, v48, v7
	ds_read_b128 v[48:51], v66 offset:48
	v_fma_f32 v7, -v26, v42, v7
	v_fma_f32 v7, -v13, v41, v7
	s_add_i32 s14, s11, 0x420
	v_add_u32_e32 v12, s14, v21
	s_waitcnt lgkmcnt(0)
	v_fma_f32 v7, -v11, v48, v7
	v_fma_f32 v7, -v15, v56, v7
	ds_read_b128 v[55:58], v30 offset:1200
	v_fma_f32 v7, -v25, v53, v7
	s_add_i32 s13, s4, s14
	v_fma_f32 v7, -v9, v52, v7
	s_add_i32 s14, s11, 0x480
	s_waitcnt lgkmcnt(0)
	v_mul_f32_e32 v10, v7, v55
	v_add_u32_e32 v7, s14, v21
	ds_write_b32 v12, v9
	ds_write_b32 v7, v10
	v_fma_f32 v12, -v29, v33, v8
	ds_read2_b32 v[7:8], v18 offset0:13 offset1:14
	ds_read2_b32 v[32:33], v16 offset0:13 offset1:14
	v_fma_f32 v5, -v29, v34, v5
	s_addk_i32 s5, 0x514
	v_mov_b32_e32 v68, s12
	s_waitcnt lgkmcnt(1)
	v_fma_f32 v7, -v19, v7, v12
	v_fma_f32 v7, -v20, v39, v7
	ds_read2_b32 v[39:40], v28 offset0:13 offset1:14
	s_waitcnt lgkmcnt(1)
	v_fma_f32 v7, -v17, v32, v7
	v_fma_f32 v7, -v23, v45, v7
	v_mov_b32_e32 v12, s13
	ds_read2_b32 v[59:60], v12 offset0:13 offset1:14
	s_waitcnt lgkmcnt(1)
	v_fma_f32 v7, -v24, v39, v7
	v_fma_f32 v7, -v26, v43, v7
	ds_read2_b32 v[43:44], v14 offset0:13 offset1:14
	ds_read2_b64 v[36:39], v31 offset0:7 offset1:8
	v_fma_f32 v5, -v19, v8, v5
	v_mov_b32_e32 v32, s5
	s_add_i32 s5, s11, 0x4e0
	s_waitcnt lgkmcnt(1)
	v_fma_f32 v7, -v13, v43, v7
	v_fma_f32 v7, -v11, v49, v7
	ds_read2_b32 v[48:49], v27 offset0:13 offset1:14
	s_waitcnt lgkmcnt(1)
	v_fma_f32 v5, -v20, v36, v5
	v_fma_f32 v5, -v17, v33, v5
	;; [unrolled: 1-line block ×4, first 2 shown]
	s_waitcnt lgkmcnt(0)
	v_fma_f32 v7, -v15, v48, v7
	v_fma_f32 v7, -v25, v54, v7
	;; [unrolled: 1-line block ×4, first 2 shown]
	ds_read2_b32 v[55:56], v32 offset1:1
	ds_read2_b64 v[40:43], v67 offset0:7 offset1:8
	v_add_u32_e32 v32, s5, v21
	s_add_i32 s12, s4, s5
	s_mul_i32 s5, s8, 0x64
	s_waitcnt lgkmcnt(1)
	v_mul_f32_e32 v7, v7, v55
	ds_read2_b64 v[52:55], v68 offset0:7 offset1:8
	s_waitcnt lgkmcnt(1)
	v_fma_f32 v5, -v26, v40, v5
	v_fma_f32 v5, -v13, v44, v5
	;; [unrolled: 1-line block ×4, first 2 shown]
	s_waitcnt lgkmcnt(0)
	v_fma_f32 v5, -v25, v52, v5
	v_mov_b32_e32 v69, s5
	v_fma_f32 v5, -v9, v60, v5
	ds_read2_b64 v[59:62], v69 offset0:175 offset1:176
	v_fma_f32 v5, -v10, v57, v5
	s_add_i32 s13, s4, s14
	v_fma_f32 v5, -v7, v56, v5
	s_add_i32 s14, s11, 0x540
	s_waitcnt lgkmcnt(0)
	v_mul_f32_e32 v8, v5, v59
	v_add_u32_e32 v5, s14, v21
	ds_write_b32 v32, v7
	ds_write_b32 v5, v8
	v_fma_f32 v5, -v29, v35, v6
	ds_read2_b32 v[35:36], v18 offset0:15 offset1:16
	ds_read2_b32 v[44:45], v16 offset0:15 offset1:16
	;; [unrolled: 1-line block ×3, first 2 shown]
	v_mov_b32_e32 v6, s12
	ds_read2_b32 v[63:64], v6 offset0:15 offset1:16
	s_waitcnt lgkmcnt(3)
	v_fma_f32 v5, -v19, v35, v5
	v_fma_f32 v5, -v20, v37, v5
	s_waitcnt lgkmcnt(2)
	v_fma_f32 v5, -v17, v44, v5
	v_fma_f32 v5, -v23, v47, v5
	ds_read2_b32 v[47:48], v28 offset0:15 offset1:16
	s_add_i32 s12, s4, s14
	s_add_i32 s14, s5, 0x5dc
	v_mov_b32_e32 v32, s14
	s_add_i32 s14, s11, 0x5a0
	s_waitcnt lgkmcnt(0)
	v_fma_f32 v5, -v24, v47, v5
	v_fma_f32 v5, -v26, v41, v5
	ds_read2_b32 v[40:41], v14 offset0:15 offset1:16
	s_addk_i32 s5, 0x6a4
	s_addk_i32 s11, 0x660
	s_add_i32 s8, s8, 20
	s_waitcnt lgkmcnt(0)
	v_fma_f32 v5, -v13, v40, v5
	v_fma_f32 v5, -v11, v51, v5
	ds_read2_b32 v[51:52], v27 offset0:15 offset1:16
	s_waitcnt lgkmcnt(0)
	v_fma_f32 v5, -v15, v51, v5
	v_fma_f32 v5, -v25, v53, v5
	;; [unrolled: 1-line block ×6, first 2 shown]
	ds_read2_b32 v[59:60], v32 offset1:1
	v_add_u32_e32 v32, s14, v21
	s_waitcnt lgkmcnt(0)
	v_mul_f32_e32 v5, v5, v59
	ds_write_b32 v32, v5
	ds_read_b128 v[32:35], v30 offset:64
	v_mov_b32_e32 v30, s13
	s_add_i32 s13, s4, s14
	s_add_i32 s4, s4, s11
	s_waitcnt lgkmcnt(0)
	v_fma_f32 v3, -v29, v32, v3
	v_fma_f32 v3, -v19, v36, v3
	;; [unrolled: 1-line block ×4, first 2 shown]
	ds_read_b128 v[44:47], v65 offset:64
	ds_read2_b32 v[36:37], v28 offset0:17 offset1:18
	v_fma_f32 v1, -v29, v34, v1
	v_fma_f32 v2, -v29, v35, v2
	s_waitcnt lgkmcnt(1)
	v_fma_f32 v3, -v23, v44, v3
	v_fma_f32 v3, -v24, v48, v3
	ds_read_b128 v[48:51], v66 offset:64
	v_fma_f32 v3, -v26, v42, v3
	v_fma_f32 v3, -v13, v41, v3
	ds_read2_b32 v[40:41], v27 offset0:17 offset1:18
	s_waitcnt lgkmcnt(1)
	v_fma_f32 v3, -v11, v48, v3
	v_fma_f32 v3, -v15, v52, v3
	v_fma_f32 v3, -v25, v54, v3
	v_fma_f32 v3, -v9, v57, v3
	ds_read_b128 v[56:59], v30 offset:64
	v_fma_f32 v30, -v29, v33, v4
	ds_read2_b32 v[32:33], v16 offset0:17 offset1:18
	s_waitcnt lgkmcnt(1)
	v_fma_f32 v3, -v10, v56, v3
	v_fma_f32 v3, -v7, v64, v3
	ds_read_b128 v[63:66], v69 offset:1600
	v_fma_f32 v3, -v8, v61, v3
	v_fma_f32 v3, -v5, v60, v3
	s_waitcnt lgkmcnt(0)
	v_mul_f32_e32 v54, v3, v63
	ds_read2_b32 v[3:4], v18 offset0:17 offset1:18
	s_waitcnt lgkmcnt(0)
	v_fma_f32 v3, -v19, v3, v30
	v_fma_f32 v3, -v20, v39, v3
	ds_read2_b32 v[38:39], v14 offset0:17 offset1:18
	v_fma_f32 v3, -v17, v32, v3
	v_fma_f32 v3, -v23, v45, v3
	;; [unrolled: 1-line block ×4, first 2 shown]
	ds_read2_b32 v[42:43], v12 offset0:17 offset1:18
	ds_read2_b32 v[44:45], v6 offset0:17 offset1:18
	s_waitcnt lgkmcnt(2)
	v_fma_f32 v3, -v13, v38, v3
	v_fma_f32 v3, -v11, v49, v3
	;; [unrolled: 1-line block ×4, first 2 shown]
	s_waitcnt lgkmcnt(1)
	v_fma_f32 v3, -v9, v42, v3
	v_mov_b32_e32 v42, s13
	ds_read2_b32 v[48:49], v42 offset0:17 offset1:18
	v_mov_b32_e32 v30, s5
	v_fma_f32 v3, -v10, v57, v3
	ds_read2_b32 v[52:53], v30 offset1:1
	s_waitcnt lgkmcnt(2)
	v_fma_f32 v3, -v7, v44, v3
	v_fma_f32 v3, -v8, v62, v3
	s_waitcnt lgkmcnt(1)
	v_fma_f32 v3, -v5, v48, v3
	v_fma_f32 v3, -v54, v64, v3
	s_waitcnt lgkmcnt(0)
	v_mul_f32_e32 v3, v3, v52
	v_add_u32_e32 v30, s11, v21
	ds_write_b32 v30, v3
	ds_read_b64 v[30:31], v31 offset:72
	v_fma_f32 v1, -v19, v4, v1
	v_mov_b32_e32 v4, s12
	s_waitcnt lgkmcnt(0)
	v_fma_f32 v1, -v20, v30, v1
	v_fma_f32 v1, -v17, v33, v1
	ds_read_b64 v[32:33], v67 offset:72
	v_fma_f32 v1, -v23, v46, v1
	v_fma_f32 v1, -v24, v37, v1
	ds_read_b64 v[36:37], v68 offset:72
	s_waitcnt lgkmcnt(1)
	v_fma_f32 v1, -v26, v32, v1
	v_fma_f32 v1, -v13, v39, v1
	;; [unrolled: 1-line block ×4, first 2 shown]
	ds_read_b64 v[40:41], v69 offset:1800
	ds_read_b64 v[38:39], v4 offset:72
	s_waitcnt lgkmcnt(2)
	v_fma_f32 v1, -v25, v36, v1
	v_fma_f32 v1, -v9, v43, v1
	;; [unrolled: 1-line block ×4, first 2 shown]
	s_waitcnt lgkmcnt(0)
	v_fma_f32 v1, -v8, v38, v1
	v_fma_f32 v1, -v5, v49, v1
	;; [unrolled: 1-line block ×4, first 2 shown]
	v_mul_f32_e32 v1, v1, v40
	v_add_u32_e32 v4, 0x400, v22
	ds_write2_b32 v4, v54, v1 offset0:128 offset1:176
	ds_read_b32 v4, v18 offset:76
	s_waitcnt lgkmcnt(0)
	v_fma_f32 v2, -v19, v4, v2
	ds_read_b32 v4, v16 offset:76
	v_fma_f32 v2, -v20, v31, v2
	s_waitcnt lgkmcnt(0)
	v_fma_f32 v2, -v17, v4, v2
	ds_read_b32 v4, v28 offset:76
	v_fma_f32 v2, -v23, v47, v2
	;; [unrolled: 4-line block ×7, first 2 shown]
	s_waitcnt lgkmcnt(0)
	v_fma_f32 v2, -v5, v4, v2
	v_mov_b32_e32 v4, s4
	ds_read_b32 v4, v4 offset:76
	v_fma_f32 v2, -v54, v66, v2
	s_mul_i32 s4, s10, 0x64
	s_mulk_i32 s10, 0x60
	s_waitcnt lgkmcnt(0)
	v_fma_f32 v2, -v3, v4, v2
	v_fma_f32 v1, -v1, v41, v2
	v_mov_b32_e32 v2, s4
	ds_read_b32 v2, v2
	s_waitcnt lgkmcnt(0)
	v_mul_f32_e32 v1, v1, v2
	v_add_u32_e32 v2, s10, v21
	ds_write_b32 v2, v1
.LBB28_41:
	s_cmp_ge_i32 s8, s16
	s_cbranch_scc1 .LBB28_46
; %bb.42:
	v_mov_b32_e32 v1, 0x900
	s_lshl_b32 s4, s8, 2
	v_lshl_or_b32 v1, v0, 2, v1
	s_branch .LBB28_44
.LBB28_43:                              ;   in Loop: Header=BB28_44 Depth=1
	s_lshl_b32 s10, s8, 2
	s_add_i32 s5, s10, s5
	v_mov_b32_e32 v4, s5
	ds_read_b32 v4, v4
	s_add_i32 s8, s8, 1
	s_add_i32 s4, s4, 4
	s_cmp_ge_i32 s8, s16
	s_waitcnt lgkmcnt(0)
	v_mul_f32_e32 v3, v3, v4
	ds_write_b32 v2, v3
	s_cbranch_scc1 .LBB28_46
.LBB28_44:                              ; =>This Loop Header: Depth=1
                                        ;     Child Loop BB28_45 Depth 2
	s_mul_i32 s5, s8, 0x60
	v_add_u32_e32 v2, s5, v21
	ds_read_b32 v3, v2
	s_cmp_eq_u32 s8, 0
	v_mov_b32_e32 v4, v1
	s_mov_b32 s10, s4
	s_mov_b32 s11, s8
	s_cbranch_scc1 .LBB28_43
.LBB28_45:                              ;   Parent Loop BB28_44 Depth=1
                                        ; =>  This Inner Loop Header: Depth=2
	v_mov_b32_e32 v6, s10
	ds_read_b32 v5, v4
	ds_read_b32 v6, v6
	s_add_i32 s11, s11, -1
	s_addk_i32 s10, 0x60
	v_add_u32_e32 v4, 0x60, v4
	s_cmp_lg_u32 s11, 0
	s_waitcnt lgkmcnt(0)
	v_fma_f32 v3, -v5, v6, v3
	s_cbranch_scc1 .LBB28_45
	s_branch .LBB28_43
.LBB28_46:
	s_waitcnt lgkmcnt(0)
	; wave barrier
	s_and_saveexec_b64 s[4:5], s[0:1]
	s_cbranch_execz .LBB28_50
; %bb.47:
	s_andn2_b64 vcc, exec, s[2:3]
	s_cbranch_vccnz .LBB28_50
; %bb.48:
	v_mad_i64_i32 v[1:2], s[0:1], s9, v0, 0
	v_mov_b32_e32 v3, s7
	v_lshlrev_b64 v[1:2], 2, v[1:2]
	v_add_co_u32_e32 v1, vcc, s6, v1
	v_addc_co_u32_e32 v2, vcc, v3, v2, vcc
	v_mov_b32_e32 v3, 0x900
	v_lshl_or_b32 v0, v0, 2, v3
.LBB28_49:                              ; =>This Inner Loop Header: Depth=1
	ds_read_b32 v3, v0
	s_add_i32 s16, s16, -1
	v_add_u32_e32 v0, 0x60, v0
	s_cmp_lg_u32 s16, 0
	s_waitcnt lgkmcnt(0)
	global_store_dword v[1:2], v3, off
	v_add_co_u32_e32 v1, vcc, 4, v1
	v_addc_co_u32_e32 v2, vcc, 0, v2, vcc
	s_cbranch_scc1 .LBB28_49
.LBB28_50:
	s_endpgm
	.section	.rodata,"a",@progbits
	.p2align	6, 0x0
	.amdhsa_kernel _ZL38rocblas_trsm_small_left_device_sharedBILi24ELi24ELb1EffPKfPfEv13rocblas_fill_18rocblas_operation_17rocblas_diagonal_iiT3_T4_lilT5_lili
		.amdhsa_group_segment_fixed_size 4608
		.amdhsa_private_segment_fixed_size 0
		.amdhsa_kernarg_size 352
		.amdhsa_user_sgpr_count 6
		.amdhsa_user_sgpr_private_segment_buffer 1
		.amdhsa_user_sgpr_dispatch_ptr 0
		.amdhsa_user_sgpr_queue_ptr 0
		.amdhsa_user_sgpr_kernarg_segment_ptr 1
		.amdhsa_user_sgpr_dispatch_id 0
		.amdhsa_user_sgpr_flat_scratch_init 0
		.amdhsa_user_sgpr_private_segment_size 0
		.amdhsa_uses_dynamic_stack 0
		.amdhsa_system_sgpr_private_segment_wavefront_offset 0
		.amdhsa_system_sgpr_workgroup_id_x 1
		.amdhsa_system_sgpr_workgroup_id_y 0
		.amdhsa_system_sgpr_workgroup_id_z 1
		.amdhsa_system_sgpr_workgroup_info 0
		.amdhsa_system_vgpr_workitem_id 0
		.amdhsa_next_free_vgpr 72
		.amdhsa_next_free_sgpr 98
		.amdhsa_reserve_vcc 1
		.amdhsa_reserve_flat_scratch 0
		.amdhsa_float_round_mode_32 0
		.amdhsa_float_round_mode_16_64 0
		.amdhsa_float_denorm_mode_32 3
		.amdhsa_float_denorm_mode_16_64 3
		.amdhsa_dx10_clamp 1
		.amdhsa_ieee_mode 1
		.amdhsa_fp16_overflow 0
		.amdhsa_exception_fp_ieee_invalid_op 0
		.amdhsa_exception_fp_denorm_src 0
		.amdhsa_exception_fp_ieee_div_zero 0
		.amdhsa_exception_fp_ieee_overflow 0
		.amdhsa_exception_fp_ieee_underflow 0
		.amdhsa_exception_fp_ieee_inexact 0
		.amdhsa_exception_int_div_zero 0
	.end_amdhsa_kernel
	.section	.text._ZL38rocblas_trsm_small_left_device_sharedBILi24ELi24ELb1EffPKfPfEv13rocblas_fill_18rocblas_operation_17rocblas_diagonal_iiT3_T4_lilT5_lili,"axG",@progbits,_ZL38rocblas_trsm_small_left_device_sharedBILi24ELi24ELb1EffPKfPfEv13rocblas_fill_18rocblas_operation_17rocblas_diagonal_iiT3_T4_lilT5_lili,comdat
.Lfunc_end28:
	.size	_ZL38rocblas_trsm_small_left_device_sharedBILi24ELi24ELb1EffPKfPfEv13rocblas_fill_18rocblas_operation_17rocblas_diagonal_iiT3_T4_lilT5_lili, .Lfunc_end28-_ZL38rocblas_trsm_small_left_device_sharedBILi24ELi24ELb1EffPKfPfEv13rocblas_fill_18rocblas_operation_17rocblas_diagonal_iiT3_T4_lilT5_lili
                                        ; -- End function
	.set _ZL38rocblas_trsm_small_left_device_sharedBILi24ELi24ELb1EffPKfPfEv13rocblas_fill_18rocblas_operation_17rocblas_diagonal_iiT3_T4_lilT5_lili.num_vgpr, 72
	.set _ZL38rocblas_trsm_small_left_device_sharedBILi24ELi24ELb1EffPKfPfEv13rocblas_fill_18rocblas_operation_17rocblas_diagonal_iiT3_T4_lilT5_lili.num_agpr, 0
	.set _ZL38rocblas_trsm_small_left_device_sharedBILi24ELi24ELb1EffPKfPfEv13rocblas_fill_18rocblas_operation_17rocblas_diagonal_iiT3_T4_lilT5_lili.numbered_sgpr, 24
	.set _ZL38rocblas_trsm_small_left_device_sharedBILi24ELi24ELb1EffPKfPfEv13rocblas_fill_18rocblas_operation_17rocblas_diagonal_iiT3_T4_lilT5_lili.num_named_barrier, 0
	.set _ZL38rocblas_trsm_small_left_device_sharedBILi24ELi24ELb1EffPKfPfEv13rocblas_fill_18rocblas_operation_17rocblas_diagonal_iiT3_T4_lilT5_lili.private_seg_size, 0
	.set _ZL38rocblas_trsm_small_left_device_sharedBILi24ELi24ELb1EffPKfPfEv13rocblas_fill_18rocblas_operation_17rocblas_diagonal_iiT3_T4_lilT5_lili.uses_vcc, 1
	.set _ZL38rocblas_trsm_small_left_device_sharedBILi24ELi24ELb1EffPKfPfEv13rocblas_fill_18rocblas_operation_17rocblas_diagonal_iiT3_T4_lilT5_lili.uses_flat_scratch, 0
	.set _ZL38rocblas_trsm_small_left_device_sharedBILi24ELi24ELb1EffPKfPfEv13rocblas_fill_18rocblas_operation_17rocblas_diagonal_iiT3_T4_lilT5_lili.has_dyn_sized_stack, 0
	.set _ZL38rocblas_trsm_small_left_device_sharedBILi24ELi24ELb1EffPKfPfEv13rocblas_fill_18rocblas_operation_17rocblas_diagonal_iiT3_T4_lilT5_lili.has_recursion, 0
	.set _ZL38rocblas_trsm_small_left_device_sharedBILi24ELi24ELb1EffPKfPfEv13rocblas_fill_18rocblas_operation_17rocblas_diagonal_iiT3_T4_lilT5_lili.has_indirect_call, 0
	.section	.AMDGPU.csdata,"",@progbits
; Kernel info:
; codeLenInByte = 18384
; TotalNumSgprs: 28
; NumVgprs: 72
; ScratchSize: 0
; MemoryBound: 0
; FloatMode: 240
; IeeeMode: 1
; LDSByteSize: 4608 bytes/workgroup (compile time only)
; SGPRBlocks: 12
; VGPRBlocks: 17
; NumSGPRsForWavesPerEU: 102
; NumVGPRsForWavesPerEU: 72
; Occupancy: 3
; WaveLimiterHint : 0
; COMPUTE_PGM_RSRC2:SCRATCH_EN: 0
; COMPUTE_PGM_RSRC2:USER_SGPR: 6
; COMPUTE_PGM_RSRC2:TRAP_HANDLER: 0
; COMPUTE_PGM_RSRC2:TGID_X_EN: 1
; COMPUTE_PGM_RSRC2:TGID_Y_EN: 0
; COMPUTE_PGM_RSRC2:TGID_Z_EN: 1
; COMPUTE_PGM_RSRC2:TIDIG_COMP_CNT: 0
	.section	.text._ZL30rocblas_trsm_small_left_deviceILi24ELi24ELb1EffPKfPfEv13rocblas_fill_18rocblas_operation_17rocblas_diagonal_iiT3_T4_lilT5_lili,"axG",@progbits,_ZL30rocblas_trsm_small_left_deviceILi24ELi24ELb1EffPKfPfEv13rocblas_fill_18rocblas_operation_17rocblas_diagonal_iiT3_T4_lilT5_lili,comdat
	.globl	_ZL30rocblas_trsm_small_left_deviceILi24ELi24ELb1EffPKfPfEv13rocblas_fill_18rocblas_operation_17rocblas_diagonal_iiT3_T4_lilT5_lili ; -- Begin function _ZL30rocblas_trsm_small_left_deviceILi24ELi24ELb1EffPKfPfEv13rocblas_fill_18rocblas_operation_17rocblas_diagonal_iiT3_T4_lilT5_lili
	.p2align	8
	.type	_ZL30rocblas_trsm_small_left_deviceILi24ELi24ELb1EffPKfPfEv13rocblas_fill_18rocblas_operation_17rocblas_diagonal_iiT3_T4_lilT5_lili,@function
_ZL30rocblas_trsm_small_left_deviceILi24ELi24ELb1EffPKfPfEv13rocblas_fill_18rocblas_operation_17rocblas_diagonal_iiT3_T4_lilT5_lili: ; @_ZL30rocblas_trsm_small_left_deviceILi24ELi24ELb1EffPKfPfEv13rocblas_fill_18rocblas_operation_17rocblas_diagonal_iiT3_T4_lilT5_lili
; %bb.0:
	s_load_dwordx4 s[0:3], s[4:5], 0x4
	s_load_dword s16, s[4:5], 0x14
	s_load_dwordx4 s[8:11], s[4:5], 0x30
	s_load_dwordx2 s[12:13], s[4:5], 0x40
	s_waitcnt lgkmcnt(0)
	s_min_i32 s17, s2, 24
	v_cmp_gt_i32_e32 vcc, s17, v0
	s_and_saveexec_b64 s[14:15], vcc
	s_cbranch_execz .LBB29_6
; %bb.1:
	s_load_dword s18, s[4:5], 0x28
	s_load_dwordx4 s[20:23], s[4:5], 0x18
	s_mul_i32 s9, s9, s7
	s_mul_hi_u32 s19, s8, s7
	s_add_i32 s9, s19, s9
	s_mul_i32 s8, s8, s7
	s_waitcnt lgkmcnt(0)
	s_ashr_i32 s19, s18, 31
	s_lshl_b64 s[8:9], s[8:9], 2
	s_add_u32 s20, s20, s8
	s_addc_u32 s21, s21, s9
	s_lshl_b64 s[8:9], s[22:23], 2
	s_add_u32 s8, s20, s8
	s_addc_u32 s9, s21, s9
	v_lshlrev_b32_e32 v3, 2, v0
	v_mov_b32_e32 v2, s9
	v_add_co_u32_e32 v1, vcc, s8, v3
	s_lshl_b64 s[8:9], s[18:19], 2
	v_addc_co_u32_e32 v2, vcc, 0, v2, vcc
	v_mov_b32_e32 v4, s9
	v_mov_b32_e32 v5, v3
	s_mov_b32 s9, s17
.LBB29_2:                               ; =>This Inner Loop Header: Depth=1
	global_load_dword v6, v[1:2], off
	v_add_co_u32_e32 v1, vcc, s8, v1
	s_add_i32 s9, s9, -1
	v_addc_co_u32_e32 v2, vcc, v2, v4, vcc
	s_cmp_eq_u32 s9, 0
	s_waitcnt vmcnt(0)
	ds_write_b32 v5, v6
	v_add_u32_e32 v5, 0x60, v5
	s_cbranch_scc0 .LBB29_2
; %bb.3:
	v_mul_u32_u24_e32 v1, 0x60, v0
	s_cmpk_lg_i32 s1, 0x84
	v_mov_b32_e32 v2, 1.0
	v_add_u32_e32 v1, v3, v1
	s_cbranch_scc0 .LBB29_5
; %bb.4:
	ds_read_b32 v2, v1
	s_waitcnt lgkmcnt(0)
	v_div_scale_f32 v3, s[8:9], v2, v2, 1.0
	v_div_scale_f32 v4, vcc, 1.0, v2, 1.0
	v_rcp_f32_e32 v5, v3
	v_fma_f32 v6, -v3, v5, 1.0
	v_fmac_f32_e32 v5, v6, v5
	v_mul_f32_e32 v6, v4, v5
	v_fma_f32 v7, -v3, v6, v4
	v_fmac_f32_e32 v6, v7, v5
	v_fma_f32 v3, -v3, v6, v4
	v_div_fmas_f32 v3, v3, v5, v6
	v_div_fixup_f32 v2, v3, v2, 1.0
.LBB29_5:
	ds_write_b32 v1, v2
.LBB29_6:
	s_or_b64 exec, exec, s[14:15]
	s_load_dword s1, s[4:5], 0x60
	s_mul_i32 s8, s6, 0xffffffe8
	s_add_i32 s3, s3, s8
	s_waitcnt lgkmcnt(0)
	; wave barrier
	s_add_i32 s1, s1, -1
	s_cmp_ge_u32 s6, s1
	s_cselect_b32 s1, s3, 24
	v_cmp_gt_i32_e32 vcc, s1, v0
	s_and_saveexec_b64 s[8:9], vcc
	s_cbranch_execz .LBB29_48
; %bb.7:
	s_load_dwordx2 s[8:9], s[4:5], 0x50
	s_load_dword s1, s[4:5], 0x48
	s_waitcnt lgkmcnt(0)
	s_mul_i32 s3, s9, s7
	s_mul_hi_u32 s5, s8, s7
	s_mul_i32 s4, s8, s7
	v_mad_u64_u32 v[0:1], s[6:7], s6, 24, v[0:1]
	s_add_i32 s5, s5, s3
	s_lshl_b64 s[4:5], s[4:5], 2
	s_add_u32 s3, s10, s4
	s_addc_u32 s6, s11, s5
	v_mad_i64_i32 v[0:1], s[4:5], s1, v0, 0
	s_lshl_b64 s[4:5], s[12:13], 2
	s_add_u32 s1, s3, s4
	v_lshlrev_b64 v[0:1], 2, v[0:1]
	s_addc_u32 s3, s6, s5
	v_mov_b32_e32 v2, s3
	v_add_co_u32_e32 v29, vcc, s1, v0
	v_addc_co_u32_e32 v30, vcc, v2, v1, vcc
	s_cmpk_eq_i32 s0, 0x6f
	s_mov_b64 s[0:1], -1
	s_cbranch_scc1 .LBB29_34
; %bb.8:
	s_add_i32 s3, s17, -1
	s_cmp_gt_i32 s2, 23
	s_mov_b32 s0, -1
	s_cbranch_scc0 .LBB29_10
; %bb.9:
	global_load_dwordx4 v[4:7], v[29:30], off offset:80
	global_load_dwordx4 v[8:11], v[29:30], off offset:64
	;; [unrolled: 1-line block ×4, first 2 shown]
	global_load_dwordx4 v[0:3], v[29:30], off
	global_load_dwordx4 v[16:19], v[29:30], off offset:16
	v_mov_b32_e32 v20, 0
	s_movk_i32 s1, 0x600
	v_mov_b32_e32 v33, 0x834
	v_mov_b32_e32 v34, 0x774
	;; [unrolled: 1-line block ×3, first 2 shown]
	v_add_u32_e64 v36, s1, 0
	ds_read_b64 v[31:32], v20 offset:2200
	ds_read_b128 v[25:28], v20 offset:2000
	ds_read_b32 v37, v20 offset:2300
	ds_read2_b32 v[39:40], v33 offset1:1
	ds_read2_b32 v[41:42], v34 offset1:1
	;; [unrolled: 1-line block ×3, first 2 shown]
	ds_read_b64 v[45:46], v20 offset:1816
	ds_read2_b32 v[47:48], v36 offset0:95 offset1:143
	s_movk_i32 s4, 0x400
	v_add_u32_e64 v57, s4, 0
	v_mov_b32_e32 v49, 0x6b4
	v_mov_b32_e32 v50, 0x6ac
	;; [unrolled: 1-line block ×8, first 2 shown]
	s_waitcnt vmcnt(5)
	v_mul_f32_e32 v7, s16, v7
	s_waitcnt lgkmcnt(5)
	v_mul_f32_e32 v7, v7, v37
	v_mul_f32_e32 v32, v7, v32
	s_waitcnt lgkmcnt(0)
	v_mul_f32_e32 v33, v7, v48
	v_fma_f32 v6, s16, v6, -v32
	v_fma_f32 v5, s16, v5, -v33
	v_mul_f32_e32 v6, v6, v31
	v_fma_f32 v5, -v6, v40, v5
	ds_read_b128 v[31:34], v20 offset:1600
	ds_read_b128 v[35:38], v20 offset:1616
	v_mul_f32_e32 v5, v5, v39
	ds_read2_b32 v[39:40], v57 offset0:127 offset1:175
	v_mul_f32_e32 v28, v7, v28
	v_fma_f32 v4, s16, v4, -v28
	v_fma_f32 v4, -v6, v27, v4
	v_fma_f32 v4, -v5, v26, v4
	v_mul_f32_e32 v47, v7, v47
	v_mul_f32_e32 v46, v7, v46
	s_waitcnt lgkmcnt(0)
	v_mul_f32_e32 v40, v7, v40
	v_mul_f32_e32 v38, v7, v38
	;; [unrolled: 1-line block ×3, first 2 shown]
	ds_read2_b64 v[25:28], v20 offset0:225 offset1:226
	s_waitcnt vmcnt(4)
	v_fma_f32 v58, s16, v11, -v47
	v_fma_f32 v59, s16, v10, -v46
	;; [unrolled: 1-line block ×4, first 2 shown]
	ds_read2_b32 v[8:9], v49 offset1:1
	ds_read2_b32 v[10:11], v50 offset1:1
	;; [unrolled: 1-line block ×4, first 2 shown]
	v_fma_f32 v42, -v6, v42, v58
	v_mul_f32_e32 v39, v7, v39
	v_fma_f32 v45, -v6, v45, v59
	s_waitcnt lgkmcnt(3)
	v_fma_f32 v9, -v6, v9, v40
	v_fma_f32 v42, -v5, v41, v42
	s_waitcnt vmcnt(3)
	v_fma_f32 v15, s16, v15, -v39
	v_fma_f32 v37, -v6, v37, v38
	ds_read_b64 v[50:51], v20 offset:1432
	v_fma_f32 v58, -v5, v8, v9
	ds_read2_b32 v[8:9], v53 offset1:1
	ds_read2_b32 v[40:41], v54 offset1:1
	ds_read2_b32 v[52:53], v55 offset1:1
	ds_read2_b32 v[54:55], v56 offset1:1
	s_waitcnt lgkmcnt(5)
	v_fma_f32 v15, -v6, v49, v15
	v_fma_f32 v28, -v5, v28, v45
	v_fma_f32 v36, -v5, v36, v37
	v_fma_f32 v37, -v4, v44, v42
	v_fma_f32 v15, -v5, v48, v15
	v_fma_f32 v27, -v4, v27, v28
	v_fma_f32 v28, -v4, v11, v58
	v_mul_f32_e32 v11, v37, v43
	s_waitcnt lgkmcnt(3)
	v_fma_f32 v9, -v4, v9, v15
	v_fma_f32 v15, -v11, v26, v27
	v_fma_f32 v35, -v4, v35, v36
	v_fma_f32 v26, -v11, v10, v28
	v_mul_f32_e32 v10, v15, v25
	v_fma_f32 v27, -v11, v34, v35
	v_fma_f32 v8, -v11, v8, v9
	v_fma_f32 v9, -v10, v47, v26
	v_fma_f32 v15, -v10, v33, v27
	v_mul_f32_e32 v9, v9, v46
	s_waitcnt lgkmcnt(2)
	v_fma_f32 v8, -v10, v41, v8
	v_fma_f32 v15, -v9, v32, v15
	;; [unrolled: 1-line block ×3, first 2 shown]
	v_mul_f32_e32 v8, v15, v31
	s_waitcnt lgkmcnt(1)
	v_fma_f32 v15, -v8, v53, v25
	ds_read2_b64 v[25:28], v20 offset0:177 offset1:178
	v_mul_f32_e32 v31, v7, v51
	v_fma_f32 v14, s16, v14, -v31
	v_fma_f32 v14, -v6, v50, v14
	ds_read2_b64 v[31:34], v20 offset0:175 offset1:176
	s_waitcnt lgkmcnt(1)
	v_fma_f32 v14, -v5, v28, v14
	v_fma_f32 v14, -v4, v27, v14
	global_store_dwordx4 v[29:30], v[4:7], off offset:80
	global_store_dwordx4 v[29:30], v[8:11], off offset:64
	v_fma_f32 v14, -v11, v26, v14
	v_fma_f32 v14, -v10, v25, v14
	ds_read2_b32 v[39:40], v57 offset0:31 offset1:79
	ds_read_b128 v[25:28], v20 offset:1232
	s_waitcnt lgkmcnt(2)
	v_fma_f32 v14, -v9, v34, v14
	v_mul_f32_e32 v15, v15, v52
	v_fma_f32 v14, -v8, v33, v14
	v_fma_f32 v14, -v15, v32, v14
	v_mul_f32_e32 v14, v14, v31
	s_waitcnt lgkmcnt(1)
	v_mul_f32_e32 v31, v7, v40
	v_fma_f32 v13, s16, v13, -v31
	v_mov_b32_e32 v31, 0x52c
	ds_read2_b32 v[31:32], v31 offset1:1
	v_fma_f32 v13, -v6, v55, v13
	v_mov_b32_e32 v33, 0x524
	v_mov_b32_e32 v35, 0x51c
	;; [unrolled: 1-line block ×3, first 2 shown]
	v_fma_f32 v13, -v5, v54, v13
	ds_read2_b32 v[33:34], v33 offset1:1
	ds_read2_b32 v[35:36], v35 offset1:1
	;; [unrolled: 1-line block ×3, first 2 shown]
	s_waitcnt lgkmcnt(3)
	v_fma_f32 v13, -v4, v32, v13
	v_fma_f32 v13, -v11, v31, v13
	s_waitcnt lgkmcnt(2)
	v_fma_f32 v13, -v10, v34, v13
	v_fma_f32 v13, -v9, v33, v13
	;; [unrolled: 3-line block ×3, first 2 shown]
	s_waitcnt lgkmcnt(0)
	v_fma_f32 v13, -v14, v38, v13
	v_mul_f32_e32 v13, v13, v37
	ds_read_b128 v[31:34], v20 offset:1200
	ds_read_b128 v[35:38], v20 offset:1216
	v_mul_f32_e32 v28, v7, v28
	v_fma_f32 v12, s16, v12, -v28
	v_fma_f32 v12, -v6, v27, v12
	v_fma_f32 v12, -v5, v26, v12
	;; [unrolled: 1-line block ×3, first 2 shown]
	s_waitcnt lgkmcnt(0)
	v_fma_f32 v12, -v11, v38, v12
	v_fma_f32 v12, -v10, v37, v12
	;; [unrolled: 1-line block ×4, first 2 shown]
	v_mul_f32_e32 v25, v7, v39
	v_fma_f32 v12, -v15, v34, v12
	s_waitcnt vmcnt(4)
	v_fma_f32 v28, s16, v24, -v25
	v_mov_b32_e32 v24, 0x474
	v_fma_f32 v12, -v14, v33, v12
	ds_read2_b32 v[24:25], v24 offset1:1
	v_fma_f32 v12, -v13, v32, v12
	v_mul_f32_e32 v12, v12, v31
	global_store_dwordx4 v[29:30], v[12:15], off offset:48
	v_mov_b32_e32 v26, 0x46c
	v_mov_b32_e32 v31, 0x464
	;; [unrolled: 1-line block ×3, first 2 shown]
	ds_read2_b32 v[26:27], v26 offset1:1
	ds_read2_b32 v[31:32], v31 offset1:1
	;; [unrolled: 1-line block ×3, first 2 shown]
	s_waitcnt lgkmcnt(3)
	v_fma_f32 v25, -v6, v25, v28
	v_fma_f32 v24, -v5, v24, v25
	s_waitcnt lgkmcnt(2)
	v_fma_f32 v24, -v4, v27, v24
	v_fma_f32 v24, -v11, v26, v24
	;; [unrolled: 3-line block ×3, first 2 shown]
	v_mov_b32_e32 v24, 0x454
	ds_read2_b32 v[24:25], v24 offset1:1
	v_mov_b32_e32 v27, 0x44c
	ds_read2_b32 v[31:32], v27 offset1:1
	s_waitcnt lgkmcnt(2)
	v_fma_f32 v26, -v8, v34, v26
	v_fma_f32 v26, -v15, v33, v26
	ds_read_b64 v[33:34], v20 offset:1048
	s_waitcnt lgkmcnt(2)
	v_fma_f32 v25, -v14, v25, v26
	v_fma_f32 v24, -v13, v24, v25
	s_waitcnt lgkmcnt(1)
	v_fma_f32 v28, -v12, v32, v24
	ds_read2_b64 v[24:27], v20 offset0:129 offset1:130
	v_mul_f32_e32 v28, v28, v31
	s_waitcnt lgkmcnt(1)
	v_mul_f32_e32 v31, v7, v34
	v_fma_f32 v23, s16, v23, -v31
	v_fma_f32 v23, -v6, v33, v23
	ds_read2_b64 v[31:34], v20 offset0:127 offset1:128
	s_waitcnt lgkmcnt(1)
	v_fma_f32 v23, -v5, v27, v23
	v_fma_f32 v23, -v4, v26, v23
	;; [unrolled: 1-line block ×4, first 2 shown]
	ds_read2_b64 v[23:26], v20 offset0:125 offset1:126
	s_waitcnt lgkmcnt(1)
	v_fma_f32 v27, -v9, v34, v27
	v_fma_f32 v27, -v8, v33, v27
	;; [unrolled: 1-line block ×4, first 2 shown]
	s_waitcnt lgkmcnt(0)
	v_fma_f32 v26, -v13, v26, v27
	ds_read2_b32 v[43:44], v20 offset0:191 offset1:239
	v_fma_f32 v25, -v12, v25, v26
	v_fma_f32 v26, -v28, v24, v25
	ds_read2_b32 v[24:25], v20 offset0:237 offset1:238
	ds_read2_b32 v[31:32], v20 offset0:235 offset1:236
	v_mul_f32_e32 v27, v26, v23
	s_waitcnt lgkmcnt(2)
	v_mul_f32_e32 v23, v7, v44
	v_fma_f32 v22, s16, v22, -v23
	s_waitcnt lgkmcnt(1)
	v_fma_f32 v25, -v6, v25, v22
	ds_read2_b32 v[22:23], v20 offset0:233 offset1:234
	v_fma_f32 v24, -v5, v24, v25
	s_waitcnt lgkmcnt(1)
	v_fma_f32 v26, -v4, v32, v24
	ds_read2_b32 v[24:25], v20 offset0:231 offset1:232
	v_fma_f32 v26, -v11, v31, v26
	;; [unrolled: 4-line block ×4, first 2 shown]
	s_waitcnt lgkmcnt(1)
	v_fma_f32 v24, -v14, v32, v24
	v_fma_f32 v24, -v13, v31, v24
	ds_read2_b32 v[32:33], v20 offset0:225 offset1:226
	s_waitcnt lgkmcnt(1)
	v_fma_f32 v23, -v12, v23, v24
	v_fma_f32 v26, -v28, v22, v23
	ds_read_b128 v[22:25], v20 offset:848
	s_waitcnt lgkmcnt(1)
	v_fma_f32 v26, -v27, v33, v26
	v_mul_f32_e32 v26, v26, v32
	ds_read_b128 v[31:34], v20 offset:800
	ds_read_b128 v[35:38], v20 offset:816
	;; [unrolled: 1-line block ×3, first 2 shown]
	s_waitcnt lgkmcnt(3)
	v_mul_f32_e32 v25, v7, v25
	v_fma_f32 v21, s16, v21, -v25
	v_fma_f32 v21, -v6, v24, v21
	v_fma_f32 v21, -v5, v23, v21
	v_fma_f32 v21, -v4, v22, v21
	s_waitcnt lgkmcnt(0)
	v_fma_f32 v21, -v11, v42, v21
	v_fma_f32 v21, -v10, v41, v21
	;; [unrolled: 1-line block ×9, first 2 shown]
	ds_read2_b32 v[21:22], v20 offset0:189 offset1:190
	v_fma_f32 v23, -v27, v33, v23
	v_fma_f32 v23, -v26, v32, v23
	v_mul_f32_e32 v25, v23, v31
	ds_read2_b32 v[23:24], v20 offset0:187 offset1:188
	v_mul_f32_e32 v31, v7, v43
	s_waitcnt vmcnt(3)
	v_fma_f32 v19, s16, v19, -v31
	ds_read2_b32 v[31:32], v20 offset0:185 offset1:186
	s_waitcnt lgkmcnt(2)
	v_fma_f32 v19, -v6, v22, v19
	v_fma_f32 v19, -v5, v21, v19
	ds_read2_b32 v[21:22], v20 offset0:183 offset1:184
	s_waitcnt lgkmcnt(2)
	v_fma_f32 v19, -v4, v24, v19
	v_fma_f32 v19, -v11, v23, v19
	;; [unrolled: 4-line block ×6, first 2 shown]
	s_waitcnt lgkmcnt(1)
	v_fma_f32 v19, -v27, v22, v19
	ds_read_b64 v[31:32], v20 offset:664
	v_fma_f32 v19, -v26, v21, v19
	s_waitcnt lgkmcnt(1)
	v_fma_f32 v19, -v25, v24, v19
	v_mul_f32_e32 v19, v19, v23
	ds_read2_b64 v[21:24], v20 offset0:81 offset1:82
	s_waitcnt lgkmcnt(1)
	v_mul_f32_e32 v32, v7, v32
	v_fma_f32 v18, s16, v18, -v32
	v_fma_f32 v18, -v6, v31, v18
	ds_read2_b64 v[31:34], v20 offset0:79 offset1:80
	s_waitcnt lgkmcnt(1)
	v_fma_f32 v18, -v5, v24, v18
	v_fma_f32 v18, -v4, v23, v18
	v_fma_f32 v18, -v11, v22, v18
	v_fma_f32 v18, -v10, v21, v18
	ds_read2_b64 v[21:24], v20 offset0:77 offset1:78
	s_waitcnt lgkmcnt(1)
	v_fma_f32 v18, -v9, v34, v18
	v_fma_f32 v18, -v8, v33, v18
	v_fma_f32 v18, -v15, v32, v18
	;; [unrolled: 6-line block ×3, first 2 shown]
	ds_read2_b32 v[43:44], v20 offset0:95 offset1:143
	v_fma_f32 v18, -v27, v21, v18
	s_waitcnt lgkmcnt(1)
	v_fma_f32 v18, -v26, v34, v18
	ds_read2_b32 v[21:22], v20 offset0:141 offset1:142
	ds_read2_b32 v[23:24], v20 offset0:139 offset1:140
	v_fma_f32 v18, -v25, v33, v18
	v_fma_f32 v18, -v19, v32, v18
	v_mul_f32_e32 v18, v18, v31
	s_waitcnt lgkmcnt(2)
	v_mul_f32_e32 v31, v7, v44
	v_fma_f32 v17, s16, v17, -v31
	ds_read2_b32 v[31:32], v20 offset0:137 offset1:138
	s_waitcnt lgkmcnt(2)
	v_fma_f32 v17, -v6, v22, v17
	v_fma_f32 v17, -v5, v21, v17
	ds_read2_b32 v[21:22], v20 offset0:135 offset1:136
	s_waitcnt lgkmcnt(2)
	v_fma_f32 v17, -v4, v24, v17
	v_fma_f32 v17, -v11, v23, v17
	;; [unrolled: 4-line block ×4, first 2 shown]
	s_waitcnt lgkmcnt(1)
	v_fma_f32 v17, -v14, v24, v17
	ds_read2_b32 v[21:22], v20 offset0:129 offset1:130
	v_fma_f32 v17, -v13, v23, v17
	s_waitcnt lgkmcnt(1)
	v_fma_f32 v17, -v12, v32, v17
	v_fma_f32 v17, -v28, v31, v17
	ds_read2_b32 v[31:32], v20 offset0:127 offset1:128
	s_waitcnt lgkmcnt(1)
	v_fma_f32 v17, -v27, v22, v17
	ds_read2_b32 v[33:34], v20 offset0:125 offset1:126
	v_fma_f32 v17, -v26, v21, v17
	ds_read_b128 v[21:24], v20 offset:464
	s_waitcnt lgkmcnt(2)
	v_fma_f32 v17, -v25, v32, v17
	v_fma_f32 v17, -v19, v31, v17
	global_store_dwordx4 v[29:30], v[25:28], off offset:32
	s_waitcnt lgkmcnt(1)
	v_fma_f32 v17, -v18, v34, v17
	v_mul_f32_e32 v17, v17, v33
	s_waitcnt lgkmcnt(0)
	v_mul_f32_e32 v24, v7, v24
	ds_read_b128 v[31:34], v20 offset:432
	ds_read_b128 v[35:38], v20 offset:448
	v_fma_f32 v16, s16, v16, -v24
	v_fma_f32 v16, -v6, v23, v16
	v_fma_f32 v16, -v5, v22, v16
	;; [unrolled: 1-line block ×3, first 2 shown]
	s_waitcnt lgkmcnt(0)
	v_fma_f32 v16, -v11, v38, v16
	v_fma_f32 v16, -v10, v37, v16
	;; [unrolled: 1-line block ×3, first 2 shown]
	ds_read_b128 v[21:24], v20 offset:400
	ds_read_b128 v[39:42], v20 offset:416
	v_fma_f32 v16, -v8, v35, v16
	v_fma_f32 v16, -v15, v34, v16
	v_fma_f32 v16, -v14, v33, v16
	v_fma_f32 v16, -v13, v32, v16
	v_fma_f32 v16, -v12, v31, v16
	s_waitcnt lgkmcnt(0)
	v_fma_f32 v16, -v28, v42, v16
	v_fma_f32 v16, -v27, v41, v16
	;; [unrolled: 1-line block ×7, first 2 shown]
	v_mul_f32_e32 v16, v16, v21
	ds_read2_b32 v[21:22], v20 offset0:93 offset1:94
	ds_read2_b32 v[23:24], v20 offset0:91 offset1:92
	v_mul_f32_e32 v31, v7, v43
	v_fma_f32 v3, s16, v3, -v31
	ds_read2_b32 v[31:32], v20 offset0:89 offset1:90
	s_waitcnt lgkmcnt(2)
	v_fma_f32 v3, -v6, v22, v3
	v_fma_f32 v3, -v5, v21, v3
	ds_read2_b32 v[21:22], v20 offset0:87 offset1:88
	s_waitcnt lgkmcnt(2)
	v_fma_f32 v3, -v4, v24, v3
	v_fma_f32 v3, -v11, v23, v3
	;; [unrolled: 4-line block ×4, first 2 shown]
	ds_read2_b32 v[21:22], v20 offset0:81 offset1:82
	ds_read2_b32 v[33:34], v20 offset0:75 offset1:76
	s_waitcnt lgkmcnt(3)
	v_fma_f32 v3, -v14, v24, v3
	v_fma_f32 v3, -v13, v23, v3
	ds_read2_b32 v[23:24], v20 offset0:79 offset1:80
	s_waitcnt lgkmcnt(3)
	v_fma_f32 v3, -v12, v32, v3
	v_fma_f32 v3, -v28, v31, v3
	ds_read2_b32 v[31:32], v20 offset0:77 offset1:78
	s_waitcnt lgkmcnt(3)
	v_fma_f32 v3, -v27, v22, v3
	ds_read_b64 v[35:36], v20 offset:280
	v_fma_f32 v3, -v26, v21, v3
	s_waitcnt lgkmcnt(2)
	v_fma_f32 v3, -v25, v24, v3
	v_fma_f32 v3, -v19, v23, v3
	ds_read2_b64 v[21:24], v20 offset0:33 offset1:34
	s_waitcnt lgkmcnt(2)
	v_fma_f32 v3, -v18, v32, v3
	v_fma_f32 v3, -v17, v31, v3
	s_waitcnt lgkmcnt(1)
	v_mul_f32_e32 v31, v7, v36
	v_fma_f32 v3, -v16, v34, v3
	v_fma_f32 v2, s16, v2, -v31
	v_mul_f32_e32 v3, v3, v33
	v_fma_f32 v2, -v6, v35, v2
	ds_read2_b64 v[31:34], v20 offset0:31 offset1:32
	s_waitcnt lgkmcnt(1)
	v_fma_f32 v2, -v5, v24, v2
	v_fma_f32 v2, -v4, v23, v2
	v_fma_f32 v2, -v11, v22, v2
	v_fma_f32 v2, -v10, v21, v2
	ds_read2_b64 v[21:24], v20 offset0:29 offset1:30
	s_waitcnt lgkmcnt(1)
	v_fma_f32 v2, -v9, v34, v2
	v_fma_f32 v2, -v8, v33, v2
	v_fma_f32 v2, -v15, v32, v2
	;; [unrolled: 6-line block ×4, first 2 shown]
	v_fma_f32 v2, -v18, v31, v2
	s_waitcnt lgkmcnt(0)
	v_fma_f32 v2, -v17, v24, v2
	ds_read_b32 v24, v20 offset:188
	ds_read2_b32 v[31:32], v20 offset0:43 offset1:44
	v_fma_f32 v2, -v16, v23, v2
	v_fma_f32 v2, -v3, v22, v2
	ds_read2_b32 v[22:23], v20 offset0:45 offset1:46
	v_mul_f32_e32 v2, v2, v21
	s_waitcnt lgkmcnt(2)
	v_mul_f32_e32 v21, v7, v24
	v_fma_f32 v1, s16, v1, -v21
	global_store_dwordx4 v[29:30], v[16:19], off offset:16
	s_waitcnt lgkmcnt(0)
	v_fma_f32 v1, -v6, v23, v1
	ds_read2_b32 v[23:24], v20 offset0:41 offset1:42
	v_fma_f32 v1, -v5, v22, v1
	ds_read2_b32 v[21:22], v20 offset0:39 offset1:40
	v_fma_f32 v1, -v4, v32, v1
	v_fma_f32 v1, -v11, v31, v1
	s_waitcnt lgkmcnt(1)
	v_fma_f32 v1, -v10, v24, v1
	ds_read2_b32 v[31:32], v20 offset0:37 offset1:38
	v_fma_f32 v1, -v9, v23, v1
	s_waitcnt lgkmcnt(1)
	v_fma_f32 v1, -v8, v22, v1
	ds_read2_b32 v[22:23], v20 offset0:35 offset1:36
	;; [unrolled: 4-line block ×4, first 2 shown]
	v_fma_f32 v1, -v28, v22, v1
	ds_read2_b32 v[21:22], v20 offset0:29 offset1:30
	s_waitcnt lgkmcnt(2)
	v_fma_f32 v1, -v27, v33, v1
	v_fma_f32 v1, -v26, v32, v1
	s_waitcnt lgkmcnt(1)
	v_fma_f32 v1, -v25, v24, v1
	ds_read2_b32 v[31:32], v20 offset0:27 offset1:28
	ds_read2_b32 v[33:34], v20 offset0:25 offset1:26
	v_fma_f32 v1, -v19, v23, v1
	s_waitcnt lgkmcnt(2)
	v_fma_f32 v1, -v18, v22, v1
	v_fma_f32 v1, -v17, v21, v1
	ds_read_b128 v[21:24], v20 offset:80
	s_waitcnt lgkmcnt(2)
	v_fma_f32 v1, -v16, v32, v1
	v_fma_f32 v1, -v3, v31, v1
	s_waitcnt lgkmcnt(1)
	v_fma_f32 v1, -v2, v34, v1
	v_mul_f32_e32 v1, v1, v33
	ds_read_b128 v[31:34], v20 offset:64
	s_waitcnt lgkmcnt(1)
	v_mul_f32_e32 v7, v7, v24
	v_fma_f32 v0, s16, v0, -v7
	v_fma_f32 v0, -v6, v23, v0
	v_fma_f32 v0, -v5, v22, v0
	v_fma_f32 v0, -v4, v21, v0
	ds_read_b128 v[4:7], v20 offset:32
	ds_read_b128 v[21:24], v20 offset:48
	s_waitcnt lgkmcnt(2)
	v_fma_f32 v0, -v11, v34, v0
	v_fma_f32 v0, -v10, v33, v0
	;; [unrolled: 1-line block ×4, first 2 shown]
	s_waitcnt lgkmcnt(0)
	v_fma_f32 v0, -v15, v24, v0
	v_fma_f32 v0, -v14, v23, v0
	;; [unrolled: 1-line block ×3, first 2 shown]
	ds_read_b128 v[8:11], v20
	ds_read_b128 v[31:34], v20 offset:16
	v_fma_f32 v0, -v12, v21, v0
	v_fma_f32 v0, -v28, v7, v0
	;; [unrolled: 1-line block ×5, first 2 shown]
	s_waitcnt lgkmcnt(0)
	v_fma_f32 v0, -v19, v34, v0
	v_fma_f32 v0, -v18, v33, v0
	;; [unrolled: 1-line block ×7, first 2 shown]
	v_mul_f32_e32 v0, v0, v8
	global_store_dwordx4 v[29:30], v[0:3], off
	s_cmp_gt_i32 s0, -1
	s_cbranch_scc1 .LBB29_11
	s_branch .LBB29_33
.LBB29_10:
	s_mov_b32 s0, s3
	s_cmp_gt_i32 s0, -1
	s_cbranch_scc0 .LBB29_33
.LBB29_11:
	s_cmp_lt_u32 s0, 19
	s_cbranch_scc1 .LBB29_16
; %bb.12:
	s_mov_b32 s5, 0
	s_mov_b32 s1, s5
	s_lshl_b64 s[6:7], s[0:1], 2
	v_mov_b32_e32 v1, s7
	v_add_co_u32_e32 v0, vcc, s6, v29
	v_addc_co_u32_e32 v1, vcc, v30, v1, vcc
	global_load_dwordx4 v[2:5], v[0:1], off offset:-12
	global_load_dwordx4 v[10:13], v[0:1], off offset:-28
	global_load_dwordx4 v[16:19], v[0:1], off offset:-44
	global_load_dwordx4 v[22:25], v[0:1], off offset:-60
	global_load_dwordx4 v[31:34], v[0:1], off offset:-76
	s_cmp_le_i32 s3, s0
	s_waitcnt vmcnt(4)
	v_mul_f32_e32 v5, s16, v5
	v_mul_f32_e32 v21, s16, v4
	v_mul_f32_e32 v20, s16, v3
	v_mul_f32_e32 v6, s16, v2
	s_waitcnt vmcnt(3)
	v_mul_f32_e32 v8, s16, v13
	v_mul_f32_e32 v9, s16, v12
	v_mul_f32_e32 v11, s16, v11
	v_mul_f32_e32 v12, s16, v10
	;; [unrolled: 5-line block ×5, first 2 shown]
	s_cbranch_scc1 .LBB29_15
; %bb.13:
	s_mul_i32 s1, s0, 0x60
	s_lshl_b32 s4, s17, 2
	s_add_i32 s1, s1, s4
	s_addk_i32 s1, 0xf8dc
	s_mov_b32 s4, s3
.LBB29_14:                              ; =>This Inner Loop Header: Depth=1
	s_lshl_b64 s[6:7], s[4:5], 2
	v_mov_b32_e32 v23, s7
	v_add_co_u32_e32 v22, vcc, s6, v29
	v_addc_co_u32_e32 v23, vcc, v30, v23, vcc
	global_load_dword v28, v[22:23], off
	v_mov_b32_e32 v33, s1
	v_add_u32_e32 v41, 0x400, v33
	v_add_u32_e32 v43, 0x200, v33
	ds_read2_b32 v[22:23], v33 offset0:192 offset1:216
	ds_read2_b32 v[24:25], v33 offset0:144 offset1:168
	;; [unrolled: 1-line block ×4, first 2 shown]
	ds_read2_b32 v[33:34], v33 offset1:24
	ds_read2_b32 v[35:36], v41 offset0:176 offset1:200
	ds_read2_b32 v[37:38], v41 offset0:128 offset1:152
	;; [unrolled: 1-line block ×5, first 2 shown]
	s_add_i32 s4, s4, -1
	s_add_i32 s1, s1, -4
	s_cmp_gt_i32 s4, s0
	s_waitcnt vmcnt(0) lgkmcnt(4)
	v_fma_f32 v5, -v28, v36, v5
	v_fma_f32 v21, -v28, v35, v21
	s_waitcnt lgkmcnt(3)
	v_fma_f32 v20, -v28, v38, v20
	v_fma_f32 v6, -v28, v37, v6
	s_waitcnt lgkmcnt(2)
	;; [unrolled: 3-line block ×4, first 2 shown]
	v_fma_f32 v13, -v28, v44, v13
	v_fma_f32 v15, -v28, v43, v15
	;; [unrolled: 1-line block ×12, first 2 shown]
	s_cbranch_scc1 .LBB29_14
.LBB29_15:
	s_mul_i32 s1, s0, 0x64
	s_add_i32 s4, s0, -1
	v_mov_b32_e32 v22, s1
	s_mul_i32 s1, s4, 0x60
	s_lshl_b32 s5, s4, 2
	s_add_i32 s5, s1, s5
	ds_read_b32 v26, v22
	v_mov_b32_e32 v22, s5
	s_mov_b32 s5, 0
	s_add_i32 s7, s1, 0xffffffa0
	s_lshl_b32 s6, s0, 2
	s_lshl_b64 s[8:9], s[4:5], 2
	s_add_i32 s4, s0, -2
	s_add_i32 s10, s7, s6
	v_mov_b32_e32 v24, s10
	s_lshl_b32 s10, s4, 2
	s_add_i32 s7, s7, s10
	v_mov_b32_e32 v25, s7
	ds_read2_b32 v[22:23], v22 offset1:1
	ds_read_b32 v27, v24
	ds_read2_b32 v[24:25], v25 offset1:1
	s_waitcnt lgkmcnt(3)
	v_mul_f32_e32 v5, v5, v26
	global_store_dword v[0:1], v5, off
	s_waitcnt lgkmcnt(2)
	v_fma_f32 v0, -v5, v23, v21
	v_mov_b32_e32 v1, s9
	v_add_co_u32_e32 v21, vcc, s8, v29
	v_mul_f32_e32 v0, v0, v22
	v_addc_co_u32_e32 v22, vcc, v30, v1, vcc
	s_waitcnt lgkmcnt(1)
	v_fma_f32 v1, -v5, v27, v20
	s_lshl_b64 s[8:9], s[4:5], 2
	s_add_i32 s7, s1, 0xffffff40
	global_store_dword v[21:22], v0, off
	s_waitcnt lgkmcnt(0)
	v_fma_f32 v1, -v0, v25, v1
	v_mov_b32_e32 v21, s9
	v_add_co_u32_e32 v20, vcc, s8, v29
	s_add_i32 s8, s7, s6
	v_mul_f32_e32 v1, v1, v24
	v_addc_co_u32_e32 v21, vcc, v30, v21, vcc
	s_add_i32 s4, s0, -3
	s_add_i32 s8, s8, -4
	global_store_dword v[20:21], v1, off
	v_mov_b32_e32 v20, s8
	s_lshl_b32 s8, s4, 2
	s_add_i32 s7, s7, s8
	ds_read2_b32 v[20:21], v20 offset1:1
	v_mov_b32_e32 v22, s7
	s_add_i32 s7, s1, 0xfffffee0
	s_add_i32 s8, s7, s6
	v_mov_b32_e32 v24, s8
	s_add_i32 s8, s8, -8
	v_mov_b32_e32 v25, s8
	ds_read2_b32 v[22:23], v22 offset1:1
	ds_read_b32 v26, v24
	ds_read2_b32 v[24:25], v25 offset1:1
	s_waitcnt lgkmcnt(3)
	v_fma_f32 v6, -v5, v21, v6
	v_fma_f32 v6, -v0, v20, v6
	s_lshl_b64 s[8:9], s[4:5], 2
	s_add_i32 s4, s0, -4
	s_waitcnt lgkmcnt(2)
	v_fma_f32 v6, -v1, v23, v6
	v_mov_b32_e32 v21, s9
	v_add_co_u32_e32 v20, vcc, s8, v29
	s_lshl_b32 s8, s4, 2
	v_mul_f32_e32 v6, v6, v22
	v_addc_co_u32_e32 v21, vcc, v30, v21, vcc
	s_add_i32 s7, s7, s8
	global_store_dword v[20:21], v6, off
	v_mov_b32_e32 v20, s7
	s_add_i32 s7, s1, 0xfffffe80
	s_waitcnt lgkmcnt(1)
	v_fma_f32 v8, -v5, v26, v8
	s_add_i32 s10, s7, s6
	s_waitcnt lgkmcnt(0)
	v_fma_f32 v8, -v0, v25, v8
	s_lshl_b64 s[8:9], s[4:5], 2
	s_add_i32 s4, s0, -5
	s_add_i32 s11, s10, -4
	;; [unrolled: 1-line block ×3, first 2 shown]
	v_fma_f32 v8, -v1, v24, v8
	v_mov_b32_e32 v24, s10
	s_lshl_b32 s10, s4, 2
	s_add_i32 s7, s7, s10
	ds_read2_b32 v[20:21], v20 offset1:1
	v_mov_b32_e32 v22, s11
	v_mov_b32_e32 v26, s7
	ds_read2_b32 v[22:23], v22 offset1:1
	ds_read2_b32 v[24:25], v24 offset1:1
	;; [unrolled: 1-line block ×3, first 2 shown]
	s_add_i32 s7, s1, 0xfffffe20
	s_waitcnt lgkmcnt(3)
	v_fma_f32 v8, -v6, v21, v8
	s_waitcnt lgkmcnt(2)
	v_fma_f32 v9, -v5, v23, v9
	v_fma_f32 v9, -v0, v22, v9
	v_mul_f32_e32 v8, v8, v20
	v_mov_b32_e32 v21, s9
	v_add_co_u32_e32 v20, vcc, s8, v29
	s_waitcnt lgkmcnt(1)
	v_fma_f32 v9, -v1, v25, v9
	v_addc_co_u32_e32 v21, vcc, v30, v21, vcc
	v_fma_f32 v9, -v6, v24, v9
	s_lshl_b64 s[8:9], s[4:5], 2
	global_store_dword v[20:21], v8, off
	s_waitcnt lgkmcnt(0)
	v_fma_f32 v9, -v8, v27, v9
	v_mov_b32_e32 v21, s9
	v_add_co_u32_e32 v20, vcc, s8, v29
	s_add_i32 s8, s7, s6
	v_mul_f32_e32 v9, v9, v26
	v_addc_co_u32_e32 v21, vcc, v30, v21, vcc
	s_add_i32 s9, s8, -8
	global_store_dword v[20:21], v9, off
	s_add_i32 s4, s0, -6
	v_mov_b32_e32 v20, s8
	v_mov_b32_e32 v21, s9
	s_add_i32 s8, s8, -16
	ds_read_b32 v26, v20
	ds_read2_b32 v[20:21], v21 offset1:1
	v_mov_b32_e32 v22, s8
	s_lshl_b32 s8, s4, 2
	s_add_i32 s7, s7, s8
	v_mov_b32_e32 v24, s7
	ds_read2_b32 v[22:23], v22 offset1:1
	ds_read2_b32 v[24:25], v24 offset1:1
	s_waitcnt lgkmcnt(3)
	v_fma_f32 v11, -v5, v26, v11
	s_waitcnt lgkmcnt(2)
	v_fma_f32 v11, -v0, v21, v11
	v_fma_f32 v11, -v1, v20, v11
	s_waitcnt lgkmcnt(1)
	v_fma_f32 v11, -v6, v23, v11
	v_fma_f32 v11, -v8, v22, v11
	s_lshl_b64 s[8:9], s[4:5], 2
	s_add_i32 s7, s1, 0xfffffdc0
	s_waitcnt lgkmcnt(0)
	v_fma_f32 v11, -v9, v25, v11
	v_mov_b32_e32 v21, s9
	v_add_co_u32_e32 v20, vcc, s8, v29
	s_add_i32 s8, s7, s6
	v_mul_f32_e32 v11, v11, v24
	v_addc_co_u32_e32 v21, vcc, v30, v21, vcc
	s_add_i32 s9, s8, -4
	global_store_dword v[20:21], v11, off
	v_mov_b32_e32 v20, s9
	s_add_i32 s4, s0, -7
	ds_read2_b32 v[20:21], v20 offset1:1
	s_add_i32 s9, s8, -12
	s_sub_i32 s8, s8, 20
	v_mov_b32_e32 v24, s8
	s_lshl_b32 s8, s4, 2
	s_add_i32 s7, s7, s8
	v_mov_b32_e32 v22, s9
	v_mov_b32_e32 v26, s7
	ds_read2_b32 v[22:23], v22 offset1:1
	ds_read2_b32 v[24:25], v24 offset1:1
	;; [unrolled: 1-line block ×3, first 2 shown]
	s_waitcnt lgkmcnt(3)
	v_fma_f32 v12, -v5, v21, v12
	v_fma_f32 v12, -v0, v20, v12
	s_waitcnt lgkmcnt(2)
	v_fma_f32 v12, -v1, v23, v12
	v_fma_f32 v12, -v6, v22, v12
	;; [unrolled: 3-line block ×3, first 2 shown]
	s_lshl_b64 s[8:9], s[4:5], 2
	s_add_i32 s7, s1, 0xfffffd60
	s_waitcnt lgkmcnt(0)
	v_fma_f32 v12, -v11, v27, v12
	v_mov_b32_e32 v21, s9
	v_add_co_u32_e32 v20, vcc, s8, v29
	s_add_i32 s8, s7, s6
	v_mul_f32_e32 v12, v12, v26
	v_addc_co_u32_e32 v21, vcc, v30, v21, vcc
	s_add_i32 s9, s8, -8
	global_store_dword v[20:21], v12, off
	v_mov_b32_e32 v20, s8
	v_mov_b32_e32 v21, s9
	ds_read_b32 v26, v20
	ds_read2_b32 v[20:21], v21 offset1:1
	s_add_i32 s9, s8, -16
	s_sub_i32 s8, s8, 24
	s_add_i32 s4, s0, -8
	v_mov_b32_e32 v22, s9
	v_mov_b32_e32 v24, s8
	ds_read2_b32 v[22:23], v22 offset1:1
	ds_read2_b32 v[24:25], v24 offset1:1
	s_waitcnt lgkmcnt(3)
	v_fma_f32 v13, -v5, v26, v13
	s_lshl_b32 s8, s4, 2
	s_waitcnt lgkmcnt(2)
	v_fma_f32 v13, -v0, v21, v13
	s_add_i32 s7, s7, s8
	v_fma_f32 v13, -v1, v20, v13
	v_mov_b32_e32 v20, s7
	ds_read2_b32 v[20:21], v20 offset1:1
	s_waitcnt lgkmcnt(2)
	v_fma_f32 v13, -v6, v23, v13
	v_fma_f32 v13, -v8, v22, v13
	s_waitcnt lgkmcnt(1)
	v_fma_f32 v13, -v9, v25, v13
	v_fma_f32 v13, -v11, v24, v13
	s_waitcnt lgkmcnt(0)
	v_fma_f32 v13, -v12, v21, v13
	s_lshl_b64 s[8:9], s[4:5], 2
	s_add_i32 s7, s1, 0xfffffd00
	v_mul_f32_e32 v13, v13, v20
	v_mov_b32_e32 v21, s9
	v_add_co_u32_e32 v20, vcc, s8, v29
	s_add_i32 s8, s7, s6
	v_addc_co_u32_e32 v21, vcc, v30, v21, vcc
	s_add_i32 s9, s8, -4
	global_store_dword v[20:21], v13, off
	v_mov_b32_e32 v20, s9
	ds_read2_b32 v[20:21], v20 offset1:1
	s_add_i32 s9, s8, -12
	v_mov_b32_e32 v22, s9
	s_sub_i32 s9, s8, 20
	s_sub_i32 s8, s8, 28
	v_mov_b32_e32 v24, s9
	v_mov_b32_e32 v26, s8
	s_add_i32 s4, s0, -9
	ds_read2_b32 v[22:23], v22 offset1:1
	ds_read2_b32 v[24:25], v24 offset1:1
	;; [unrolled: 1-line block ×3, first 2 shown]
	s_waitcnt lgkmcnt(3)
	v_fma_f32 v15, -v5, v21, v15
	s_lshl_b32 s8, s4, 2
	v_fma_f32 v15, -v0, v20, v15
	s_add_i32 s7, s7, s8
	s_waitcnt lgkmcnt(2)
	v_fma_f32 v15, -v1, v23, v15
	v_mov_b32_e32 v20, s7
	v_fma_f32 v15, -v6, v22, v15
	ds_read2_b32 v[20:21], v20 offset1:1
	s_waitcnt lgkmcnt(2)
	v_fma_f32 v15, -v8, v25, v15
	v_fma_f32 v15, -v9, v24, v15
	s_waitcnt lgkmcnt(1)
	v_fma_f32 v15, -v11, v27, v15
	v_fma_f32 v15, -v12, v26, v15
	s_lshl_b64 s[8:9], s[4:5], 2
	s_add_i32 s7, s1, 0xfffffca0
	s_waitcnt lgkmcnt(0)
	v_fma_f32 v15, -v13, v21, v15
	v_mov_b32_e32 v21, s9
	s_add_i32 s9, s7, s6
	v_mul_f32_e32 v15, v15, v20
	v_mov_b32_e32 v20, s9
	ds_read_b32 v22, v20
	v_add_co_u32_e32 v20, vcc, s8, v29
	v_addc_co_u32_e32 v21, vcc, v30, v21, vcc
	s_add_i32 s8, s9, -8
	global_store_dword v[20:21], v15, off
	v_mov_b32_e32 v20, s8
	ds_read2_b32 v[20:21], v20 offset1:1
	s_add_i32 s8, s9, -16
	s_waitcnt lgkmcnt(1)
	v_fma_f32 v17, -v5, v22, v17
	v_mov_b32_e32 v22, s8
	s_sub_i32 s8, s9, 24
	v_mov_b32_e32 v24, s8
	s_sub_i32 s8, s9, 32
	v_mov_b32_e32 v26, s8
	s_add_i32 s4, s0, -10
	ds_read2_b32 v[22:23], v22 offset1:1
	ds_read2_b32 v[24:25], v24 offset1:1
	;; [unrolled: 1-line block ×3, first 2 shown]
	s_waitcnt lgkmcnt(3)
	v_fma_f32 v17, -v0, v21, v17
	s_lshl_b32 s8, s4, 2
	v_fma_f32 v17, -v1, v20, v17
	s_add_i32 s7, s7, s8
	s_waitcnt lgkmcnt(2)
	v_fma_f32 v17, -v6, v23, v17
	v_mov_b32_e32 v20, s7
	v_fma_f32 v17, -v8, v22, v17
	ds_read2_b32 v[20:21], v20 offset1:1
	s_waitcnt lgkmcnt(2)
	v_fma_f32 v17, -v9, v25, v17
	v_fma_f32 v17, -v11, v24, v17
	s_waitcnt lgkmcnt(1)
	v_fma_f32 v17, -v12, v27, v17
	v_fma_f32 v17, -v13, v26, v17
	s_waitcnt lgkmcnt(0)
	v_fma_f32 v17, -v15, v21, v17
	s_lshl_b64 s[8:9], s[4:5], 2
	s_add_i32 s7, s1, 0xfffffc40
	v_mul_f32_e32 v17, v17, v20
	v_mov_b32_e32 v21, s9
	v_add_co_u32_e32 v20, vcc, s8, v29
	s_add_i32 s8, s7, s6
	v_addc_co_u32_e32 v21, vcc, v30, v21, vcc
	s_add_i32 s9, s8, -4
	global_store_dword v[20:21], v17, off
	v_mov_b32_e32 v20, s9
	ds_read2_b32 v[20:21], v20 offset1:1
	s_add_i32 s9, s8, -12
	v_mov_b32_e32 v22, s9
	s_sub_i32 s9, s8, 20
	v_mov_b32_e32 v24, s9
	s_sub_i32 s9, s8, 28
	v_mov_b32_e32 v26, s9
	ds_read2_b32 v[22:23], v22 offset1:1
	ds_read2_b32 v[24:25], v24 offset1:1
	;; [unrolled: 1-line block ×3, first 2 shown]
	s_waitcnt lgkmcnt(3)
	v_fma_f32 v19, -v5, v21, v19
	v_fma_f32 v19, -v0, v20, v19
	s_waitcnt lgkmcnt(2)
	v_fma_f32 v19, -v1, v23, v19
	v_fma_f32 v19, -v6, v22, v19
	s_add_i32 s4, s0, -11
	s_waitcnt lgkmcnt(1)
	v_fma_f32 v19, -v8, v25, v19
	s_sub_i32 s8, s8, 36
	v_fma_f32 v23, -v9, v24, v19
	v_mov_b32_e32 v19, s8
	s_lshl_b32 s8, s4, 2
	ds_read2_b32 v[19:20], v19 offset1:1
	s_add_i32 s7, s7, s8
	v_mov_b32_e32 v21, s7
	ds_read2_b32 v[21:22], v21 offset1:1
	s_waitcnt lgkmcnt(2)
	v_fma_f32 v23, -v11, v27, v23
	v_fma_f32 v23, -v12, v26, v23
	s_waitcnt lgkmcnt(1)
	v_fma_f32 v20, -v13, v20, v23
	v_fma_f32 v19, -v15, v19, v20
	s_waitcnt lgkmcnt(0)
	v_fma_f32 v19, -v17, v22, v19
	s_lshl_b64 s[8:9], s[4:5], 2
	s_add_i32 s7, s1, 0xfffffbe0
	v_mul_f32_e32 v19, v19, v21
	v_mov_b32_e32 v21, s9
	s_add_i32 s9, s7, s6
	v_mov_b32_e32 v20, s9
	ds_read_b32 v22, v20
	v_add_co_u32_e32 v20, vcc, s8, v29
	v_addc_co_u32_e32 v21, vcc, v30, v21, vcc
	s_add_i32 s8, s9, -8
	global_store_dword v[20:21], v19, off
	v_mov_b32_e32 v20, s8
	ds_read2_b32 v[20:21], v20 offset1:1
	s_add_i32 s8, s9, -16
	s_waitcnt lgkmcnt(1)
	v_fma_f32 v18, -v5, v22, v18
	v_mov_b32_e32 v22, s8
	s_sub_i32 s8, s9, 24
	v_mov_b32_e32 v24, s8
	s_sub_i32 s8, s9, 32
	v_mov_b32_e32 v26, s8
	ds_read2_b32 v[22:23], v22 offset1:1
	ds_read2_b32 v[24:25], v24 offset1:1
	;; [unrolled: 1-line block ×3, first 2 shown]
	s_waitcnt lgkmcnt(3)
	v_fma_f32 v18, -v0, v21, v18
	s_add_i32 s4, s0, -12
	v_fma_f32 v18, -v1, v20, v18
	s_sub_i32 s8, s9, 40
	s_waitcnt lgkmcnt(2)
	v_fma_f32 v18, -v6, v23, v18
	v_mov_b32_e32 v20, s8
	s_lshl_b32 s8, s4, 2
	v_fma_f32 v18, -v8, v22, v18
	ds_read2_b32 v[20:21], v20 offset1:1
	s_add_i32 s7, s7, s8
	s_waitcnt lgkmcnt(2)
	v_fma_f32 v18, -v9, v25, v18
	v_mov_b32_e32 v22, s7
	v_fma_f32 v18, -v11, v24, v18
	ds_read2_b32 v[22:23], v22 offset1:1
	s_waitcnt lgkmcnt(2)
	v_fma_f32 v18, -v12, v27, v18
	v_fma_f32 v18, -v13, v26, v18
	s_waitcnt lgkmcnt(1)
	v_fma_f32 v18, -v15, v21, v18
	v_fma_f32 v18, -v17, v20, v18
	s_lshl_b64 s[8:9], s[4:5], 2
	s_add_i32 s7, s1, 0xfffffb80
	s_waitcnt lgkmcnt(0)
	v_fma_f32 v18, -v19, v23, v18
	v_mov_b32_e32 v21, s9
	v_add_co_u32_e32 v20, vcc, s8, v29
	s_add_i32 s8, s7, s6
	v_mul_f32_e32 v18, v18, v22
	v_addc_co_u32_e32 v21, vcc, v30, v21, vcc
	s_add_i32 s9, s8, -4
	global_store_dword v[20:21], v18, off
	v_mov_b32_e32 v20, s9
	ds_read2_b32 v[20:21], v20 offset1:1
	s_add_i32 s9, s8, -12
	v_mov_b32_e32 v22, s9
	s_sub_i32 s9, s8, 20
	v_mov_b32_e32 v24, s9
	s_sub_i32 s9, s8, 28
	v_mov_b32_e32 v26, s9
	ds_read2_b32 v[22:23], v22 offset1:1
	ds_read2_b32 v[24:25], v24 offset1:1
	;; [unrolled: 1-line block ×3, first 2 shown]
	s_waitcnt lgkmcnt(3)
	v_fma_f32 v16, -v5, v21, v16
	v_fma_f32 v16, -v0, v20, v16
	s_waitcnt lgkmcnt(2)
	v_fma_f32 v16, -v1, v23, v16
	s_sub_i32 s9, s8, 36
	s_sub_i32 s8, s8, 44
	s_add_i32 s4, s0, -13
	v_fma_f32 v16, -v6, v22, v16
	v_mov_b32_e32 v20, s9
	v_mov_b32_e32 v22, s8
	s_waitcnt lgkmcnt(1)
	v_fma_f32 v16, -v8, v25, v16
	ds_read2_b32 v[20:21], v20 offset1:1
	ds_read2_b32 v[22:23], v22 offset1:1
	s_lshl_b32 s8, s4, 2
	v_fma_f32 v16, -v9, v24, v16
	s_add_i32 s7, s7, s8
	s_waitcnt lgkmcnt(2)
	v_fma_f32 v16, -v11, v27, v16
	v_mov_b32_e32 v24, s7
	v_fma_f32 v16, -v12, v26, v16
	ds_read2_b32 v[24:25], v24 offset1:1
	s_waitcnt lgkmcnt(2)
	v_fma_f32 v16, -v13, v21, v16
	s_lshl_b64 s[8:9], s[4:5], 2
	s_add_i32 s7, s1, 0xfffffb20
	v_fma_f32 v16, -v15, v20, v16
	v_mov_b32_e32 v21, s9
	s_add_i32 s9, s7, s6
	s_waitcnt lgkmcnt(1)
	v_fma_f32 v16, -v17, v23, v16
	v_mov_b32_e32 v20, s9
	v_fma_f32 v16, -v19, v22, v16
	ds_read_b32 v22, v20
	s_waitcnt lgkmcnt(1)
	v_fma_f32 v16, -v18, v25, v16
	v_add_co_u32_e32 v20, vcc, s8, v29
	v_mul_f32_e32 v16, v16, v24
	v_addc_co_u32_e32 v21, vcc, v30, v21, vcc
	s_add_i32 s8, s9, -8
	global_store_dword v[20:21], v16, off
	v_mov_b32_e32 v20, s8
	ds_read2_b32 v[20:21], v20 offset1:1
	s_add_i32 s8, s9, -16
	s_waitcnt lgkmcnt(1)
	v_fma_f32 v14, -v5, v22, v14
	v_mov_b32_e32 v22, s8
	s_sub_i32 s8, s9, 24
	v_mov_b32_e32 v24, s8
	s_sub_i32 s8, s9, 32
	v_mov_b32_e32 v26, s8
	ds_read2_b32 v[22:23], v22 offset1:1
	ds_read2_b32 v[24:25], v24 offset1:1
	;; [unrolled: 1-line block ×3, first 2 shown]
	s_waitcnt lgkmcnt(3)
	v_fma_f32 v14, -v0, v21, v14
	v_fma_f32 v14, -v1, v20, v14
	s_sub_i32 s8, s9, 40
	s_waitcnt lgkmcnt(2)
	v_fma_f32 v14, -v6, v23, v14
	v_mov_b32_e32 v20, s8
	s_sub_i32 s8, s9, 48
	s_add_i32 s4, s0, -14
	v_fma_f32 v14, -v8, v22, v14
	v_mov_b32_e32 v22, s8
	s_waitcnt lgkmcnt(1)
	v_fma_f32 v14, -v9, v25, v14
	ds_read2_b32 v[20:21], v20 offset1:1
	ds_read2_b32 v[22:23], v22 offset1:1
	s_lshl_b32 s8, s4, 2
	v_fma_f32 v14, -v11, v24, v14
	s_add_i32 s7, s7, s8
	s_waitcnt lgkmcnt(2)
	v_fma_f32 v14, -v12, v27, v14
	v_mov_b32_e32 v24, s7
	v_fma_f32 v14, -v13, v26, v14
	ds_read2_b32 v[24:25], v24 offset1:1
	s_waitcnt lgkmcnt(2)
	v_fma_f32 v14, -v15, v21, v14
	v_fma_f32 v14, -v17, v20, v14
	s_waitcnt lgkmcnt(1)
	v_fma_f32 v14, -v19, v23, v14
	v_fma_f32 v14, -v18, v22, v14
	s_lshl_b64 s[8:9], s[4:5], 2
	s_add_i32 s7, s1, 0xfffffac0
	s_waitcnt lgkmcnt(0)
	v_fma_f32 v14, -v16, v25, v14
	v_mov_b32_e32 v21, s9
	v_add_co_u32_e32 v20, vcc, s8, v29
	s_add_i32 s8, s7, s6
	v_mul_f32_e32 v14, v14, v24
	v_addc_co_u32_e32 v21, vcc, v30, v21, vcc
	s_add_i32 s9, s8, -4
	global_store_dword v[20:21], v14, off
	v_mov_b32_e32 v20, s9
	ds_read2_b32 v[20:21], v20 offset1:1
	s_add_i32 s9, s8, -12
	v_mov_b32_e32 v22, s9
	s_sub_i32 s9, s8, 20
	v_mov_b32_e32 v24, s9
	s_sub_i32 s9, s8, 28
	v_mov_b32_e32 v26, s9
	ds_read2_b32 v[22:23], v22 offset1:1
	ds_read2_b32 v[24:25], v24 offset1:1
	;; [unrolled: 1-line block ×3, first 2 shown]
	s_waitcnt lgkmcnt(3)
	v_fma_f32 v10, -v5, v21, v10
	v_fma_f32 v10, -v0, v20, v10
	s_sub_i32 s9, s8, 36
	s_waitcnt lgkmcnt(2)
	v_fma_f32 v10, -v1, v23, v10
	v_mov_b32_e32 v20, s9
	v_fma_f32 v10, -v6, v22, v10
	ds_read2_b32 v[20:21], v20 offset1:1
	s_waitcnt lgkmcnt(2)
	v_fma_f32 v10, -v8, v25, v10
	v_fma_f32 v10, -v9, v24, v10
	s_sub_i32 s9, s8, 44
	s_sub_i32 s8, s8, 52
	s_add_i32 s4, s0, -15
	s_waitcnt lgkmcnt(1)
	v_fma_f32 v10, -v11, v27, v10
	v_mov_b32_e32 v22, s9
	v_mov_b32_e32 v24, s8
	v_fma_f32 v10, -v12, v26, v10
	ds_read2_b32 v[22:23], v22 offset1:1
	ds_read2_b32 v[24:25], v24 offset1:1
	s_lshl_b32 s8, s4, 2
	s_waitcnt lgkmcnt(2)
	v_fma_f32 v10, -v13, v21, v10
	s_add_i32 s7, s7, s8
	v_fma_f32 v10, -v15, v20, v10
	v_mov_b32_e32 v20, s7
	ds_read2_b32 v[20:21], v20 offset1:1
	s_waitcnt lgkmcnt(2)
	v_fma_f32 v10, -v17, v23, v10
	v_fma_f32 v10, -v19, v22, v10
	s_waitcnt lgkmcnt(1)
	v_fma_f32 v10, -v18, v25, v10
	v_fma_f32 v10, -v16, v24, v10
	s_lshl_b64 s[8:9], s[4:5], 2
	s_add_i32 s7, s1, 0xfffffa60
	s_waitcnt lgkmcnt(0)
	v_fma_f32 v10, -v14, v21, v10
	v_mov_b32_e32 v21, s9
	s_add_i32 s9, s7, s6
	v_mul_f32_e32 v10, v10, v20
	v_mov_b32_e32 v20, s9
	ds_read_b32 v22, v20
	v_add_co_u32_e32 v20, vcc, s8, v29
	v_addc_co_u32_e32 v21, vcc, v30, v21, vcc
	s_add_i32 s8, s9, -8
	global_store_dword v[20:21], v10, off
	v_mov_b32_e32 v20, s8
	ds_read2_b32 v[20:21], v20 offset1:1
	s_add_i32 s8, s9, -16
	s_waitcnt lgkmcnt(1)
	v_fma_f32 v7, -v5, v22, v7
	v_mov_b32_e32 v22, s8
	s_sub_i32 s8, s9, 24
	v_mov_b32_e32 v24, s8
	s_sub_i32 s8, s9, 32
	v_mov_b32_e32 v26, s8
	ds_read2_b32 v[22:23], v22 offset1:1
	ds_read2_b32 v[24:25], v24 offset1:1
	;; [unrolled: 1-line block ×3, first 2 shown]
	s_waitcnt lgkmcnt(3)
	v_fma_f32 v7, -v0, v21, v7
	v_fma_f32 v7, -v1, v20, v7
	s_sub_i32 s8, s9, 40
	s_waitcnt lgkmcnt(2)
	v_fma_f32 v7, -v6, v23, v7
	v_mov_b32_e32 v20, s8
	v_fma_f32 v7, -v8, v22, v7
	ds_read2_b32 v[20:21], v20 offset1:1
	s_waitcnt lgkmcnt(2)
	v_fma_f32 v7, -v9, v25, v7
	s_sub_i32 s8, s9, 48
	v_fma_f32 v7, -v11, v24, v7
	v_mov_b32_e32 v22, s8
	s_sub_i32 s8, s9, 56
	s_add_i32 s4, s0, -16
	s_waitcnt lgkmcnt(1)
	v_fma_f32 v7, -v12, v27, v7
	v_mov_b32_e32 v24, s8
	v_fma_f32 v7, -v13, v26, v7
	ds_read2_b32 v[22:23], v22 offset1:1
	ds_read2_b32 v[24:25], v24 offset1:1
	s_lshl_b32 s8, s4, 2
	s_waitcnt lgkmcnt(2)
	v_fma_f32 v7, -v15, v21, v7
	s_add_i32 s7, s7, s8
	v_fma_f32 v7, -v17, v20, v7
	v_mov_b32_e32 v20, s7
	ds_read2_b32 v[20:21], v20 offset1:1
	s_waitcnt lgkmcnt(2)
	v_fma_f32 v7, -v19, v23, v7
	v_fma_f32 v7, -v18, v22, v7
	s_waitcnt lgkmcnt(1)
	v_fma_f32 v7, -v16, v25, v7
	v_fma_f32 v7, -v14, v24, v7
	s_waitcnt lgkmcnt(0)
	v_fma_f32 v7, -v10, v21, v7
	s_lshl_b64 s[8:9], s[4:5], 2
	s_add_i32 s7, s1, 0xfffffa00
	v_mul_f32_e32 v28, v7, v20
	v_add_co_u32_e32 v20, vcc, s8, v29
	s_add_i32 s8, s7, s6
	v_mov_b32_e32 v7, s9
	s_add_i32 s9, s8, -4
	v_addc_co_u32_e32 v21, vcc, v30, v7, vcc
	v_mov_b32_e32 v7, s9
	global_store_dword v[20:21], v28, off
	ds_read2_b32 v[20:21], v7 offset1:1
	s_add_i32 s9, s8, -12
	v_mov_b32_e32 v7, s9
	s_sub_i32 s9, s8, 20
	v_mov_b32_e32 v24, s9
	s_sub_i32 s9, s8, 28
	v_mov_b32_e32 v26, s9
	ds_read2_b32 v[22:23], v7 offset1:1
	ds_read2_b32 v[24:25], v24 offset1:1
	;; [unrolled: 1-line block ×3, first 2 shown]
	s_waitcnt lgkmcnt(3)
	v_fma_f32 v4, -v5, v21, v4
	v_fma_f32 v4, -v0, v20, v4
	s_waitcnt lgkmcnt(2)
	v_fma_f32 v4, -v1, v23, v4
	s_sub_i32 s9, s8, 36
	v_fma_f32 v4, -v6, v22, v4
	v_mov_b32_e32 v7, s9
	s_waitcnt lgkmcnt(1)
	v_fma_f32 v4, -v8, v25, v4
	ds_read2_b32 v[20:21], v7 offset1:1
	v_fma_f32 v4, -v9, v24, v4
	s_sub_i32 s9, s8, 44
	s_waitcnt lgkmcnt(1)
	v_fma_f32 v4, -v11, v27, v4
	v_mov_b32_e32 v7, s9
	s_sub_i32 s9, s8, 52
	s_sub_i32 s8, s8, 60
	v_fma_f32 v4, -v12, v26, v4
	v_mov_b32_e32 v24, s9
	v_mov_b32_e32 v26, s8
	s_sub_i32 s4, s0, 17
	ds_read2_b32 v[22:23], v7 offset1:1
	ds_read2_b32 v[24:25], v24 offset1:1
	ds_read2_b32 v[26:27], v26 offset1:1
	s_waitcnt lgkmcnt(3)
	v_fma_f32 v4, -v13, v21, v4
	s_lshl_b32 s8, s4, 2
	v_fma_f32 v4, -v15, v20, v4
	s_add_i32 s7, s7, s8
	s_waitcnt lgkmcnt(2)
	v_fma_f32 v4, -v17, v23, v4
	v_mov_b32_e32 v7, s7
	v_fma_f32 v4, -v19, v22, v4
	ds_read2_b32 v[20:21], v7 offset1:1
	s_waitcnt lgkmcnt(2)
	v_fma_f32 v4, -v18, v25, v4
	v_fma_f32 v4, -v16, v24, v4
	s_waitcnt lgkmcnt(1)
	v_fma_f32 v4, -v14, v27, v4
	v_fma_f32 v4, -v10, v26, v4
	s_waitcnt lgkmcnt(0)
	v_fma_f32 v4, -v28, v21, v4
	s_lshl_b64 s[8:9], s[4:5], 2
	s_add_i32 s7, s1, 0xfffff9a0
	v_mul_f32_e32 v26, v4, v20
	v_mov_b32_e32 v4, s9
	s_add_i32 s9, s7, s6
	v_mov_b32_e32 v7, s9
	ds_read_b32 v7, v7
	v_add_co_u32_e32 v20, vcc, s8, v29
	s_add_i32 s8, s9, -8
	v_addc_co_u32_e32 v21, vcc, v30, v4, vcc
	s_waitcnt lgkmcnt(0)
	v_fma_f32 v7, -v5, v7, v3
	v_mov_b32_e32 v3, s8
	ds_read2_b32 v[3:4], v3 offset1:1
	s_add_i32 s8, s9, -16
	global_store_dword v[20:21], v26, off
	v_mov_b32_e32 v20, s8
	s_sub_i32 s8, s9, 24
	v_mov_b32_e32 v22, s8
	s_sub_i32 s8, s9, 32
	v_mov_b32_e32 v24, s8
	ds_read2_b32 v[20:21], v20 offset1:1
	ds_read2_b32 v[22:23], v22 offset1:1
	;; [unrolled: 1-line block ×3, first 2 shown]
	s_waitcnt lgkmcnt(3)
	v_fma_f32 v4, -v0, v4, v7
	v_fma_f32 v3, -v1, v3, v4
	s_waitcnt lgkmcnt(2)
	v_fma_f32 v3, -v6, v21, v3
	v_fma_f32 v3, -v8, v20, v3
	;; [unrolled: 3-line block ×3, first 2 shown]
	s_waitcnt lgkmcnt(0)
	v_fma_f32 v3, -v12, v25, v3
	s_sub_i32 s8, s9, 40
	v_fma_f32 v7, -v13, v24, v3
	v_mov_b32_e32 v3, s8
	ds_read2_b32 v[3:4], v3 offset1:1
	s_sub_i32 s8, s9, 48
	v_mov_b32_e32 v20, s8
	s_sub_i32 s8, s9, 56
	v_mov_b32_e32 v22, s8
	;; [unrolled: 2-line block ×3, first 2 shown]
	ds_read2_b32 v[20:21], v20 offset1:1
	ds_read2_b32 v[22:23], v22 offset1:1
	ds_read2_b32 v[24:25], v24 offset1:1
	s_sub_i32 s4, s0, 18
	s_waitcnt lgkmcnt(3)
	v_fma_f32 v4, -v15, v4, v7
	v_fma_f32 v3, -v17, v3, v4
	s_lshl_b32 s8, s4, 2
	s_waitcnt lgkmcnt(2)
	v_fma_f32 v3, -v19, v21, v3
	s_add_i32 s7, s7, s8
	v_fma_f32 v7, -v18, v20, v3
	v_mov_b32_e32 v3, s7
	ds_read2_b32 v[3:4], v3 offset1:1
	s_waitcnt lgkmcnt(2)
	v_fma_f32 v7, -v16, v23, v7
	v_fma_f32 v7, -v14, v22, v7
	s_waitcnt lgkmcnt(1)
	v_fma_f32 v7, -v10, v25, v7
	v_fma_f32 v7, -v28, v24, v7
	s_waitcnt lgkmcnt(0)
	v_fma_f32 v4, -v26, v4, v7
	s_lshl_b64 s[8:9], s[4:5], 2
	s_addk_i32 s1, 0xf940
	v_mul_f32_e32 v27, v4, v3
	v_mov_b32_e32 v4, s9
	v_add_co_u32_e32 v3, vcc, s8, v29
	s_add_i32 s6, s1, s6
	v_addc_co_u32_e32 v4, vcc, v30, v4, vcc
	s_add_i32 s7, s6, -4
	global_store_dword v[3:4], v27, off
	v_mov_b32_e32 v3, s7
	ds_read2_b32 v[3:4], v3 offset1:1
	s_add_i32 s7, s6, -12
	v_mov_b32_e32 v7, s7
	s_sub_i32 s7, s6, 20
	v_mov_b32_e32 v22, s7
	s_sub_i32 s7, s6, 28
	v_mov_b32_e32 v24, s7
	ds_read2_b32 v[20:21], v7 offset1:1
	ds_read2_b32 v[22:23], v22 offset1:1
	;; [unrolled: 1-line block ×3, first 2 shown]
	s_waitcnt lgkmcnt(3)
	v_fma_f32 v2, -v5, v4, v2
	v_fma_f32 v0, -v0, v3, v2
	s_waitcnt lgkmcnt(2)
	v_fma_f32 v0, -v1, v21, v0
	v_fma_f32 v0, -v6, v20, v0
	;; [unrolled: 3-line block ×3, first 2 shown]
	s_waitcnt lgkmcnt(0)
	v_fma_f32 v0, -v11, v25, v0
	s_sub_i32 s7, s6, 36
	v_fma_f32 v8, -v12, v24, v0
	v_mov_b32_e32 v0, s7
	ds_read2_b32 v[0:1], v0 offset1:1
	s_sub_i32 s7, s6, 44
	v_mov_b32_e32 v2, s7
	s_sub_i32 s7, s6, 52
	v_mov_b32_e32 v4, s7
	;; [unrolled: 2-line block ×3, first 2 shown]
	ds_read2_b32 v[2:3], v2 offset1:1
	ds_read2_b32 v[4:5], v4 offset1:1
	;; [unrolled: 1-line block ×3, first 2 shown]
	s_waitcnt lgkmcnt(3)
	v_fma_f32 v1, -v13, v1, v8
	v_fma_f32 v0, -v15, v0, v1
	s_waitcnt lgkmcnt(2)
	v_fma_f32 v0, -v17, v3, v0
	v_fma_f32 v0, -v19, v2, v0
	s_sub_i32 s4, s0, 19
	s_waitcnt lgkmcnt(1)
	v_fma_f32 v0, -v18, v5, v0
	s_addk_i32 s6, 0xffbc
	v_fma_f32 v4, -v16, v4, v0
	v_mov_b32_e32 v0, s6
	s_lshl_b32 s6, s4, 2
	ds_read2_b32 v[0:1], v0 offset1:1
	s_add_i32 s1, s1, s6
	v_mov_b32_e32 v2, s1
	ds_read2_b32 v[2:3], v2 offset1:1
	s_waitcnt lgkmcnt(2)
	v_fma_f32 v4, -v14, v7, v4
	v_fma_f32 v4, -v10, v6, v4
	s_waitcnt lgkmcnt(1)
	v_fma_f32 v1, -v28, v1, v4
	v_fma_f32 v0, -v26, v0, v1
	s_waitcnt lgkmcnt(0)
	v_fma_f32 v0, -v27, v3, v0
	s_lshl_b64 s[4:5], s[4:5], 2
	v_mul_f32_e32 v2, v0, v2
	v_mov_b32_e32 v1, s5
	v_add_co_u32_e32 v0, vcc, s4, v29
	v_addc_co_u32_e32 v1, vcc, v30, v1, vcc
	s_sub_i32 s0, s0, 20
	global_store_dword v[0:1], v2, off
.LBB29_16:
	s_cmp_lt_i32 s0, 0
	s_cbranch_scc1 .LBB29_33
; %bb.17:
	s_and_b32 s1, s0, 3
	s_cmp_eq_u32 s1, 3
	s_mov_b32 s4, s0
	s_cbranch_scc1 .LBB29_22
; %bb.18:
	s_mul_i32 s4, s0, 0x60
	s_lshl_b32 s5, s17, 2
	s_add_i32 s1, s0, 1
	s_add_i32 s4, s4, s5
	s_and_b32 s1, s1, 3
	s_add_i32 s8, s4, -4
	s_mov_b32 s7, 0
	s_mov_b32 s4, s0
	;; [unrolled: 1-line block ×3, first 2 shown]
	s_branch .LBB29_20
.LBB29_19:                              ;   in Loop: Header=BB29_20 Depth=1
	s_mul_i32 s5, s4, 0x64
	v_mov_b32_e32 v3, s5
	ds_read_b32 v3, v3
	s_add_i32 s4, s4, -1
	s_add_i32 s9, s9, 1
	s_addk_i32 s8, 0xffa0
	s_cmp_lg_u32 s9, s1
	s_waitcnt lgkmcnt(0)
	v_mul_f32_e32 v2, v2, v3
	global_store_dword v[0:1], v2, off
	s_cbranch_scc0 .LBB29_22
.LBB29_20:                              ; =>This Loop Header: Depth=1
                                        ;     Child Loop BB29_21 Depth 2
	s_mov_b32 s5, s7
	s_lshl_b64 s[10:11], s[4:5], 2
	v_mov_b32_e32 v1, s11
	v_add_co_u32_e32 v0, vcc, s10, v29
	v_addc_co_u32_e32 v1, vcc, v30, v1, vcc
	global_load_dword v2, v[0:1], off
	s_mov_b32 s5, s8
	s_cmp_le_i32 s3, s4
	s_mov_b32 s6, s3
	s_waitcnt vmcnt(0)
	v_mul_f32_e32 v2, s16, v2
	s_cbranch_scc1 .LBB29_19
.LBB29_21:                              ;   Parent Loop BB29_20 Depth=1
                                        ; =>  This Inner Loop Header: Depth=2
	s_lshl_b64 s[10:11], s[6:7], 2
	v_mov_b32_e32 v4, s11
	v_add_co_u32_e32 v3, vcc, s10, v29
	v_addc_co_u32_e32 v4, vcc, v30, v4, vcc
	global_load_dword v3, v[3:4], off
	v_mov_b32_e32 v4, s5
	ds_read_b32 v4, v4
	s_add_i32 s6, s6, -1
	s_add_i32 s5, s5, -4
	s_cmp_gt_i32 s6, s4
	s_waitcnt vmcnt(0) lgkmcnt(0)
	v_fma_f32 v2, -v3, v4, v2
	s_cbranch_scc1 .LBB29_21
	s_branch .LBB29_19
.LBB29_22:
	s_cmp_lt_u32 s0, 3
	s_cbranch_scc1 .LBB29_33
; %bb.23:
	s_mul_i32 s0, s4, 0x60
	s_lshl_b32 s1, s17, 2
	s_add_i32 s0, s0, s1
	s_add_i32 s8, s0, -4
	s_add_i32 s9, s0, 0xffffff9c
	s_add_i32 s10, s0, 0xffffff3c
	;; [unrolled: 1-line block ×3, first 2 shown]
	s_mov_b32 s1, 0
	s_branch .LBB29_25
.LBB29_24:                              ;   in Loop: Header=BB29_25 Depth=1
	s_add_i32 s0, s5, 0xffffff9c
	v_mov_b32_e32 v3, s0
	ds_read_b32 v3, v3
	s_add_i32 s0, s4, -4
	s_addk_i32 s8, 0xfe80
	s_addk_i32 s9, 0xfe80
	;; [unrolled: 1-line block ×4, first 2 shown]
	s_waitcnt lgkmcnt(0)
	v_mul_f32_e32 v2, v2, v3
	s_cmp_lt_i32 s4, 4
	s_mov_b32 s4, s0
	global_store_dword v[0:1], v2, off
	s_cbranch_scc1 .LBB29_33
.LBB29_25:                              ; =>This Loop Header: Depth=1
                                        ;     Child Loop BB29_26 Depth 2
                                        ;     Child Loop BB29_28 Depth 2
                                        ;     Child Loop BB29_30 Depth 2
                                        ;     Child Loop BB29_32 Depth 2
	s_mov_b32 s5, s1
	s_lshl_b64 s[6:7], s[4:5], 2
	v_mov_b32_e32 v0, s7
	v_add_co_u32_e32 v2, vcc, s6, v29
	v_addc_co_u32_e32 v3, vcc, v30, v0, vcc
	global_load_dword v0, v[2:3], off
	s_mov_b32 s5, s8
	s_cmp_le_i32 s3, s4
	s_mov_b32 s0, s3
	s_waitcnt vmcnt(0)
	v_mul_f32_e32 v4, s16, v0
	s_cbranch_scc1 .LBB29_27
.LBB29_26:                              ;   Parent Loop BB29_25 Depth=1
                                        ; =>  This Inner Loop Header: Depth=2
	s_lshl_b64 s[6:7], s[0:1], 2
	v_mov_b32_e32 v1, s7
	v_add_co_u32_e32 v0, vcc, s6, v29
	v_addc_co_u32_e32 v1, vcc, v30, v1, vcc
	global_load_dword v0, v[0:1], off
	v_mov_b32_e32 v1, s5
	ds_read_b32 v1, v1
	s_add_i32 s0, s0, -1
	s_add_i32 s5, s5, -4
	s_cmp_gt_i32 s0, s4
	s_waitcnt vmcnt(0) lgkmcnt(0)
	v_fma_f32 v4, -v0, v1, v4
	s_cbranch_scc1 .LBB29_26
.LBB29_27:                              ;   in Loop: Header=BB29_25 Depth=1
	s_add_i32 s0, s4, -1
	s_lshl_b64 s[6:7], s[0:1], 2
	v_mov_b32_e32 v1, s7
	v_add_co_u32_e32 v0, vcc, s6, v29
	v_addc_co_u32_e32 v1, vcc, v30, v1, vcc
	global_load_dword v5, v[0:1], off
	s_mul_i32 s5, s4, 0x64
	v_mov_b32_e32 v6, s5
	ds_read_b32 v6, v6
	s_mov_b32 s6, s9
	s_cmp_le_i32 s17, s4
	s_mov_b32 s0, s17
	s_waitcnt lgkmcnt(0)
	v_mul_f32_e32 v4, v4, v6
	global_store_dword v[2:3], v4, off
	s_waitcnt vmcnt(1)
	v_mul_f32_e32 v4, s16, v5
	s_cbranch_scc1 .LBB29_29
.LBB29_28:                              ;   Parent Loop BB29_25 Depth=1
                                        ; =>  This Inner Loop Header: Depth=2
	s_add_i32 s0, s0, -1
	s_lshl_b64 s[12:13], s[0:1], 2
	v_mov_b32_e32 v3, s13
	v_add_co_u32_e32 v2, vcc, s12, v29
	v_addc_co_u32_e32 v3, vcc, v30, v3, vcc
	global_load_dword v2, v[2:3], off
	v_mov_b32_e32 v3, s6
	ds_read_b32 v3, v3
	s_add_i32 s6, s6, -4
	s_cmp_gt_i32 s0, s4
	s_waitcnt vmcnt(0) lgkmcnt(0)
	v_fma_f32 v4, -v2, v3, v4
	s_cbranch_scc1 .LBB29_28
.LBB29_29:                              ;   in Loop: Header=BB29_25 Depth=1
	s_add_i32 s6, s4, -2
	s_mov_b32 s7, s1
	s_lshl_b64 s[12:13], s[6:7], 2
	v_mov_b32_e32 v3, s13
	v_add_co_u32_e32 v2, vcc, s12, v29
	v_addc_co_u32_e32 v3, vcc, v30, v3, vcc
	global_load_dword v5, v[2:3], off
	s_addk_i32 s5, 0xff9c
	v_mov_b32_e32 v6, s5
	ds_read_b32 v6, v6
	s_mov_b32 s7, s10
	s_cmp_le_i32 s3, s6
	s_mov_b32 s0, s3
	s_waitcnt lgkmcnt(0)
	v_mul_f32_e32 v4, v4, v6
	global_store_dword v[0:1], v4, off
	s_waitcnt vmcnt(1)
	v_mul_f32_e32 v4, s16, v5
	s_cbranch_scc1 .LBB29_31
.LBB29_30:                              ;   Parent Loop BB29_25 Depth=1
                                        ; =>  This Inner Loop Header: Depth=2
	s_lshl_b64 s[12:13], s[0:1], 2
	v_mov_b32_e32 v1, s13
	v_add_co_u32_e32 v0, vcc, s12, v29
	v_addc_co_u32_e32 v1, vcc, v30, v1, vcc
	global_load_dword v0, v[0:1], off
	v_mov_b32_e32 v1, s7
	ds_read_b32 v1, v1
	s_add_i32 s0, s0, -1
	s_add_i32 s7, s7, -4
	s_cmp_gt_i32 s0, s6
	s_waitcnt vmcnt(0) lgkmcnt(0)
	v_fma_f32 v4, -v0, v1, v4
	s_cbranch_scc1 .LBB29_30
.LBB29_31:                              ;   in Loop: Header=BB29_25 Depth=1
	s_add_i32 s6, s4, -3
	s_mov_b32 s7, s1
	s_lshl_b64 s[12:13], s[6:7], 2
	v_mov_b32_e32 v1, s13
	v_add_co_u32_e32 v0, vcc, s12, v29
	v_addc_co_u32_e32 v1, vcc, v30, v1, vcc
	global_load_dword v5, v[0:1], off
	s_addk_i32 s5, 0xff9c
	v_mov_b32_e32 v6, s5
	ds_read_b32 v6, v6
	s_mov_b32 s7, s11
	s_cmp_le_i32 s3, s6
	s_mov_b32 s0, s3
	s_waitcnt lgkmcnt(0)
	v_mul_f32_e32 v4, v4, v6
	global_store_dword v[2:3], v4, off
	s_waitcnt vmcnt(1)
	v_mul_f32_e32 v2, s16, v5
	s_cbranch_scc1 .LBB29_24
.LBB29_32:                              ;   Parent Loop BB29_25 Depth=1
                                        ; =>  This Inner Loop Header: Depth=2
	s_lshl_b64 s[12:13], s[0:1], 2
	v_mov_b32_e32 v4, s13
	v_add_co_u32_e32 v3, vcc, s12, v29
	v_addc_co_u32_e32 v4, vcc, v30, v4, vcc
	global_load_dword v3, v[3:4], off
	v_mov_b32_e32 v4, s7
	ds_read_b32 v4, v4
	s_add_i32 s0, s0, -1
	s_add_i32 s7, s7, -4
	s_cmp_gt_i32 s0, s6
	s_waitcnt vmcnt(0) lgkmcnt(0)
	v_fma_f32 v2, -v3, v4, v2
	s_cbranch_scc1 .LBB29_32
	s_branch .LBB29_24
.LBB29_33:
	s_mov_b64 s[0:1], 0
.LBB29_34:
	s_and_b64 vcc, exec, s[0:1]
	s_cbranch_vccz .LBB29_48
; %bb.35:
	s_cmp_gt_i32 s2, 23
	s_cselect_b64 s[0:1], -1, 0
	s_and_b64 vcc, exec, s[0:1]
	s_cbranch_vccz .LBB29_37
; %bb.36:
	global_load_dwordx4 v[0:3], v[29:30], off
	global_load_dwordx4 v[4:7], v[29:30], off offset:16
	global_load_dwordx4 v[9:12], v[29:30], off offset:32
	v_mov_b32_e32 v31, 0
	ds_read_b128 v[13:16], v31
	ds_read_b128 v[17:20], v31 offset:16
	ds_read2_b32 v[25:26], v31 offset0:25 offset1:26
	ds_read2_b64 v[21:24], v31 offset0:25 offset1:26
	ds_read2_b32 v[27:28], v31 offset0:27 offset1:28
	s_movk_i32 s2, 0x400
	s_waitcnt vmcnt(2)
	v_mul_f32_e32 v0, s16, v0
	s_waitcnt lgkmcnt(4)
	v_mul_f32_e32 v8, v0, v13
	v_mul_f32_e32 v0, v8, v14
	;; [unrolled: 1-line block ×4, first 2 shown]
	v_fma_f32 v15, s16, v1, -v0
	v_fma_f32 v13, s16, v2, -v13
	;; [unrolled: 1-line block ×3, first 2 shown]
	ds_read_b128 v[0:3], v31 offset:32
	s_waitcnt lgkmcnt(4)
	v_mul_f32_e32 v32, v8, v17
	v_mul_f32_e32 v18, v8, v18
	;; [unrolled: 1-line block ×3, first 2 shown]
	ds_read2_b32 v[16:17], v31 offset0:75 offset1:76
	s_waitcnt lgkmcnt(1)
	v_mul_f32_e32 v33, v8, v0
	v_mul_f32_e32 v34, v8, v1
	;; [unrolled: 1-line block ×4, first 2 shown]
	s_waitcnt vmcnt(1)
	v_fma_f32 v37, s16, v4, -v32
	v_fma_f32 v38, s16, v5, -v18
	;; [unrolled: 1-line block ×3, first 2 shown]
	ds_read_b128 v[0:3], v31 offset:400
	ds_read2_b32 v[4:5], v31 offset0:29 offset1:30
	ds_read2_b32 v[18:19], v31 offset0:77 offset1:78
	s_waitcnt vmcnt(0)
	v_fma_f32 v39, s16, v9, -v33
	v_fma_f32 v34, s16, v10, -v34
	;; [unrolled: 1-line block ×3, first 2 shown]
	v_mul_f32_e32 v9, v15, v25
	ds_read2_b32 v[10:11], v31 offset0:31 offset1:32
	v_mul_f32_e32 v20, v8, v20
	v_fma_f32 v36, s16, v12, -v36
	v_fma_f32 v12, -v9, v26, v13
	v_fma_f32 v13, -v9, v27, v14
	;; [unrolled: 1-line block ×3, first 2 shown]
	ds_read2_b32 v[27:28], v31 offset0:33 offset1:34
	v_fma_f32 v20, s16, v7, -v20
	ds_read2_b32 v[32:33], v31 offset0:125 offset1:126
	s_waitcnt lgkmcnt(4)
	v_fma_f32 v15, -v9, v4, v38
	v_fma_f32 v25, -v9, v5, v6
	ds_read2_b64 v[4:7], v31 offset0:27 offset1:28
	s_waitcnt lgkmcnt(3)
	v_fma_f32 v20, -v9, v10, v20
	v_mul_f32_e32 v10, v12, v21
	v_fma_f32 v11, -v9, v11, v39
	v_fma_f32 v21, -v10, v22, v13
	;; [unrolled: 1-line block ×4, first 2 shown]
	s_waitcnt lgkmcnt(2)
	v_fma_f32 v24, -v9, v27, v34
	ds_read2_b64 v[12:15], v31 offset0:75 offset1:76
	s_waitcnt lgkmcnt(1)
	v_fma_f32 v25, -v10, v4, v25
	v_fma_f32 v20, -v10, v5, v20
	;; [unrolled: 1-line block ×4, first 2 shown]
	ds_read2_b32 v[4:5], v31 offset0:79 offset1:80
	ds_read2_b32 v[6:7], v31 offset0:127 offset1:128
	v_mul_f32_e32 v11, v21, v16
	v_fma_f32 v16, -v11, v17, v22
	v_fma_f32 v17, -v11, v18, v23
	s_waitcnt lgkmcnt(1)
	v_fma_f32 v4, -v11, v4, v20
	ds_read_b128 v[20:23], v31 offset:416
	v_mul_f32_e32 v0, v16, v0
	v_fma_f32 v1, -v0, v1, v17
	v_fma_f32 v3, -v0, v3, v4
	;; [unrolled: 1-line block ×3, first 2 shown]
	ds_read2_b32 v[16:17], v31 offset0:81 offset1:82
	v_fma_f32 v18, -v11, v19, v25
	v_mul_f32_e32 v1, v1, v32
	s_waitcnt lgkmcnt(1)
	v_fma_f32 v4, -v0, v20, v4
	ds_read2_b32 v[34:35], v31 offset0:175 offset1:176
	v_fma_f32 v2, -v0, v2, v18
	ds_read2_b32 v[18:19], v31 offset0:129 offset1:130
	v_fma_f32 v20, -v1, v6, v3
	v_fma_f32 v7, -v1, v7, v4
	ds_read2_b64 v[3:6], v31 offset0:29 offset1:30
	v_fma_f32 v2, -v1, v33, v2
	s_waitcnt lgkmcnt(3)
	v_fma_f32 v16, -v11, v16, v24
	v_mul_f32_e32 v2, v2, v12
	v_fma_f32 v16, -v0, v21, v16
	v_fma_f32 v12, -v2, v13, v20
	;; [unrolled: 1-line block ×3, first 2 shown]
	s_waitcnt lgkmcnt(1)
	v_fma_f32 v16, -v1, v18, v16
	ds_read2_b32 v[20:21], v31 offset0:177 offset1:178
	ds_read2_b32 v[32:33], v31 offset0:35 offset1:36
	s_waitcnt lgkmcnt(2)
	v_fma_f32 v3, -v10, v3, v13
	v_fma_f32 v7, -v2, v14, v7
	v_fma_f32 v16, -v2, v15, v16
	v_fma_f32 v17, -v11, v17, v3
	v_mul_f32_e32 v3, v12, v34
	ds_read2_b64 v[12:15], v31 offset0:77 offset1:78
	v_fma_f32 v17, -v0, v22, v17
	s_waitcnt lgkmcnt(2)
	v_fma_f32 v16, -v3, v20, v16
	v_fma_f32 v17, -v1, v19, v17
	ds_read2_b32 v[19:20], v31 offset0:83 offset1:84
	ds_read_b128 v[24:27], v31 offset:800
	s_waitcnt lgkmcnt(2)
	v_fma_f32 v12, -v2, v12, v17
	v_fma_f32 v12, -v3, v21, v12
	ds_read2_b32 v[21:22], v31 offset0:131 offset1:132
	v_fma_f32 v17, -v9, v32, v36
	v_fma_f32 v4, -v10, v4, v17
	;; [unrolled: 1-line block ×3, first 2 shown]
	s_waitcnt lgkmcnt(2)
	v_fma_f32 v4, -v11, v19, v4
	v_fma_f32 v17, -v0, v23, v4
	s_waitcnt lgkmcnt(1)
	v_mul_f32_e32 v4, v7, v24
	v_fma_f32 v23, -v4, v26, v12
	s_waitcnt lgkmcnt(0)
	v_fma_f32 v12, -v1, v21, v17
	v_fma_f32 v7, -v4, v25, v16
	;; [unrolled: 1-line block ×3, first 2 shown]
	ds_read2_b32 v[12:13], v31 offset0:179 offset1:180
	ds_read2_b32 v[36:37], v31 offset0:181 offset1:182
	global_store_dwordx4 v[29:30], v[8:11], off
	global_store_dwordx4 v[29:30], v[0:3], off offset:16
	ds_read2_b32 v[39:40], v31 offset0:89 offset1:90
	s_waitcnt lgkmcnt(2)
	v_fma_f32 v12, -v3, v12, v16
	v_fma_f32 v12, -v4, v27, v12
	global_load_dwordx4 v[24:27], v[29:30], off offset:48
	ds_read_b128 v[16:19], v31 offset:48
	ds_read2_b32 v[41:42], v31 offset0:137 offset1:138
	ds_read2_b32 v[51:52], v31 offset0:93 offset1:94
	;; [unrolled: 1-line block ×3, first 2 shown]
	s_waitcnt lgkmcnt(3)
	v_mul_f32_e32 v16, v8, v16
	s_waitcnt vmcnt(0)
	v_fma_f32 v16, s16, v24, -v16
	v_fma_f32 v16, -v9, v33, v16
	v_fma_f32 v5, -v10, v5, v16
	v_mul_f32_e32 v16, v8, v17
	v_fma_f32 v21, s16, v25, -v16
	ds_read2_b32 v[16:17], v31 offset0:37 offset1:38
	ds_read2_b32 v[24:25], v31 offset0:85 offset1:86
	ds_read_b128 v[32:35], v31 offset:432
	v_fma_f32 v5, -v11, v20, v5
	s_waitcnt lgkmcnt(2)
	v_fma_f32 v16, -v9, v16, v21
	v_fma_f32 v6, -v10, v6, v16
	s_waitcnt lgkmcnt(0)
	v_fma_f32 v5, -v0, v32, v5
	v_fma_f32 v5, -v1, v22, v5
	;; [unrolled: 1-line block ×5, first 2 shown]
	ds_read2_b32 v[32:33], v31 offset0:133 offset1:134
	v_fma_f32 v20, -v3, v13, v14
	s_waitcnt lgkmcnt(0)
	v_fma_f32 v5, -v1, v32, v5
	v_fma_f32 v16, -v2, v15, v5
	ds_read2_b32 v[5:6], v31 offset0:225 offset1:226
	s_waitcnt lgkmcnt(0)
	v_mul_f32_e32 v5, v7, v5
	v_fma_f32 v24, -v5, v6, v23
	ds_read2_b32 v[6:7], v31 offset0:227 offset1:228
	s_waitcnt lgkmcnt(0)
	v_fma_f32 v28, -v5, v6, v12
	ds_read_b128 v[12:15], v31 offset:816
	s_waitcnt lgkmcnt(0)
	v_fma_f32 v6, -v4, v12, v20
	ds_read2_b64 v[20:23], v31 offset0:125 offset1:126
	v_fma_f32 v7, -v5, v7, v6
	s_waitcnt lgkmcnt(0)
	v_mul_f32_e32 v6, v24, v20
	v_fma_f32 v32, -v6, v22, v7
	v_fma_f32 v7, -v3, v36, v16
	;; [unrolled: 1-line block ×3, first 2 shown]
	ds_read2_b32 v[12:13], v31 offset0:229 offset1:230
	v_mul_f32_e32 v16, v8, v19
	v_fma_f32 v24, -v6, v21, v28
	v_fma_f32 v20, s16, v27, -v16
	ds_read2_b32 v[27:28], v31 offset0:39 offset1:40
	s_waitcnt lgkmcnt(1)
	v_fma_f32 v7, -v5, v12, v7
	v_fma_f32 v12, -v6, v23, v7
	v_mul_f32_e32 v7, v8, v18
	v_fma_f32 v7, s16, v26, -v7
	v_fma_f32 v7, -v9, v17, v7
	ds_read2_b64 v[16:19], v31 offset0:31 offset1:32
	s_waitcnt lgkmcnt(0)
	v_fma_f32 v7, -v10, v16, v7
	v_fma_f32 v16, -v9, v27, v20
	;; [unrolled: 1-line block ×3, first 2 shown]
	ds_read2_b32 v[16:17], v31 offset0:87 offset1:88
	v_fma_f32 v7, -v11, v25, v7
	v_fma_f32 v7, -v0, v34, v7
	;; [unrolled: 1-line block ×3, first 2 shown]
	s_waitcnt lgkmcnt(0)
	v_fma_f32 v16, -v11, v16, v20
	ds_read2_b64 v[20:23], v31 offset0:79 offset1:80
	v_fma_f32 v16, -v0, v35, v16
	ds_read2_b32 v[35:36], v31 offset0:135 offset1:136
	s_waitcnt lgkmcnt(1)
	v_fma_f32 v7, -v2, v20, v7
	v_fma_f32 v7, -v3, v37, v7
	;; [unrolled: 1-line block ×3, first 2 shown]
	s_waitcnt lgkmcnt(0)
	v_fma_f32 v7, -v1, v35, v16
	v_fma_f32 v7, -v2, v21, v7
	ds_read2_b32 v[20:21], v31 offset0:183 offset1:184
	ds_read2_b32 v[37:38], v31 offset0:231 offset1:232
	s_waitcnt lgkmcnt(1)
	v_fma_f32 v7, -v3, v20, v7
	v_fma_f32 v20, -v4, v15, v7
	v_mov_b32_e32 v7, 0x44c
	ds_read2_b32 v[14:15], v7 offset1:1
	s_waitcnt lgkmcnt(0)
	v_mul_f32_e32 v7, v24, v14
	v_fma_f32 v24, -v5, v13, v25
	v_mov_b32_e32 v13, 0x454
	v_fma_f32 v32, -v7, v15, v32
	ds_read2_b32 v[15:16], v13 offset1:1
	s_waitcnt lgkmcnt(0)
	v_fma_f32 v33, -v7, v15, v12
	ds_read2_b64 v[12:15], v31 offset0:127 offset1:128
	s_waitcnt lgkmcnt(0)
	v_fma_f32 v12, -v6, v12, v24
	ds_read_b128 v[24:27], v31 offset:1200
	v_fma_f32 v12, -v7, v16, v12
	s_waitcnt lgkmcnt(0)
	v_mul_f32_e32 v16, v32, v24
	v_fma_f32 v45, -v16, v25, v33
	global_load_dwordx4 v[32:35], v[29:30], off offset:64
	v_fma_f32 v46, -v16, v26, v12
	v_fma_f32 v12, -v5, v37, v20
	;; [unrolled: 1-line block ×3, first 2 shown]
	v_mov_b32_e32 v12, 0x45c
	ds_read2_b32 v[12:13], v12 offset1:1
	s_waitcnt lgkmcnt(0)
	v_fma_f32 v12, -v7, v12, v20
	v_fma_f32 v37, -v16, v27, v12
	ds_read_b128 v[24:27], v31 offset:64
	s_waitcnt lgkmcnt(0)
	v_mul_f32_e32 v12, v8, v24
	s_waitcnt vmcnt(0)
	v_fma_f32 v12, s16, v32, -v12
	v_fma_f32 v12, -v9, v28, v12
	v_fma_f32 v12, -v10, v18, v12
	v_mul_f32_e32 v18, v8, v25
	ds_read2_b32 v[24:25], v31 offset0:41 offset1:42
	v_fma_f32 v18, s16, v33, -v18
	v_fma_f32 v12, -v11, v17, v12
	s_waitcnt lgkmcnt(0)
	v_fma_f32 v18, -v9, v24, v18
	v_fma_f32 v24, -v10, v19, v18
	ds_read_b128 v[17:20], v31 offset:448
	s_waitcnt lgkmcnt(0)
	v_fma_f32 v12, -v0, v17, v12
	v_fma_f32 v17, -v11, v39, v24
	;; [unrolled: 1-line block ×8, first 2 shown]
	ds_read_b128 v[21:24], v31 offset:832
	s_waitcnt lgkmcnt(0)
	v_fma_f32 v12, -v4, v21, v12
	v_fma_f32 v12, -v5, v38, v12
	;; [unrolled: 1-line block ×5, first 2 shown]
	ds_read2_b32 v[21:22], v31 offset0:233 offset1:234
	s_waitcnt lgkmcnt(0)
	v_fma_f32 v14, -v5, v21, v14
	v_fma_f32 v21, -v6, v15, v14
	v_mov_b32_e32 v14, 0x514
	ds_read2_b32 v[14:15], v14 offset1:1
	s_waitcnt lgkmcnt(0)
	v_mul_f32_e32 v17, v45, v14
	v_fma_f32 v14, -v7, v13, v12
	v_mov_b32_e32 v12, 0x51c
	ds_read2_b32 v[12:13], v12 offset1:1
	v_fma_f32 v18, -v17, v15, v46
	s_waitcnt lgkmcnt(0)
	v_fma_f32 v28, -v17, v12, v37
	ds_read_b128 v[36:39], v31 offset:1216
	s_waitcnt lgkmcnt(0)
	v_fma_f32 v12, -v16, v36, v14
	v_fma_f32 v32, -v17, v13, v12
	ds_read2_b64 v[12:15], v31 offset0:175 offset1:176
	s_waitcnt lgkmcnt(0)
	v_mul_f32_e32 v18, v18, v12
	v_mov_b32_e32 v12, 0x464
	ds_read2_b32 v[45:46], v12 offset1:1
	v_fma_f32 v48, -v18, v13, v28
	v_mov_b32_e32 v13, 0x524
	v_fma_f32 v49, -v18, v14, v32
	s_waitcnt lgkmcnt(0)
	v_fma_f32 v12, -v7, v45, v21
	v_fma_f32 v12, -v16, v37, v12
	ds_read2_b32 v[36:37], v13 offset1:1
	v_mul_f32_e32 v13, v8, v27
	v_fma_f32 v13, s16, v35, -v13
	s_waitcnt lgkmcnt(0)
	v_fma_f32 v12, -v17, v36, v12
	v_fma_f32 v36, -v18, v15, v12
	v_mul_f32_e32 v12, v8, v26
	v_fma_f32 v12, s16, v34, -v12
	ds_read2_b64 v[32:35], v31 offset0:33 offset1:34
	v_fma_f32 v12, -v9, v25, v12
	ds_read2_b64 v[25:28], v31 offset0:129 offset1:130
	s_waitcnt lgkmcnt(1)
	v_fma_f32 v12, -v10, v32, v12
	v_fma_f32 v12, -v11, v40, v12
	ds_read2_b32 v[40:41], v31 offset0:43 offset1:44
	v_fma_f32 v12, -v0, v19, v12
	s_waitcnt lgkmcnt(0)
	v_fma_f32 v13, -v9, v40, v13
	v_fma_f32 v13, -v10, v33, v13
	ds_read2_b32 v[32:33], v31 offset0:91 offset1:92
	s_waitcnt lgkmcnt(0)
	v_fma_f32 v13, -v11, v32, v13
	v_fma_f32 v19, -v0, v20, v13
	;; [unrolled: 1-line block ×3, first 2 shown]
	ds_read2_b64 v[12:15], v31 offset0:81 offset1:82
	ds_read2_b32 v[42:43], v31 offset0:139 offset1:140
	s_waitcnt lgkmcnt(1)
	v_fma_f32 v12, -v2, v12, v20
	v_fma_f32 v12, -v3, v44, v12
	;; [unrolled: 1-line block ×3, first 2 shown]
	s_waitcnt lgkmcnt(0)
	v_fma_f32 v12, -v1, v42, v19
	v_fma_f32 v19, -v2, v13, v12
	ds_read2_b32 v[12:13], v31 offset0:187 offset1:188
	ds_read2_b32 v[44:45], v31 offset0:235 offset1:236
	s_waitcnt lgkmcnt(1)
	v_fma_f32 v12, -v3, v12, v19
	v_fma_f32 v19, -v5, v22, v20
	;; [unrolled: 1-line block ×5, first 2 shown]
	v_mov_b32_e32 v19, 0x46c
	ds_read2_b32 v[46:47], v19 offset1:1
	v_fma_f32 v12, -v4, v24, v12
	s_waitcnt lgkmcnt(1)
	v_fma_f32 v12, -v5, v44, v12
	v_fma_f32 v12, -v6, v26, v12
	v_fma_f32 v22, -v17, v37, v21
	s_waitcnt lgkmcnt(0)
	v_fma_f32 v12, -v7, v46, v12
	v_fma_f32 v24, -v16, v39, v12
	v_mov_b32_e32 v12, 0x5dc
	ds_read2_b32 v[19:20], v12 offset1:1
	s_waitcnt lgkmcnt(0)
	v_mul_f32_e32 v19, v48, v19
	v_fma_f32 v12, -v19, v20, v49
	v_mov_b32_e32 v20, 0x5e4
	ds_read2_b32 v[20:21], v20 offset1:1
	s_waitcnt lgkmcnt(0)
	v_fma_f32 v25, -v19, v20, v36
	ds_read2_b64 v[36:39], v31 offset0:177 offset1:178
	s_waitcnt lgkmcnt(0)
	v_fma_f32 v20, -v18, v36, v22
	v_fma_f32 v26, -v19, v21, v20
	ds_read_b128 v[20:23], v31 offset:1600
	s_waitcnt lgkmcnt(0)
	v_mul_f32_e32 v12, v12, v20
	v_mov_b32_e32 v20, 0x52c
	ds_read2_b32 v[48:49], v20 offset1:1
	v_fma_f32 v50, -v12, v21, v25
	v_mov_b32_e32 v21, 0x5ec
	v_fma_f32 v53, -v12, v22, v26
	s_waitcnt lgkmcnt(0)
	v_fma_f32 v20, -v17, v48, v24
	v_fma_f32 v20, -v18, v37, v20
	ds_read2_b32 v[36:37], v21 offset1:1
	s_waitcnt lgkmcnt(0)
	v_fma_f32 v20, -v19, v36, v20
	v_fma_f32 v36, -v12, v23, v20
	ds_read_b128 v[23:26], v31 offset:80
	s_waitcnt lgkmcnt(0)
	v_mul_f32_e32 v32, v8, v23
	global_load_dwordx4 v[20:23], v[29:30], off offset:80
	s_waitcnt vmcnt(0)
	v_fma_f32 v20, s16, v20, -v32
	v_fma_f32 v20, -v9, v41, v20
	v_fma_f32 v32, -v10, v34, v20
	v_mul_f32_e32 v20, v8, v24
	v_fma_f32 v24, s16, v21, -v20
	ds_read2_b32 v[20:21], v31 offset0:45 offset1:46
	s_waitcnt lgkmcnt(0)
	v_fma_f32 v20, -v9, v20, v24
	v_fma_f32 v20, -v10, v35, v20
	;; [unrolled: 1-line block ×3, first 2 shown]
	ds_read_b128 v[32:35], v31 offset:464
	v_fma_f32 v20, -v11, v51, v20
	s_waitcnt lgkmcnt(0)
	v_fma_f32 v24, -v0, v32, v24
	v_fma_f32 v20, -v0, v33, v20
	ds_read2_b32 v[32:33], v31 offset0:141 offset1:142
	v_fma_f32 v24, -v1, v43, v24
	ds_read_b128 v[40:43], v31 offset:848
	v_fma_f32 v14, -v2, v14, v24
	v_fma_f32 v13, -v3, v13, v14
	s_waitcnt lgkmcnt(1)
	v_fma_f32 v20, -v1, v32, v20
	v_fma_f32 v20, -v2, v15, v20
	ds_read2_b32 v[14:15], v31 offset0:189 offset1:190
	s_waitcnt lgkmcnt(1)
	v_fma_f32 v13, -v4, v40, v13
	v_fma_f32 v13, -v5, v45, v13
	;; [unrolled: 1-line block ×4, first 2 shown]
	ds_read_b128 v[44:47], v31 offset:1232
	s_waitcnt lgkmcnt(1)
	v_fma_f32 v14, -v3, v14, v20
	v_fma_f32 v14, -v4, v41, v14
	ds_read2_b32 v[40:41], v31 offset0:237 offset1:238
	s_waitcnt lgkmcnt(1)
	v_fma_f32 v13, -v16, v44, v13
	v_fma_f32 v13, -v17, v49, v13
	;; [unrolled: 1-line block ×3, first 2 shown]
	s_waitcnt lgkmcnt(0)
	v_fma_f32 v14, -v5, v40, v14
	v_mov_b32_e32 v13, 0x474
	v_fma_f32 v14, -v6, v28, v14
	ds_read2_b32 v[27:28], v13 offset1:1
	v_fma_f32 v20, -v19, v37, v20
	s_waitcnt lgkmcnt(0)
	v_fma_f32 v13, -v7, v27, v14
	v_mov_b32_e32 v14, 0x534
	v_fma_f32 v13, -v16, v45, v13
	ds_read2_b32 v[44:45], v14 offset1:1
	v_mov_b32_e32 v27, 0x6ac
	s_waitcnt lgkmcnt(0)
	v_fma_f32 v13, -v17, v44, v13
	v_fma_f32 v24, -v18, v39, v13
	v_mov_b32_e32 v13, 0x6a4
	ds_read2_b32 v[13:14], v13 offset1:1
	ds_read2_b32 v[39:40], v27 offset1:1
	s_waitcnt lgkmcnt(1)
	v_mul_f32_e32 v13, v50, v13
	s_waitcnt lgkmcnt(0)
	v_fma_f32 v27, -v13, v39, v36
	ds_read_b128 v[36:39], v31 offset:1616
	ds_read2_b64 v[48:51], v31 offset0:225 offset1:226
	v_fma_f32 v14, -v13, v14, v53
	s_waitcnt lgkmcnt(1)
	v_fma_f32 v20, -v12, v36, v20
	v_fma_f32 v20, -v13, v40, v20
	s_waitcnt lgkmcnt(0)
	v_mul_f32_e32 v14, v14, v48
	v_fma_f32 v32, -v14, v50, v20
	v_mov_b32_e32 v20, 0x5f4
	v_fma_f32 v27, -v14, v49, v27
	ds_read2_b32 v[48:49], v20 offset1:1
	s_waitcnt lgkmcnt(0)
	v_fma_f32 v20, -v19, v48, v24
	v_mov_b32_e32 v24, 0x6b4
	v_fma_f32 v20, -v12, v37, v20
	ds_read2_b32 v[36:37], v24 offset1:1
	s_waitcnt lgkmcnt(0)
	v_fma_f32 v20, -v13, v36, v20
	v_fma_f32 v24, -v14, v51, v20
	v_mul_f32_e32 v20, v8, v25
	v_mul_f32_e32 v25, v8, v26
	v_fma_f32 v20, s16, v22, -v20
	v_fma_f32 v22, s16, v23, -v25
	v_fma_f32 v23, -v9, v21, v20
	ds_read_b64 v[20:21], v31 offset:280
	s_waitcnt lgkmcnt(0)
	v_fma_f32 v20, -v10, v20, v23
	ds_read_b32 v23, v31 offset:188
	v_fma_f32 v20, -v11, v52, v20
	s_waitcnt lgkmcnt(0)
	v_fma_f32 v22, -v9, v23, v22
	ds_read2_b32 v[8:9], v31 offset0:95 offset1:143
	v_fma_f32 v21, -v10, v21, v22
	v_fma_f32 v10, -v0, v34, v20
	;; [unrolled: 1-line block ×3, first 2 shown]
	v_add_u32_e64 v22, s2, 0
	s_waitcnt lgkmcnt(0)
	v_fma_f32 v8, -v11, v8, v21
	v_fma_f32 v8, -v0, v35, v8
	ds_read_b64 v[10:11], v31 offset:664
	v_fma_f32 v8, -v1, v9, v8
	ds_read2_b32 v[0:1], v31 offset0:191 offset1:239
	s_movk_i32 s2, 0x600
	s_waitcnt lgkmcnt(1)
	v_fma_f32 v10, -v2, v10, v20
	v_fma_f32 v8, -v2, v11, v8
	v_mov_b32_e32 v2, 0x76c
	v_fma_f32 v10, -v3, v15, v10
	s_waitcnt lgkmcnt(0)
	v_fma_f32 v0, -v3, v0, v8
	ds_read2_b32 v[2:3], v2 offset1:1
	v_fma_f32 v8, -v4, v42, v10
	v_fma_f32 v8, -v5, v41, v8
	;; [unrolled: 1-line block ×4, first 2 shown]
	s_waitcnt lgkmcnt(0)
	v_mul_f32_e32 v15, v27, v2
	v_fma_f32 v10, -v15, v3, v32
	ds_read_b64 v[2:3], v31 offset:1048
	s_waitcnt lgkmcnt(0)
	v_fma_f32 v2, -v6, v2, v8
	ds_read2_b32 v[8:9], v22 offset0:31 offset1:79
	v_fma_f32 v0, -v6, v3, v0
	global_store_dwordx4 v[29:30], v[4:7], off offset:32
	global_store_dwordx4 v[29:30], v[16:19], off offset:48
	v_fma_f32 v11, -v7, v28, v2
	v_mov_b32_e32 v5, 0x774
	s_waitcnt lgkmcnt(0)
	v_fma_f32 v4, -v7, v8, v0
	ds_read_b128 v[0:3], v31 offset:2000
	v_fma_f32 v8, -v16, v46, v11
	v_fma_f32 v16, -v16, v47, v4
	ds_read2_b32 v[4:5], v5 offset1:1
	ds_read_b64 v[6:7], v31 offset:1432
	v_fma_f32 v8, -v17, v45, v8
	s_waitcnt lgkmcnt(2)
	v_mul_f32_e32 v0, v10, v0
	ds_read_b64 v[10:11], v31 offset:1816
	s_waitcnt lgkmcnt(2)
	v_fma_f32 v4, -v15, v4, v24
	s_waitcnt lgkmcnt(1)
	v_fma_f32 v6, -v18, v6, v8
	v_fma_f32 v6, -v19, v49, v6
	;; [unrolled: 1-line block ×3, first 2 shown]
	v_mov_b32_e32 v8, 0x834
	v_fma_f32 v6, -v13, v37, v6
	ds_read2_b32 v[20:21], v8 offset1:1
	v_fma_f32 v1, -v0, v1, v4
	s_waitcnt lgkmcnt(1)
	v_fma_f32 v4, -v14, v10, v6
	v_fma_f32 v6, -v15, v5, v4
	ds_read_b64 v[4:5], v31 offset:2200
	ds_read_b32 v8, v31 offset:2300
	ds_read2_b32 v[22:23], v22 offset0:127 offset1:175
	s_waitcnt lgkmcnt(3)
	v_mul_f32_e32 v1, v1, v20
	v_fma_f32 v2, -v0, v2, v6
	v_fma_f32 v2, -v1, v21, v2
	s_waitcnt lgkmcnt(2)
	v_mul_f32_e32 v2, v2, v4
	v_fma_f32 v4, -v17, v9, v16
	v_add_u32_e64 v6, s2, 0
	v_fma_f32 v4, -v18, v7, v4
	ds_read2_b32 v[6:7], v6 offset0:95 offset1:143
	s_waitcnt lgkmcnt(1)
	v_fma_f32 v4, -v19, v22, v4
	v_fma_f32 v4, -v12, v39, v4
	;; [unrolled: 1-line block ×4, first 2 shown]
	s_waitcnt lgkmcnt(0)
	v_fma_f32 v4, -v15, v6, v4
	v_fma_f32 v3, -v0, v3, v4
	;; [unrolled: 1-line block ×4, first 2 shown]
	v_mul_f32_e32 v3, v3, v8
	s_mov_b32 s2, 24
	global_store_dwordx4 v[29:30], v[12:15], off offset:64
	global_store_dwordx4 v[29:30], v[0:3], off offset:80
	s_cmp_lt_i32 s2, s17
	s_cbranch_scc1 .LBB29_38
	s_branch .LBB29_48
.LBB29_37:
	s_mov_b32 s2, 0
	s_cmp_lt_i32 s2, s17
	s_cbranch_scc0 .LBB29_48
.LBB29_38:
	s_add_i32 s3, s2, 19
	s_cmp_ge_u32 s3, s17
	s_cbranch_scc1 .LBB29_43
; %bb.39:
	s_lshl_b32 s4, s2, 2
	v_add_co_u32_e32 v19, vcc, s4, v29
	v_addc_co_u32_e32 v20, vcc, 0, v30, vcc
	global_load_dwordx4 v[0:3], v[19:20], off
	global_load_dwordx4 v[7:10], v[19:20], off offset:16
	global_load_dwordx4 v[11:14], v[19:20], off offset:32
	;; [unrolled: 1-line block ×4, first 2 shown]
	s_andn2_b64 vcc, exec, s[0:1]
	s_waitcnt vmcnt(4)
	v_mul_f32_e32 v23, s16, v0
	v_mul_f32_e32 v24, s16, v1
	v_mul_f32_e32 v2, s16, v2
	v_mul_f32_e32 v3, s16, v3
	s_waitcnt vmcnt(3)
	v_mul_f32_e32 v7, s16, v7
	v_mul_f32_e32 v8, s16, v8
	v_mul_f32_e32 v9, s16, v9
	v_mul_f32_e32 v10, s16, v10
	;; [unrolled: 5-line block ×5, first 2 shown]
	s_cbranch_vccnz .LBB29_42
; %bb.40:
	v_mov_b32_e32 v0, v29
	v_mov_b32_e32 v1, v30
	s_mov_b32 s0, s2
.LBB29_41:                              ; =>This Inner Loop Header: Depth=1
	global_load_dword v21, v[0:1], off
	v_mov_b32_e32 v43, s4
	ds_read_b128 v[25:28], v43
	ds_read_b128 v[31:34], v43 offset:16
	ds_read_b128 v[35:38], v43 offset:32
	;; [unrolled: 1-line block ×4, first 2 shown]
	s_add_i32 s0, s0, -1
	s_addk_i32 s4, 0x60
	v_add_co_u32_e32 v0, vcc, 4, v0
	v_addc_co_u32_e32 v1, vcc, 0, v1, vcc
	s_cmp_lg_u32 s0, 0
	s_waitcnt vmcnt(0) lgkmcnt(4)
	v_fma_f32 v23, -v21, v25, v23
	v_fma_f32 v24, -v21, v26, v24
	v_fma_f32 v2, -v21, v27, v2
	v_fma_f32 v3, -v21, v28, v3
	s_waitcnt lgkmcnt(3)
	v_fma_f32 v7, -v21, v31, v7
	v_fma_f32 v8, -v21, v32, v8
	v_fma_f32 v9, -v21, v33, v9
	v_fma_f32 v10, -v21, v34, v10
	s_waitcnt lgkmcnt(2)
	;; [unrolled: 5-line block ×4, first 2 shown]
	v_fma_f32 v4, -v21, v43, v4
	v_fma_f32 v5, -v21, v44, v5
	v_fma_f32 v6, -v21, v45, v6
	v_fma_f32 v22, -v21, v46, v22
	s_cbranch_scc1 .LBB29_41
.LBB29_42:
	s_lshl_b32 s0, s2, 2
	s_mul_i32 s1, s2, 0x60
	s_add_i32 s0, s0, s1
	v_mov_b32_e32 v21, s0
	ds_read_b128 v[25:28], v21
	ds_read_b128 v[31:34], v21 offset:16
	ds_read_b128 v[35:38], v21 offset:400
	s_mul_i32 s1, s2, 0x64
	s_add_i32 s4, s1, 0x44c
	s_waitcnt lgkmcnt(2)
	v_mul_f32_e32 v0, v23, v25
	v_fma_f32 v1, -v0, v26, v24
	ds_read2_b32 v[23:24], v21 offset0:25 offset1:26
	v_fma_f32 v2, -v0, v27, v2
	v_fma_f32 v3, -v0, v28, v3
	ds_read2_b32 v[27:28], v21 offset0:27 offset1:28
	s_waitcnt lgkmcnt(3)
	v_fma_f32 v7, -v0, v31, v7
	s_waitcnt lgkmcnt(1)
	v_mul_f32_e32 v1, v1, v23
	v_fma_f32 v2, -v1, v24, v2
	ds_read2_b64 v[23:26], v21 offset0:25 offset1:26
	s_waitcnt lgkmcnt(1)
	v_fma_f32 v3, -v1, v27, v3
	v_fma_f32 v8, -v0, v32, v8
	ds_read2_b32 v[31:32], v21 offset0:125 offset1:126
	v_fma_f32 v7, -v1, v28, v7
	s_waitcnt lgkmcnt(1)
	v_mul_f32_e32 v2, v2, v23
	v_fma_f32 v3, -v2, v24, v3
	ds_read2_b32 v[23:24], v21 offset0:75 offset1:76
	ds_read2_b32 v[43:44], v21 offset0:175 offset1:176
	v_fma_f32 v7, -v2, v25, v7
	v_fma_f32 v9, -v0, v33, v9
	;; [unrolled: 1-line block ×3, first 2 shown]
	s_waitcnt lgkmcnt(1)
	v_mul_f32_e32 v3, v3, v23
	v_fma_f32 v7, -v3, v24, v7
	ds_read2_b32 v[23:24], v21 offset0:29 offset1:30
	v_mul_f32_e32 v7, v7, v35
	global_store_dwordx4 v[19:20], v[0:3], off
	s_add_i32 s2, s2, 20
	ds_read2_b64 v[39:42], v21 offset0:75 offset1:76
	s_waitcnt lgkmcnt(1)
	v_fma_f32 v8, -v1, v23, v8
	v_fma_f32 v8, -v2, v26, v8
	ds_read2_b32 v[26:27], v21 offset0:77 offset1:78
	v_fma_f32 v9, -v1, v24, v9
	s_waitcnt lgkmcnt(0)
	v_fma_f32 v8, -v3, v26, v8
	ds_read2_b64 v[23:26], v21 offset0:27 offset1:28
	v_fma_f32 v8, -v7, v36, v8
	v_mul_f32_e32 v8, v8, v31
	s_waitcnt lgkmcnt(0)
	v_fma_f32 v9, -v2, v23, v9
	v_fma_f32 v9, -v3, v27, v9
	ds_read2_b32 v[27:28], v21 offset0:31 offset1:32
	v_fma_f32 v9, -v7, v37, v9
	v_fma_f32 v9, -v8, v32, v9
	ds_read_b128 v[31:34], v21 offset:32
	v_mul_f32_e32 v9, v9, v39
	s_waitcnt lgkmcnt(1)
	v_fma_f32 v10, -v1, v27, v10
	v_fma_f32 v10, -v2, v24, v10
	ds_read2_b32 v[23:24], v21 offset0:79 offset1:80
	s_waitcnt lgkmcnt(1)
	v_fma_f32 v11, -v0, v31, v11
	v_fma_f32 v12, -v0, v32, v12
	ds_read2_b32 v[31:32], v21 offset0:129 offset1:130
	v_fma_f32 v11, -v1, v28, v11
	s_waitcnt lgkmcnt(1)
	v_fma_f32 v10, -v3, v23, v10
	v_fma_f32 v10, -v7, v38, v10
	ds_read2_b32 v[38:39], v21 offset0:127 offset1:128
	v_fma_f32 v11, -v2, v25, v11
	v_fma_f32 v11, -v3, v24, v11
	ds_read2_b32 v[23:24], v21 offset0:33 offset1:34
	ds_read2_b32 v[27:28], v21 offset0:81 offset1:82
	s_waitcnt lgkmcnt(2)
	v_fma_f32 v10, -v8, v38, v10
	ds_read_b128 v[35:38], v21 offset:416
	v_fma_f32 v10, -v9, v40, v10
	s_waitcnt lgkmcnt(2)
	v_fma_f32 v12, -v1, v23, v12
	v_mov_b32_e32 v23, s1
	ds_read2_b64 v[47:50], v23 offset0:125 offset1:126
	s_waitcnt lgkmcnt(1)
	v_fma_f32 v11, -v7, v35, v11
	v_fma_f32 v11, -v8, v39, v11
	;; [unrolled: 1-line block ×3, first 2 shown]
	v_mul_f32_e32 v10, v10, v43
	v_fma_f32 v11, -v9, v41, v11
	v_fma_f32 v12, -v3, v27, v12
	;; [unrolled: 1-line block ×3, first 2 shown]
	ds_read_b128 v[43:46], v21 offset:800
	v_fma_f32 v12, -v7, v36, v12
	ds_read2_b32 v[35:36], v21 offset0:177 offset1:178
	v_fma_f32 v12, -v8, v31, v12
	v_fma_f32 v12, -v9, v42, v12
	v_fma_f32 v13, -v0, v33, v13
	v_fma_f32 v13, -v1, v24, v13
	s_waitcnt lgkmcnt(0)
	v_fma_f32 v12, -v10, v35, v12
	ds_read2_b64 v[24:27], v21 offset0:29 offset1:30
	v_fma_f32 v14, -v0, v34, v14
	ds_read2_b32 v[34:35], v21 offset0:35 offset1:36
	v_mul_f32_e32 v11, v11, v43
	ds_read2_b32 v[42:43], v23 offset0:225 offset1:226
	v_fma_f32 v12, -v11, v44, v12
	s_waitcnt lgkmcnt(2)
	v_fma_f32 v13, -v2, v24, v13
	s_waitcnt lgkmcnt(1)
	v_fma_f32 v14, -v1, v34, v14
	v_fma_f32 v14, -v2, v25, v14
	ds_read2_b32 v[24:25], v21 offset0:83 offset1:84
	s_waitcnt lgkmcnt(1)
	v_mul_f32_e32 v12, v12, v42
	ds_read2_b64 v[39:42], v21 offset0:77 offset1:78
	v_fma_f32 v13, -v3, v28, v13
	v_fma_f32 v13, -v7, v37, v13
	;; [unrolled: 1-line block ×3, first 2 shown]
	ds_read_b128 v[31:34], v21 offset:48
	s_waitcnt lgkmcnt(2)
	v_fma_f32 v14, -v3, v24, v14
	v_mov_b32_e32 v24, s4
	ds_read2_b32 v[51:52], v24 offset1:1
	s_waitcnt lgkmcnt(2)
	v_fma_f32 v13, -v9, v39, v13
	v_fma_f32 v13, -v10, v36, v13
	;; [unrolled: 1-line block ×3, first 2 shown]
	ds_read2_b32 v[38:39], v21 offset0:131 offset1:132
	v_fma_f32 v13, -v11, v45, v13
	v_fma_f32 v13, -v12, v43, v13
	ds_read2_b32 v[43:44], v21 offset0:179 offset1:180
	s_waitcnt lgkmcnt(3)
	v_fma_f32 v15, -v0, v31, v15
	v_fma_f32 v15, -v1, v35, v15
	s_waitcnt lgkmcnt(1)
	v_fma_f32 v14, -v8, v38, v14
	v_fma_f32 v15, -v2, v26, v15
	ds_read_b128 v[35:38], v21 offset:432
	v_fma_f32 v14, -v9, v40, v14
	v_fma_f32 v15, -v3, v25, v15
	ds_read2_b32 v[24:25], v21 offset0:37 offset1:38
	s_waitcnt lgkmcnt(2)
	v_fma_f32 v14, -v10, v43, v14
	v_mul_f32_e32 v13, v13, v47
	v_fma_f32 v14, -v11, v46, v14
	ds_read2_b32 v[46:47], v21 offset0:227 offset1:228
	s_waitcnt lgkmcnt(2)
	v_fma_f32 v15, -v7, v35, v15
	v_fma_f32 v16, -v0, v32, v16
	;; [unrolled: 1-line block ×3, first 2 shown]
	s_waitcnt lgkmcnt(1)
	v_fma_f32 v16, -v1, v24, v16
	v_fma_f32 v15, -v9, v41, v15
	;; [unrolled: 1-line block ×3, first 2 shown]
	ds_read2_b32 v[27:28], v21 offset0:85 offset1:86
	ds_read2_b32 v[31:32], v21 offset0:133 offset1:134
	s_waitcnt lgkmcnt(2)
	v_fma_f32 v14, -v12, v46, v14
	v_fma_f32 v15, -v10, v44, v15
	ds_read_b128 v[43:46], v21 offset:816
	s_waitcnt lgkmcnt(2)
	v_fma_f32 v16, -v3, v27, v16
	v_fma_f32 v16, -v7, v36, v16
	ds_read2_b32 v[35:36], v21 offset0:181 offset1:182
	v_fma_f32 v14, -v13, v48, v14
	s_waitcnt lgkmcnt(1)
	v_fma_f32 v15, -v11, v43, v15
	v_fma_f32 v15, -v12, v47, v15
	v_mul_f32_e32 v14, v14, v51
	v_fma_f32 v15, -v13, v49, v15
	v_fma_f32 v16, -v8, v31, v16
	;; [unrolled: 1-line block ×3, first 2 shown]
	ds_read_b128 v[51:54], v23 offset:1200
	v_fma_f32 v16, -v9, v42, v16
	ds_read2_b32 v[42:43], v21 offset0:229 offset1:230
	s_waitcnt lgkmcnt(2)
	v_fma_f32 v16, -v10, v35, v16
	v_fma_f32 v16, -v11, v44, v16
	s_add_i32 s4, s0, 0x454
	v_mov_b32_e32 v24, s4
	s_waitcnt lgkmcnt(0)
	v_fma_f32 v16, -v12, v42, v16
	s_add_i32 s4, s1, 0x514
	v_mul_f32_e32 v15, v15, v51
	v_fma_f32 v16, -v13, v50, v16
	ds_read2_b32 v[50:51], v24 offset1:1
	v_mov_b32_e32 v24, s4
	v_fma_f32 v17, -v0, v33, v17
	ds_read2_b32 v[55:56], v24 offset1:1
	v_fma_f32 v17, -v1, v25, v17
	ds_read2_b64 v[24:27], v21 offset0:31 offset1:32
	v_fma_f32 v18, -v0, v34, v18
	ds_read2_b32 v[34:35], v21 offset0:39 offset1:40
	ds_read2_b64 v[39:42], v21 offset0:79 offset1:80
	s_waitcnt lgkmcnt(4)
	v_fma_f32 v16, -v14, v50, v16
	s_waitcnt lgkmcnt(2)
	v_fma_f32 v17, -v2, v24, v17
	v_fma_f32 v17, -v3, v28, v17
	s_waitcnt lgkmcnt(1)
	v_fma_f32 v18, -v1, v34, v18
	v_fma_f32 v18, -v2, v25, v18
	ds_read2_b32 v[24:25], v21 offset0:87 offset1:88
	v_fma_f32 v17, -v7, v37, v17
	v_fma_f32 v17, -v8, v32, v17
	ds_read2_b64 v[47:50], v21 offset0:127 offset1:128
	s_waitcnt lgkmcnt(2)
	v_fma_f32 v17, -v9, v39, v17
	ds_read_b128 v[31:34], v21 offset:64
	s_waitcnt lgkmcnt(2)
	v_fma_f32 v18, -v3, v24, v18
	v_fma_f32 v17, -v10, v36, v17
	;; [unrolled: 1-line block ×3, first 2 shown]
	ds_read2_b32 v[38:39], v21 offset0:135 offset1:136
	v_fma_f32 v17, -v11, v45, v17
	v_fma_f32 v17, -v12, v43, v17
	ds_read2_b32 v[43:44], v21 offset0:183 offset1:184
	s_waitcnt lgkmcnt(3)
	v_fma_f32 v17, -v13, v47, v17
	s_waitcnt lgkmcnt(2)
	v_fma_f32 v4, -v0, v31, v4
	v_fma_f32 v5, -v0, v32, v5
	ds_read2_b32 v[31:32], v21 offset0:137 offset1:138
	s_waitcnt lgkmcnt(2)
	v_fma_f32 v18, -v8, v38, v18
	v_fma_f32 v16, -v15, v52, v16
	;; [unrolled: 1-line block ×4, first 2 shown]
	v_mul_f32_e32 v16, v16, v55
	v_fma_f32 v17, -v15, v53, v17
	s_waitcnt lgkmcnt(1)
	v_fma_f32 v18, -v10, v43, v18
	v_fma_f32 v17, -v16, v56, v17
	ds_read2_b64 v[55:58], v23 offset0:175 offset1:176
	v_fma_f32 v18, -v11, v46, v18
	ds_read2_b32 v[46:47], v21 offset0:231 offset1:232
	s_add_i32 s4, s0, 0x45c
	v_mov_b32_e32 v24, s4
	ds_read2_b32 v[51:52], v24 offset1:1
	s_add_i32 s4, s0, 0x51c
	s_waitcnt lgkmcnt(1)
	v_fma_f32 v18, -v12, v46, v18
	v_fma_f32 v18, -v13, v48, v18
	v_mov_b32_e32 v24, s4
	s_waitcnt lgkmcnt(0)
	v_fma_f32 v18, -v14, v51, v18
	s_add_i32 s4, s1, 0x5dc
	v_fma_f32 v4, -v1, v35, v4
	v_mul_f32_e32 v17, v17, v55
	v_fma_f32 v18, -v15, v54, v18
	ds_read2_b32 v[54:55], v24 offset1:1
	v_mov_b32_e32 v24, s4
	v_fma_f32 v4, -v2, v26, v4
	ds_read2_b32 v[59:60], v24 offset1:1
	v_fma_f32 v4, -v3, v25, v4
	ds_read2_b32 v[24:25], v21 offset0:41 offset1:42
	ds_read_b128 v[35:38], v21 offset:448
	v_fma_f32 v6, -v0, v33, v6
	v_fma_f32 v0, -v0, v34, v22
	ds_read_b32 v22, v21 offset:172
	s_waitcnt lgkmcnt(2)
	v_fma_f32 v5, -v1, v24, v5
	v_fma_f32 v5, -v2, v27, v5
	ds_read2_b32 v[26:27], v21 offset0:89 offset1:90
	s_waitcnt lgkmcnt(2)
	v_fma_f32 v4, -v7, v35, v4
	v_fma_f32 v4, -v8, v39, v4
	;; [unrolled: 1-line block ×4, first 2 shown]
	s_waitcnt lgkmcnt(0)
	v_fma_f32 v5, -v3, v26, v5
	ds_read_b128 v[43:46], v21 offset:832
	v_fma_f32 v5, -v7, v36, v5
	ds_read2_b32 v[35:36], v21 offset0:185 offset1:186
	ds_read2_b32 v[39:40], v21 offset0:233 offset1:234
	v_fma_f32 v5, -v8, v31, v5
	s_add_i32 s4, s0, 0x464
	v_fma_f32 v5, -v9, v42, v5
	v_mov_b32_e32 v24, s4
	s_add_i32 s4, s0, 0x524
	s_waitcnt lgkmcnt(2)
	v_fma_f32 v4, -v11, v43, v4
	s_waitcnt lgkmcnt(1)
	v_fma_f32 v5, -v10, v35, v5
	ds_read2_b32 v[41:42], v24 offset1:1
	v_mov_b32_e32 v24, s4
	s_addk_i32 s0, 0x5e4
	v_fma_f32 v4, -v12, v47, v4
	v_fma_f32 v5, -v11, v44, v5
	ds_read2_b32 v[43:44], v24 offset1:1
	v_mov_b32_e32 v24, s0
	s_add_i32 s0, s1, 0x6a4
	v_fma_f32 v4, -v13, v49, v4
	s_waitcnt lgkmcnt(2)
	v_fma_f32 v5, -v12, v39, v5
	ds_read2_b32 v[47:48], v24 offset1:1
	v_mov_b32_e32 v24, s0
	v_fma_f32 v18, -v16, v54, v18
	v_fma_f32 v4, -v14, v52, v4
	ds_read_b128 v[51:54], v21 offset:1216
	v_fma_f32 v5, -v13, v50, v5
	ds_read2_b32 v[49:50], v24 offset1:1
	v_fma_f32 v6, -v1, v25, v6
	ds_read_b64 v[24:25], v21 offset:264
	v_fma_f32 v0, -v1, v22, v0
	s_waitcnt lgkmcnt(2)
	v_fma_f32 v4, -v15, v51, v4
	v_fma_f32 v18, -v17, v56, v18
	;; [unrolled: 1-line block ×3, first 2 shown]
	s_waitcnt lgkmcnt(0)
	v_fma_f32 v6, -v2, v24, v6
	v_fma_f32 v2, -v2, v25, v0
	ds_read2_b32 v[0:1], v21 offset0:91 offset1:139
	v_fma_f32 v6, -v3, v27, v6
	ds_read_b64 v[26:27], v21 offset:648
	v_fma_f32 v6, -v7, v37, v6
	v_fma_f32 v6, -v8, v32, v6
	s_waitcnt lgkmcnt(1)
	v_fma_f32 v0, -v3, v0, v2
	v_fma_f32 v0, -v7, v38, v0
	;; [unrolled: 1-line block ×3, first 2 shown]
	ds_read_b64 v[31:32], v21 offset:1032
	s_waitcnt lgkmcnt(1)
	v_fma_f32 v2, -v9, v27, v0
	ds_read2_b32 v[0:1], v21 offset0:187 offset1:235
	v_add_u32_e32 v3, 0x400, v21
	v_mul_f32_e32 v18, v18, v59
	v_fma_f32 v4, -v17, v57, v4
	v_fma_f32 v6, -v9, v26, v6
	s_waitcnt lgkmcnt(0)
	v_fma_f32 v0, -v10, v0, v2
	v_fma_f32 v0, -v11, v46, v0
	;; [unrolled: 1-line block ×4, first 2 shown]
	ds_read2_b32 v[0:1], v3 offset0:27 offset1:75
	v_fma_f32 v4, -v18, v60, v4
	ds_read_b128 v[59:62], v23 offset:1600
	v_fma_f32 v6, -v10, v36, v6
	ds_read_b64 v[35:36], v21 offset:1416
	s_waitcnt lgkmcnt(2)
	v_fma_f32 v0, -v14, v0, v2
	v_fma_f32 v0, -v15, v54, v0
	;; [unrolled: 1-line block ×4, first 2 shown]
	s_waitcnt lgkmcnt(0)
	v_fma_f32 v2, -v17, v36, v0
	ds_read2_b32 v[0:1], v3 offset0:123 offset1:171
	v_fma_f32 v5, -v15, v52, v5
	v_fma_f32 v6, -v11, v45, v6
	;; [unrolled: 1-line block ×6, first 2 shown]
	v_mul_f32_e32 v4, v4, v59
	v_fma_f32 v5, -v18, v47, v5
	v_fma_f32 v6, -v14, v42, v6
	;; [unrolled: 1-line block ×4, first 2 shown]
	s_waitcnt lgkmcnt(0)
	v_fma_f32 v0, -v18, v0, v2
	v_mul_f32_e32 v5, v5, v49
	v_fma_f32 v6, -v16, v44, v6
	ds_read_b64 v[23:24], v23 offset:1800
	v_fma_f32 v0, -v4, v62, v0
	s_mul_i32 s0, s3, 0x64
	v_fma_f32 v6, -v17, v35, v6
	v_fma_f32 v0, -v5, v1, v0
	v_mov_b32_e32 v1, s0
	v_fma_f32 v6, -v18, v48, v6
	ds_read_b32 v1, v1
	v_fma_f32 v6, -v4, v61, v6
	v_fma_f32 v6, -v5, v50, v6
	s_waitcnt lgkmcnt(1)
	v_mul_f32_e32 v6, v6, v23
	v_fma_f32 v0, -v6, v24, v0
	global_store_dwordx4 v[19:20], v[7:10], off offset:16
	global_store_dwordx4 v[19:20], v[11:14], off offset:32
	s_waitcnt lgkmcnt(0)
	v_mul_f32_e32 v7, v0, v1
	global_store_dwordx4 v[19:20], v[15:18], off offset:48
	global_store_dwordx4 v[19:20], v[4:7], off offset:64
.LBB29_43:
	s_cmp_ge_i32 s2, s17
	s_cbranch_scc1 .LBB29_48
; %bb.44:
	s_lshl_b32 s0, s2, 2
	s_mov_b32 s3, 0
	s_branch .LBB29_46
.LBB29_45:                              ;   in Loop: Header=BB29_46 Depth=1
	s_mul_i32 s1, s2, 0x64
	v_mov_b32_e32 v2, s1
	ds_read_b32 v2, v2
	s_add_i32 s2, s2, 1
	s_add_i32 s0, s0, 4
	s_cmp_ge_i32 s2, s17
	s_waitcnt lgkmcnt(0)
	v_mul_f32_e32 v2, v4, v2
	global_store_dword v[0:1], v2, off
	s_cbranch_scc1 .LBB29_48
.LBB29_46:                              ; =>This Loop Header: Depth=1
                                        ;     Child Loop BB29_47 Depth 2
	s_lshl_b64 s[4:5], s[2:3], 2
	v_mov_b32_e32 v1, s5
	v_add_co_u32_e32 v0, vcc, s4, v29
	v_addc_co_u32_e32 v1, vcc, v30, v1, vcc
	global_load_dword v4, v[0:1], off
	v_mov_b32_e32 v2, v29
	v_mov_b32_e32 v3, v30
	s_mov_b32 s1, s0
	s_cmp_eq_u32 s2, 0
	s_mov_b32 s4, s2
	s_waitcnt vmcnt(0)
	v_mul_f32_e32 v4, s16, v4
	s_cbranch_scc1 .LBB29_45
.LBB29_47:                              ;   Parent Loop BB29_46 Depth=1
                                        ; =>  This Inner Loop Header: Depth=2
	global_load_dword v5, v[2:3], off
	v_mov_b32_e32 v6, s1
	ds_read_b32 v6, v6
	s_add_i32 s4, s4, -1
	s_addk_i32 s1, 0x60
	v_add_co_u32_e32 v2, vcc, 4, v2
	v_addc_co_u32_e32 v3, vcc, 0, v3, vcc
	s_cmp_lg_u32 s4, 0
	s_waitcnt vmcnt(0) lgkmcnt(0)
	v_fma_f32 v4, -v5, v6, v4
	s_cbranch_scc1 .LBB29_47
	s_branch .LBB29_45
.LBB29_48:
	s_endpgm
	.section	.rodata,"a",@progbits
	.p2align	6, 0x0
	.amdhsa_kernel _ZL30rocblas_trsm_small_left_deviceILi24ELi24ELb1EffPKfPfEv13rocblas_fill_18rocblas_operation_17rocblas_diagonal_iiT3_T4_lilT5_lili
		.amdhsa_group_segment_fixed_size 2304
		.amdhsa_private_segment_fixed_size 0
		.amdhsa_kernarg_size 352
		.amdhsa_user_sgpr_count 6
		.amdhsa_user_sgpr_private_segment_buffer 1
		.amdhsa_user_sgpr_dispatch_ptr 0
		.amdhsa_user_sgpr_queue_ptr 0
		.amdhsa_user_sgpr_kernarg_segment_ptr 1
		.amdhsa_user_sgpr_dispatch_id 0
		.amdhsa_user_sgpr_flat_scratch_init 0
		.amdhsa_user_sgpr_private_segment_size 0
		.amdhsa_uses_dynamic_stack 0
		.amdhsa_system_sgpr_private_segment_wavefront_offset 0
		.amdhsa_system_sgpr_workgroup_id_x 1
		.amdhsa_system_sgpr_workgroup_id_y 0
		.amdhsa_system_sgpr_workgroup_id_z 1
		.amdhsa_system_sgpr_workgroup_info 0
		.amdhsa_system_vgpr_workitem_id 0
		.amdhsa_next_free_vgpr 63
		.amdhsa_next_free_sgpr 77
		.amdhsa_reserve_vcc 1
		.amdhsa_reserve_flat_scratch 0
		.amdhsa_float_round_mode_32 0
		.amdhsa_float_round_mode_16_64 0
		.amdhsa_float_denorm_mode_32 3
		.amdhsa_float_denorm_mode_16_64 3
		.amdhsa_dx10_clamp 1
		.amdhsa_ieee_mode 1
		.amdhsa_fp16_overflow 0
		.amdhsa_exception_fp_ieee_invalid_op 0
		.amdhsa_exception_fp_denorm_src 0
		.amdhsa_exception_fp_ieee_div_zero 0
		.amdhsa_exception_fp_ieee_overflow 0
		.amdhsa_exception_fp_ieee_underflow 0
		.amdhsa_exception_fp_ieee_inexact 0
		.amdhsa_exception_int_div_zero 0
	.end_amdhsa_kernel
	.section	.text._ZL30rocblas_trsm_small_left_deviceILi24ELi24ELb1EffPKfPfEv13rocblas_fill_18rocblas_operation_17rocblas_diagonal_iiT3_T4_lilT5_lili,"axG",@progbits,_ZL30rocblas_trsm_small_left_deviceILi24ELi24ELb1EffPKfPfEv13rocblas_fill_18rocblas_operation_17rocblas_diagonal_iiT3_T4_lilT5_lili,comdat
.Lfunc_end29:
	.size	_ZL30rocblas_trsm_small_left_deviceILi24ELi24ELb1EffPKfPfEv13rocblas_fill_18rocblas_operation_17rocblas_diagonal_iiT3_T4_lilT5_lili, .Lfunc_end29-_ZL30rocblas_trsm_small_left_deviceILi24ELi24ELb1EffPKfPfEv13rocblas_fill_18rocblas_operation_17rocblas_diagonal_iiT3_T4_lilT5_lili
                                        ; -- End function
	.set _ZL30rocblas_trsm_small_left_deviceILi24ELi24ELb1EffPKfPfEv13rocblas_fill_18rocblas_operation_17rocblas_diagonal_iiT3_T4_lilT5_lili.num_vgpr, 63
	.set _ZL30rocblas_trsm_small_left_deviceILi24ELi24ELb1EffPKfPfEv13rocblas_fill_18rocblas_operation_17rocblas_diagonal_iiT3_T4_lilT5_lili.num_agpr, 0
	.set _ZL30rocblas_trsm_small_left_deviceILi24ELi24ELb1EffPKfPfEv13rocblas_fill_18rocblas_operation_17rocblas_diagonal_iiT3_T4_lilT5_lili.numbered_sgpr, 24
	.set _ZL30rocblas_trsm_small_left_deviceILi24ELi24ELb1EffPKfPfEv13rocblas_fill_18rocblas_operation_17rocblas_diagonal_iiT3_T4_lilT5_lili.num_named_barrier, 0
	.set _ZL30rocblas_trsm_small_left_deviceILi24ELi24ELb1EffPKfPfEv13rocblas_fill_18rocblas_operation_17rocblas_diagonal_iiT3_T4_lilT5_lili.private_seg_size, 0
	.set _ZL30rocblas_trsm_small_left_deviceILi24ELi24ELb1EffPKfPfEv13rocblas_fill_18rocblas_operation_17rocblas_diagonal_iiT3_T4_lilT5_lili.uses_vcc, 1
	.set _ZL30rocblas_trsm_small_left_deviceILi24ELi24ELb1EffPKfPfEv13rocblas_fill_18rocblas_operation_17rocblas_diagonal_iiT3_T4_lilT5_lili.uses_flat_scratch, 0
	.set _ZL30rocblas_trsm_small_left_deviceILi24ELi24ELb1EffPKfPfEv13rocblas_fill_18rocblas_operation_17rocblas_diagonal_iiT3_T4_lilT5_lili.has_dyn_sized_stack, 0
	.set _ZL30rocblas_trsm_small_left_deviceILi24ELi24ELb1EffPKfPfEv13rocblas_fill_18rocblas_operation_17rocblas_diagonal_iiT3_T4_lilT5_lili.has_recursion, 0
	.set _ZL30rocblas_trsm_small_left_deviceILi24ELi24ELb1EffPKfPfEv13rocblas_fill_18rocblas_operation_17rocblas_diagonal_iiT3_T4_lilT5_lili.has_indirect_call, 0
	.section	.AMDGPU.csdata,"",@progbits
; Kernel info:
; codeLenInByte = 17992
; TotalNumSgprs: 28
; NumVgprs: 63
; ScratchSize: 0
; MemoryBound: 0
; FloatMode: 240
; IeeeMode: 1
; LDSByteSize: 2304 bytes/workgroup (compile time only)
; SGPRBlocks: 10
; VGPRBlocks: 15
; NumSGPRsForWavesPerEU: 81
; NumVGPRsForWavesPerEU: 63
; Occupancy: 4
; WaveLimiterHint : 1
; COMPUTE_PGM_RSRC2:SCRATCH_EN: 0
; COMPUTE_PGM_RSRC2:USER_SGPR: 6
; COMPUTE_PGM_RSRC2:TRAP_HANDLER: 0
; COMPUTE_PGM_RSRC2:TGID_X_EN: 1
; COMPUTE_PGM_RSRC2:TGID_Y_EN: 0
; COMPUTE_PGM_RSRC2:TGID_Z_EN: 1
; COMPUTE_PGM_RSRC2:TIDIG_COMP_CNT: 0
	.section	.text._ZL31rocblas_trsm_small_right_deviceIffPKfPfLi24EEv13rocblas_fill_18rocblas_operation_17rocblas_diagonal_iiT0_T1_lilT2_lili,"axG",@progbits,_ZL31rocblas_trsm_small_right_deviceIffPKfPfLi24EEv13rocblas_fill_18rocblas_operation_17rocblas_diagonal_iiT0_T1_lilT2_lili,comdat
	.globl	_ZL31rocblas_trsm_small_right_deviceIffPKfPfLi24EEv13rocblas_fill_18rocblas_operation_17rocblas_diagonal_iiT0_T1_lilT2_lili ; -- Begin function _ZL31rocblas_trsm_small_right_deviceIffPKfPfLi24EEv13rocblas_fill_18rocblas_operation_17rocblas_diagonal_iiT0_T1_lilT2_lili
	.p2align	8
	.type	_ZL31rocblas_trsm_small_right_deviceIffPKfPfLi24EEv13rocblas_fill_18rocblas_operation_17rocblas_diagonal_iiT0_T1_lilT2_lili,@function
_ZL31rocblas_trsm_small_right_deviceIffPKfPfLi24EEv13rocblas_fill_18rocblas_operation_17rocblas_diagonal_iiT0_T1_lilT2_lili: ; @_ZL31rocblas_trsm_small_right_deviceIffPKfPfLi24EEv13rocblas_fill_18rocblas_operation_17rocblas_diagonal_iiT0_T1_lilT2_lili
; %bb.0:
	s_load_dwordx4 s[8:11], s[4:5], 0x0
	s_load_dwordx2 s[12:13], s[4:5], 0x10
	s_load_dwordx4 s[0:3], s[4:5], 0x30
	s_load_dwordx2 s[14:15], s[4:5], 0x40
	s_waitcnt lgkmcnt(0)
	s_min_i32 s18, s12, 24
	v_cmp_gt_i32_e32 vcc, s18, v0
	s_and_saveexec_b64 s[16:17], vcc
	s_cbranch_execz .LBB30_5
; %bb.1:
	s_load_dword s24, s[4:5], 0x28
	s_load_dwordx4 s[20:23], s[4:5], 0x18
	s_mul_i32 s1, s1, s7
	s_mul_hi_u32 s19, s0, s7
	s_add_i32 s1, s19, s1
	s_mul_i32 s0, s0, s7
	s_waitcnt lgkmcnt(0)
	s_ashr_i32 s25, s24, 31
	s_lshl_b64 s[0:1], s[0:1], 2
	s_add_u32 s19, s20, s0
	s_addc_u32 s20, s21, s1
	s_lshl_b64 s[0:1], s[22:23], 2
	s_add_u32 s0, s19, s0
	s_addc_u32 s1, s20, s1
	v_lshlrev_b32_e32 v3, 2, v0
	v_mov_b32_e32 v2, s1
	v_add_co_u32_e32 v1, vcc, s0, v3
	s_lshl_b64 s[0:1], s[24:25], 2
	v_addc_co_u32_e32 v2, vcc, 0, v2, vcc
	v_mov_b32_e32 v4, s1
	v_mov_b32_e32 v5, v3
	s_mov_b32 s1, s18
.LBB30_2:                               ; =>This Inner Loop Header: Depth=1
	global_load_dword v6, v[1:2], off
	v_add_co_u32_e32 v1, vcc, s0, v1
	s_add_i32 s1, s1, -1
	v_addc_co_u32_e32 v2, vcc, v2, v4, vcc
	s_cmp_eq_u32 s1, 0
	s_waitcnt vmcnt(0)
	ds_write_b32 v5, v6
	v_add_u32_e32 v5, 0x60, v5
	s_cbranch_scc0 .LBB30_2
; %bb.3:
	s_cmpk_eq_i32 s10, 0x84
	s_cbranch_scc0 .LBB30_5
; %bb.4:
	s_movk_i32 s0, 0x60
	v_mad_u32_u24 v1, v0, s0, v3
	v_mov_b32_e32 v2, 1.0
	ds_write_b32 v1, v2
.LBB30_5:
	s_or_b64 exec, exec, s[16:17]
	s_load_dword s0, s[4:5], 0x60
	s_load_dwordx2 s[16:17], s[4:5], 0x50
	s_load_dword s10, s[4:5], 0x48
	s_waitcnt lgkmcnt(0)
	s_mul_i32 s1, s17, s7
	s_mul_hi_u32 s5, s16, s7
	s_mul_i32 s4, s16, s7
	s_add_i32 s5, s5, s1
	s_lshl_b64 s[4:5], s[4:5], 2
	s_add_u32 s1, s2, s4
	s_addc_u32 s4, s3, s5
	s_lshl_b64 s[2:3], s[14:15], 2
	s_add_u32 s1, s1, s2
	s_addc_u32 s2, s4, s3
	s_mul_i32 s3, s6, 0xffffffe8
	s_add_i32 s0, s0, -1
	s_add_i32 s3, s11, s3
	s_cmp_ge_u32 s6, s0
	s_cselect_b32 s0, s3, 24
	s_mul_hi_i32 s3, s6, 0x60
	s_mulk_i32 s6, 0x60
	s_add_u32 s14, s1, s6
	s_addc_u32 s15, s2, s3
	v_cmp_gt_i32_e64 s[0:1], s0, v0
	s_and_saveexec_b64 s[2:3], s[0:1]
	s_cbranch_execz .LBB30_9
; %bb.6:
	s_cmp_lt_i32 s12, 1
	s_cbranch_scc1 .LBB30_9
; %bb.7:
	s_ashr_i32 s11, s10, 31
	v_lshlrev_b32_e32 v3, 2, v0
	v_mov_b32_e32 v2, s15
	v_add_co_u32_e32 v1, vcc, s14, v3
	s_lshl_b64 s[4:5], s[10:11], 2
	v_addc_co_u32_e32 v2, vcc, 0, v2, vcc
	v_or_b32_e32 v3, 0x900, v3
	v_mov_b32_e32 v4, s5
	s_mov_b32 s5, s12
.LBB30_8:                               ; =>This Inner Loop Header: Depth=1
	global_load_dword v5, v[1:2], off
	s_add_i32 s5, s5, -1
	v_add_co_u32_e32 v1, vcc, s4, v1
	v_addc_co_u32_e32 v2, vcc, v2, v4, vcc
	s_cmp_lg_u32 s5, 0
	s_waitcnt vmcnt(0)
	v_mul_f32_e32 v5, s13, v5
	ds_write_b32 v3, v5
	v_add_u32_e32 v3, 0x60, v3
	s_cbranch_scc1 .LBB30_8
.LBB30_9:
	s_or_b64 exec, exec, s[2:3]
	s_cmpk_eq_i32 s9, 0x6f
	s_cselect_b64 s[2:3], -1, 0
	s_cmpk_lg_i32 s8, 0x79
	s_cselect_b64 s[4:5], -1, 0
	s_cmpk_eq_i32 s8, 0x79
	s_cselect_b64 s[6:7], -1, 0
	s_and_b64 s[6:7], s[6:7], s[2:3]
	s_andn2_b64 vcc, exec, s[6:7]
	s_mov_b64 s[6:7], -1
	s_waitcnt lgkmcnt(0)
	; wave barrier
	s_cbranch_vccz .LBB30_66
; %bb.10:
	s_cmpk_lg_i32 s8, 0x7a
	s_cselect_b64 s[16:17], -1, 0
	s_xor_b64 s[2:3], s[2:3], -1
	s_add_i32 s8, s18, -1
	s_or_b64 s[16:17], s[16:17], s[2:3]
	v_mov_b32_e32 v1, 0x900
	s_cmp_gt_i32 s12, 3
	v_lshl_or_b32 v3, v0, 2, v1
	s_cselect_b64 s[2:3], -1, 0
	s_and_b64 vcc, exec, s[16:17]
	s_cbranch_vccz .LBB30_45
; %bb.11:
	s_andn2_b64 vcc, exec, s[4:5]
	s_mov_b64 s[4:5], -1
	s_cbranch_vccnz .LBB30_24
; %bb.12:
	s_andn2_b64 vcc, exec, s[2:3]
	s_mov_b32 s6, 0
	s_cbranch_vccnz .LBB30_18
; %bb.13:
	v_mov_b32_e32 v1, 0x900
	v_lshl_or_b32 v4, v0, 2, v1
	s_mov_b32 s4, 0
	s_mov_b32 s5, 0
.LBB30_14:                              ; =>This Loop Header: Depth=1
                                        ;     Child Loop BB30_15 Depth 2
	s_or_b32 s7, s5, 3
	s_mul_i32 s6, s5, 0x60
	v_add_u32_e32 v5, s6, v3
	s_mulk_i32 s7, 0x60
	ds_read2_b32 v[1:2], v5 offset1:24
	v_add_u32_e32 v6, s7, v3
	ds_read_b32 v8, v5 offset:192
	ds_read_b32 v7, v6
	s_cmp_eq_u32 s5, 0
	v_mov_b32_e32 v9, v4
	s_mov_b32 s7, s4
	s_mov_b32 s9, s5
	s_cbranch_scc1 .LBB30_16
.LBB30_15:                              ;   Parent Loop BB30_14 Depth=1
                                        ; =>  This Inner Loop Header: Depth=2
	v_mov_b32_e32 v10, s7
	ds_read_b32 v14, v9
	ds_read_b128 v[10:13], v10
	s_add_i32 s9, s9, -1
	s_addk_i32 s7, 0x60
	v_add_u32_e32 v9, 0x60, v9
	s_cmp_eq_u32 s9, 0
	s_waitcnt lgkmcnt(0)
	v_fma_f32 v1, -v14, v10, v1
	v_fma_f32 v2, -v14, v11, v2
	;; [unrolled: 1-line block ×4, first 2 shown]
	s_cbranch_scc0 .LBB30_15
.LBB30_16:                              ;   in Loop: Header=BB30_14 Depth=1
	s_lshl_b32 s9, s5, 2
	s_add_i32 s11, s9, s6
	v_mov_b32_e32 v15, s11
	ds_read_b128 v[9:12], v15
	ds_read2_b32 v[13:14], v15 offset0:25 offset1:26
	s_addk_i32 s11, 0x64
	s_add_i32 s4, s4, 16
	s_waitcnt lgkmcnt(1)
	v_div_scale_f32 v16, s[6:7], v9, v9, v1
	v_div_scale_f32 v17, vcc, v1, v9, v1
	v_rcp_f32_e32 v18, v16
	v_fma_f32 v19, -v16, v18, 1.0
	v_fmac_f32_e32 v18, v19, v18
	v_mul_f32_e32 v19, v17, v18
	v_fma_f32 v20, -v16, v19, v17
	v_fmac_f32_e32 v19, v20, v18
	v_fma_f32 v16, -v16, v19, v17
	v_div_fmas_f32 v16, v16, v18, v19
	v_div_fixup_f32 v9, v16, v9, v1
	v_fma_f32 v10, -v9, v10, v2
	s_waitcnt lgkmcnt(0)
	v_div_scale_f32 v1, s[6:7], v13, v13, v10
	v_div_scale_f32 v2, vcc, v10, v13, v10
	v_fma_f32 v8, -v9, v11, v8
	v_fma_f32 v7, -v9, v12, v7
	v_rcp_f32_e32 v16, v1
	v_fma_f32 v17, -v1, v16, 1.0
	v_fmac_f32_e32 v16, v17, v16
	v_mul_f32_e32 v17, v2, v16
	v_fma_f32 v18, -v1, v17, v2
	v_fmac_f32_e32 v17, v18, v16
	v_fma_f32 v1, -v1, v17, v2
	v_div_fmas_f32 v16, v1, v16, v17
	ds_read_b64 v[1:2], v15 offset:200
	ds_read_b32 v15, v15 offset:300
	v_div_fixup_f32 v10, v16, v13, v10
	v_fma_f32 v8, -v10, v14, v8
	s_waitcnt lgkmcnt(1)
	v_div_scale_f32 v11, s[6:7], v1, v1, v8
	v_div_scale_f32 v13, vcc, v8, v1, v8
	s_or_b32 s6, s9, 4
	s_sub_i32 s6, s11, s6
	s_add_i32 s6, s6, s9
	v_rcp_f32_e32 v14, v11
	v_fma_f32 v16, -v11, v14, 1.0
	v_fmac_f32_e32 v14, v16, v14
	v_mul_f32_e32 v16, v13, v14
	v_fma_f32 v17, -v11, v16, v13
	v_fmac_f32_e32 v16, v17, v14
	v_fma_f32 v11, -v11, v16, v13
	v_div_fmas_f32 v11, v11, v14, v16
	v_mov_b32_e32 v13, s6
	ds_read_b32 v13, v13 offset:12
	s_waitcnt lgkmcnt(0)
	v_fma_f32 v7, -v10, v13, v7
	v_div_fixup_f32 v1, v11, v1, v8
	v_fma_f32 v2, -v1, v2, v7
	v_div_scale_f32 v7, s[6:7], v15, v15, v2
	v_div_scale_f32 v8, vcc, v2, v15, v2
	s_add_i32 s6, s5, 4
	s_add_i32 s5, s5, 7
	ds_write2_b32 v5, v9, v10 offset1:24
	ds_write_b32 v5, v1 offset:192
	s_cmp_ge_i32 s5, s18
	v_rcp_f32_e32 v11, v7
	v_fma_f32 v12, -v7, v11, 1.0
	v_fmac_f32_e32 v11, v12, v11
	v_mul_f32_e32 v12, v8, v11
	v_fma_f32 v13, -v7, v12, v8
	v_fmac_f32_e32 v12, v13, v11
	v_fma_f32 v7, -v7, v12, v8
	v_div_fmas_f32 v7, v7, v11, v12
	v_div_fixup_f32 v1, v7, v15, v2
	ds_write_b32 v6, v1
	s_cbranch_scc1 .LBB30_18
; %bb.17:                               ;   in Loop: Header=BB30_14 Depth=1
	s_mov_b32 s5, s6
	s_branch .LBB30_14
.LBB30_18:
	s_cmp_ge_i32 s6, s18
	s_cbranch_scc1 .LBB30_23
; %bb.19:
	v_mov_b32_e32 v1, 0x900
	s_lshl_b32 s4, s6, 2
	v_lshl_or_b32 v1, v0, 2, v1
	s_branch .LBB30_21
.LBB30_20:                              ;   in Loop: Header=BB30_21 Depth=1
	s_lshl_b32 s7, s6, 2
	s_add_i32 s5, s7, s5
	v_mov_b32_e32 v5, s5
	ds_read_b32 v5, v5
	s_add_i32 s6, s6, 1
	s_add_i32 s4, s4, 4
	s_cmp_ge_i32 s6, s18
	s_waitcnt lgkmcnt(0)
	v_div_scale_f32 v6, s[16:17], v5, v5, v4
	v_div_scale_f32 v7, vcc, v4, v5, v4
	v_rcp_f32_e32 v8, v6
	v_fma_f32 v9, -v6, v8, 1.0
	v_fmac_f32_e32 v8, v9, v8
	v_mul_f32_e32 v9, v7, v8
	v_fma_f32 v10, -v6, v9, v7
	v_fmac_f32_e32 v9, v10, v8
	v_fma_f32 v6, -v6, v9, v7
	v_div_fmas_f32 v6, v6, v8, v9
	v_div_fixup_f32 v4, v6, v5, v4
	ds_write_b32 v2, v4
	s_cbranch_scc1 .LBB30_23
.LBB30_21:                              ; =>This Loop Header: Depth=1
                                        ;     Child Loop BB30_22 Depth 2
	s_mul_i32 s5, s6, 0x60
	v_add_u32_e32 v2, s5, v3
	ds_read_b32 v4, v2
	s_cmp_eq_u32 s6, 0
	v_mov_b32_e32 v5, v1
	s_mov_b32 s7, s4
	s_mov_b32 s9, s6
	s_cbranch_scc1 .LBB30_20
.LBB30_22:                              ;   Parent Loop BB30_21 Depth=1
                                        ; =>  This Inner Loop Header: Depth=2
	v_mov_b32_e32 v7, s7
	ds_read_b32 v6, v5
	ds_read_b32 v7, v7
	s_add_i32 s9, s9, -1
	s_addk_i32 s7, 0x60
	v_add_u32_e32 v5, 0x60, v5
	s_cmp_eq_u32 s9, 0
	s_waitcnt lgkmcnt(0)
	v_fma_f32 v4, -v6, v7, v4
	s_cbranch_scc0 .LBB30_22
	s_branch .LBB30_20
.LBB30_23:
	s_mov_b64 s[4:5], 0
.LBB30_24:
	s_and_b64 vcc, exec, s[4:5]
	s_cbranch_vccz .LBB30_44
; %bb.25:
	s_andn2_b64 vcc, exec, s[2:3]
	s_mov_b32 s6, s8
	s_cbranch_vccnz .LBB30_31
; %bb.26:
	s_mul_i32 s5, s18, 0x60
	s_mul_i32 s4, s18, 0x64
	v_lshl_add_u32 v1, v0, 2, s5
	s_addk_i32 s4, 0xff90
	v_add_u32_e32 v1, 0x8a0, v1
	s_mov_b32 s5, s8
.LBB30_27:                              ; =>This Loop Header: Depth=1
                                        ;     Child Loop BB30_28 Depth 2
	s_mul_i32 s7, s5, 0x60
	v_add_u32_e32 v2, s7, v3
	s_add_i32 s6, s7, 0xfffffee0
	v_add_u32_e32 v4, 0xffffffa0, v2
	v_add_u32_e32 v5, 0xffffff40, v2
	;; [unrolled: 1-line block ×3, first 2 shown]
	ds_read_b32 v10, v2
	ds_read_b32 v9, v4
	;; [unrolled: 1-line block ×4, first 2 shown]
	s_cmp_le_i32 s8, s5
	v_mov_b32_e32 v11, v1
	s_mov_b32 s9, s4
	s_mov_b32 s11, s8
	s_cbranch_scc1 .LBB30_29
.LBB30_28:                              ;   Parent Loop BB30_27 Depth=1
                                        ; =>  This Inner Loop Header: Depth=2
	v_mov_b32_e32 v14, s9
	ds_read_b32 v16, v11
	ds_read2_b32 v[12:13], v14 offset0:2 offset1:3
	ds_read2_b32 v[14:15], v14 offset1:1
	s_add_i32 s11, s11, -1
	s_addk_i32 s9, 0xffa0
	v_add_u32_e32 v11, 0xffffffa0, v11
	s_cmp_le_i32 s11, s5
	s_waitcnt lgkmcnt(1)
	v_fma_f32 v10, -v16, v13, v10
	v_fma_f32 v9, -v16, v12, v9
	s_waitcnt lgkmcnt(0)
	v_fma_f32 v8, -v16, v15, v8
	v_fma_f32 v7, -v16, v14, v7
	s_cbranch_scc0 .LBB30_28
.LBB30_29:                              ;   in Loop: Header=BB30_27 Depth=1
	s_add_i32 s9, s5, -3
	s_lshl_b32 s11, s5, 2
	s_add_i32 s13, s11, s7
	s_lshl_b32 s9, s9, 2
	s_add_i32 s16, s13, -4
	s_add_i32 s7, s7, s9
	v_mov_b32_e32 v11, s16
	s_add_i32 s16, s13, 0xffffff9c
	s_add_i32 s13, s13, -12
	s_add_i32 s9, s7, 0xffffffa0
	v_mov_b32_e32 v13, s16
	v_mov_b32_e32 v14, s13
	;; [unrolled: 1-line block ×3, first 2 shown]
	ds_read2_b32 v[11:12], v11 offset1:1
	ds_read_b32 v17, v13
	ds_read2_b32 v[13:14], v14 offset1:1
	ds_read2_b32 v[15:16], v15 offset1:1
	s_add_i32 s6, s11, s6
	s_waitcnt lgkmcnt(3)
	v_div_scale_f32 v18, s[16:17], v12, v12, v10
	v_div_scale_f32 v19, vcc, v10, v12, v10
	s_addk_i32 s7, 0xff40
	s_add_i32 s6, s6, -12
	s_add_i32 s4, s4, -16
	v_rcp_f32_e32 v20, v18
	v_fma_f32 v21, -v18, v20, 1.0
	v_fmac_f32_e32 v20, v21, v20
	v_mul_f32_e32 v21, v19, v20
	v_fma_f32 v22, -v18, v21, v19
	v_fmac_f32_e32 v21, v22, v20
	v_fma_f32 v18, -v18, v21, v19
	v_div_fmas_f32 v18, v18, v20, v21
	v_div_fixup_f32 v12, v18, v12, v10
	v_fma_f32 v11, -v12, v11, v9
	s_waitcnt lgkmcnt(2)
	v_div_scale_f32 v9, s[16:17], v17, v17, v11
	v_div_scale_f32 v10, vcc, v11, v17, v11
	s_waitcnt lgkmcnt(1)
	v_fma_f32 v8, -v12, v14, v8
	v_fma_f32 v7, -v12, v13, v7
	v_rcp_f32_e32 v18, v9
	v_fma_f32 v19, -v9, v18, 1.0
	v_fmac_f32_e32 v18, v19, v18
	v_mul_f32_e32 v19, v10, v18
	v_fma_f32 v20, -v9, v19, v10
	v_fmac_f32_e32 v19, v20, v18
	v_fma_f32 v9, -v9, v19, v10
	v_div_fmas_f32 v18, v9, v18, v19
	v_mov_b32_e32 v9, s7
	v_mov_b32_e32 v19, s6
	ds_read2_b32 v[9:10], v9 offset1:1
	ds_read_b32 v19, v19
	v_div_fixup_f32 v11, v18, v17, v11
	s_waitcnt lgkmcnt(2)
	v_fma_f32 v8, -v11, v16, v8
	s_waitcnt lgkmcnt(1)
	v_div_scale_f32 v14, s[6:7], v10, v10, v8
	v_div_scale_f32 v16, vcc, v8, v10, v8
	v_fma_f32 v7, -v11, v15, v7
	v_rcp_f32_e32 v17, v14
	v_fma_f32 v18, -v14, v17, 1.0
	v_fmac_f32_e32 v17, v18, v17
	v_mul_f32_e32 v18, v16, v17
	v_fma_f32 v20, -v14, v18, v16
	v_fmac_f32_e32 v18, v20, v17
	v_fma_f32 v14, -v14, v18, v16
	v_div_fmas_f32 v14, v14, v17, v18
	v_div_fixup_f32 v8, v14, v10, v8
	v_fma_f32 v7, -v8, v9, v7
	s_waitcnt lgkmcnt(0)
	v_div_scale_f32 v9, s[6:7], v19, v19, v7
	v_div_scale_f32 v10, vcc, v7, v19, v7
	s_add_i32 s6, s5, -4
	ds_write_b32 v2, v12
	ds_write_b32 v4, v11
	;; [unrolled: 1-line block ×3, first 2 shown]
	s_cmp_lt_i32 s5, 7
	v_rcp_f32_e32 v13, v9
	v_fma_f32 v14, -v9, v13, 1.0
	v_fmac_f32_e32 v13, v14, v13
	v_mul_f32_e32 v14, v10, v13
	v_fma_f32 v15, -v9, v14, v10
	v_fmac_f32_e32 v14, v15, v13
	v_fma_f32 v9, -v9, v14, v10
	v_div_fmas_f32 v9, v9, v13, v14
	v_div_fixup_f32 v2, v9, v19, v7
	ds_write_b32 v6, v2
	s_cbranch_scc1 .LBB30_31
; %bb.30:                               ;   in Loop: Header=BB30_27 Depth=1
	s_mov_b32 s5, s6
	s_branch .LBB30_27
.LBB30_31:
	s_cmp_lt_i32 s6, 0
	s_cbranch_scc1 .LBB30_44
; %bb.32:
	s_bitcmp1_b32 s6, 0
	s_cselect_b64 s[4:5], -1, 0
	s_and_b64 vcc, exec, s[4:5]
	s_mov_b32 s4, s6
	s_cbranch_vccnz .LBB30_37
; %bb.33:
	s_mul_i32 s4, s6, 0x60
	v_add_u32_e32 v1, s4, v3
	ds_read_b32 v2, v1
	s_cmp_le_i32 s8, s6
	s_cbranch_scc1 .LBB30_36
; %bb.34:
	s_mul_i32 s7, s18, 0x60
	s_lshl_b32 s5, s6, 2
	s_add_i32 s5, s7, s5
	v_lshl_add_u32 v4, v0, 2, s7
	s_addk_i32 s5, 0xffa0
	v_add_u32_e32 v4, 0x8a0, v4
	s_mov_b32 s7, s8
.LBB30_35:                              ; =>This Inner Loop Header: Depth=1
	v_mov_b32_e32 v6, s5
	ds_read_b32 v5, v4
	ds_read_b32 v6, v6
	s_add_i32 s7, s7, -1
	s_addk_i32 s5, 0xffa0
	v_add_u32_e32 v4, 0xffffffa0, v4
	s_cmp_gt_u32 s7, s6
	s_waitcnt lgkmcnt(0)
	v_fma_f32 v2, -v5, v6, v2
	s_cbranch_scc1 .LBB30_35
.LBB30_36:
	s_lshl_b32 s5, s6, 2
	s_add_i32 s4, s5, s4
	v_mov_b32_e32 v4, s4
	ds_read_b32 v4, v4
	s_waitcnt lgkmcnt(0)
	v_div_scale_f32 v5, s[4:5], v4, v4, v2
	v_div_scale_f32 v6, vcc, v2, v4, v2
	s_add_i32 s4, s6, -1
	v_rcp_f32_e32 v7, v5
	v_fma_f32 v8, -v5, v7, 1.0
	v_fmac_f32_e32 v7, v8, v7
	v_mul_f32_e32 v8, v6, v7
	v_fma_f32 v9, -v5, v8, v6
	v_fmac_f32_e32 v8, v9, v7
	v_fma_f32 v5, -v5, v8, v6
	v_div_fmas_f32 v5, v5, v7, v8
	v_div_fixup_f32 v2, v5, v4, v2
	ds_write_b32 v1, v2
.LBB30_37:
	s_cmp_eq_u32 s6, 0
	s_cbranch_scc1 .LBB30_44
; %bb.38:
	s_mul_i32 s6, s18, 0x60
	s_lshl_b32 s5, s4, 2
	s_add_i32 s7, s6, s5
	v_lshl_add_u32 v1, v0, 2, s6
	s_add_i32 s5, s7, 0xffffffa0
	v_add_u32_e32 v1, 0x8a0, v1
	s_add_i32 s6, s7, 0xffffff9c
	s_branch .LBB30_40
.LBB30_39:                              ;   in Loop: Header=BB30_40 Depth=1
	s_mul_i32 s11, s9, 0x60
	s_add_i32 s7, s7, s11
	s_add_i32 s7, s7, -4
	v_mov_b32_e32 v4, s7
	ds_read_b32 v4, v4
	s_add_i32 s4, s4, -2
	s_add_i32 s5, s5, -8
	;; [unrolled: 1-line block ×3, first 2 shown]
	s_cmp_eq_u32 s9, 0
	s_waitcnt lgkmcnt(0)
	v_div_scale_f32 v6, s[16:17], v4, v4, v5
	v_div_scale_f32 v7, vcc, v5, v4, v5
	v_rcp_f32_e32 v8, v6
	v_fma_f32 v9, -v6, v8, 1.0
	v_fmac_f32_e32 v8, v9, v8
	v_mul_f32_e32 v9, v7, v8
	v_fma_f32 v10, -v6, v9, v7
	v_fmac_f32_e32 v9, v10, v8
	v_fma_f32 v6, -v6, v9, v7
	v_div_fmas_f32 v6, v6, v8, v9
	v_div_fixup_f32 v4, v6, v4, v5
	ds_write_b32 v2, v4
	s_cbranch_scc1 .LBB30_44
.LBB30_40:                              ; =>This Loop Header: Depth=1
                                        ;     Child Loop BB30_41 Depth 2
                                        ;     Child Loop BB30_43 Depth 2
	s_mul_i32 s9, s4, 0x60
	v_add_u32_e32 v4, s9, v3
	ds_read_b32 v6, v4
	s_cmp_le_i32 s8, s4
	v_mov_b32_e32 v2, v1
	s_mov_b32 s7, s5
	s_mov_b32 s11, s8
	s_cbranch_scc1 .LBB30_42
.LBB30_41:                              ;   Parent Loop BB30_40 Depth=1
                                        ; =>  This Inner Loop Header: Depth=2
	v_mov_b32_e32 v7, s7
	ds_read_b32 v5, v2
	ds_read_b32 v7, v7
	s_add_i32 s11, s11, -1
	s_addk_i32 s7, 0xffa0
	v_add_u32_e32 v2, 0xffffffa0, v2
	s_cmp_le_u32 s11, s4
	s_waitcnt lgkmcnt(0)
	v_fma_f32 v6, -v5, v7, v6
	s_cbranch_scc0 .LBB30_41
.LBB30_42:                              ;   in Loop: Header=BB30_40 Depth=1
	s_lshl_b32 s7, s4, 2
	s_add_i32 s11, s7, s9
	v_mov_b32_e32 v2, s11
	ds_read_b32 v8, v2
	s_addk_i32 s9, 0xffa0
	v_add_u32_e32 v2, s9, v3
	ds_read_b32 v5, v2
	s_add_i32 s9, s4, -1
	s_waitcnt lgkmcnt(1)
	v_div_scale_f32 v7, s[16:17], v8, v8, v6
	v_div_scale_f32 v9, vcc, v6, v8, v6
	s_mov_b32 s11, s6
	s_cmp_le_i32 s18, s4
	s_mov_b32 s13, s8
	v_rcp_f32_e32 v10, v7
	v_fma_f32 v11, -v7, v10, 1.0
	v_fmac_f32_e32 v10, v11, v10
	v_mul_f32_e32 v11, v9, v10
	v_fma_f32 v12, -v7, v11, v9
	v_fmac_f32_e32 v11, v12, v10
	v_fma_f32 v7, -v7, v11, v9
	v_div_fmas_f32 v9, v7, v10, v11
	v_mov_b32_e32 v7, v1
	v_div_fixup_f32 v6, v9, v8, v6
	ds_write_b32 v4, v6
	s_cbranch_scc1 .LBB30_39
.LBB30_43:                              ;   Parent Loop BB30_40 Depth=1
                                        ; =>  This Inner Loop Header: Depth=2
	v_mov_b32_e32 v6, s11
	ds_read_b32 v4, v7
	ds_read_b32 v6, v6
	s_add_i32 s13, s13, -1
	s_addk_i32 s11, 0xffa0
	v_add_u32_e32 v7, 0xffffffa0, v7
	s_cmp_gt_u32 s13, s9
	s_waitcnt lgkmcnt(0)
	v_fma_f32 v5, -v4, v6, v5
	s_cbranch_scc1 .LBB30_43
	s_branch .LBB30_39
.LBB30_44:
	s_mov_b64 s[6:7], 0
.LBB30_45:
	s_andn2_b64 vcc, exec, s[6:7]
	s_cbranch_vccnz .LBB30_65
; %bb.46:
	s_andn2_b64 vcc, exec, s[2:3]
	s_mov_b32 s4, s8
	s_cbranch_vccnz .LBB30_52
; %bb.47:
	s_mul_i32 s2, s18, 0x60
	v_lshl_add_u32 v1, v0, 2, s2
	s_mul_i32 s2, s18, 0x64
	v_add_u32_e32 v1, 0x8a0, v1
	s_addk_i32 s2, 0xfe7c
	s_mov_b32 s3, s8
.LBB30_48:                              ; =>This Loop Header: Depth=1
                                        ;     Child Loop BB30_49 Depth 2
	s_mul_i32 s4, s3, 24
	v_lshl_add_u32 v2, s4, 2, v3
	v_add_u32_e32 v4, 0xffffffa0, v2
	v_add_u32_e32 v6, 0xffffff40, v2
	;; [unrolled: 1-line block ×3, first 2 shown]
	ds_read_b32 v10, v2
	ds_read_b32 v9, v4
	;; [unrolled: 1-line block ×4, first 2 shown]
	s_cmp_le_i32 s8, s3
	s_mov_b32 s5, s2
	v_mov_b32_e32 v11, v1
	s_mov_b32 s6, s8
	s_cbranch_scc1 .LBB30_50
.LBB30_49:                              ;   Parent Loop BB30_48 Depth=1
                                        ; =>  This Inner Loop Header: Depth=2
	v_mov_b32_e32 v14, s5
	ds_read_b32 v16, v11
	ds_read2_b32 v[12:13], v14 offset0:48 offset1:72
	ds_read2_b32 v[14:15], v14 offset1:24
	s_add_i32 s6, s6, -1
	s_add_i32 s5, s5, -4
	v_add_u32_e32 v11, 0xffffffa0, v11
	s_cmp_le_i32 s6, s3
	s_waitcnt lgkmcnt(1)
	v_fma_f32 v10, -v16, v13, v10
	v_fma_f32 v9, -v16, v12, v9
	s_waitcnt lgkmcnt(0)
	v_fma_f32 v8, -v16, v15, v8
	v_fma_f32 v7, -v16, v14, v7
	s_cbranch_scc0 .LBB30_49
.LBB30_50:                              ;   in Loop: Header=BB30_48 Depth=1
	s_mul_i32 s5, s3, 0x64
	s_lshl_b32 s4, s4, 2
	v_mov_b32_e32 v11, s5
	s_lshl_b32 s5, s3, 2
	s_add_i32 s6, s4, s5
	s_add_i32 s4, s6, 0xffffff9c
	v_mov_b32_e32 v12, s4
	s_add_i32 s4, s6, 0xffffff40
	v_mov_b32_e32 v13, s4
	;; [unrolled: 2-line block ×3, first 2 shown]
	ds_read_b32 v15, v11
	ds_read2_b32 v[11:12], v12 offset1:1
	ds_read_b32 v16, v13
	ds_read2_b32 v[13:14], v14 offset1:1
	s_addk_i32 s2, 0xfe80
	s_waitcnt lgkmcnt(3)
	v_div_scale_f32 v17, s[4:5], v15, v15, v10
	v_div_scale_f32 v18, vcc, v10, v15, v10
	v_rcp_f32_e32 v19, v17
	v_fma_f32 v20, -v17, v19, 1.0
	v_fmac_f32_e32 v19, v20, v19
	v_mul_f32_e32 v20, v18, v19
	v_fma_f32 v21, -v17, v20, v18
	v_fmac_f32_e32 v20, v21, v19
	v_fma_f32 v17, -v17, v20, v18
	v_div_fmas_f32 v17, v17, v19, v20
	v_div_fixup_f32 v15, v17, v15, v10
	s_waitcnt lgkmcnt(2)
	v_fma_f32 v9, -v15, v12, v9
	v_div_scale_f32 v10, s[4:5], v11, v11, v9
	v_div_scale_f32 v12, vcc, v9, v11, v9
	s_waitcnt lgkmcnt(1)
	v_fma_f32 v8, -v15, v16, v8
	v_rcp_f32_e32 v17, v10
	v_fma_f32 v18, -v10, v17, 1.0
	v_fmac_f32_e32 v17, v18, v17
	v_mul_f32_e32 v18, v12, v17
	v_fma_f32 v19, -v10, v18, v12
	v_fmac_f32_e32 v18, v19, v17
	v_fma_f32 v10, -v10, v18, v12
	v_div_fmas_f32 v10, v10, v17, v18
	v_div_fixup_f32 v12, v10, v11, v9
	s_waitcnt lgkmcnt(0)
	v_fma_f32 v14, -v12, v14, v8
	v_div_scale_f32 v8, s[4:5], v13, v13, v14
	v_div_scale_f32 v9, vcc, v14, v13, v14
	s_add_i32 s4, s6, 0xfffffedc
	v_rcp_f32_e32 v10, v8
	v_fma_f32 v11, -v8, v10, 1.0
	v_fmac_f32_e32 v10, v11, v10
	v_mul_f32_e32 v11, v9, v10
	v_fma_f32 v16, -v8, v11, v9
	v_fmac_f32_e32 v11, v16, v10
	v_fma_f32 v8, -v8, v11, v9
	v_div_fmas_f32 v16, v8, v10, v11
	v_mov_b32_e32 v8, s4
	ds_read2_b32 v[8:9], v8 offset1:1
	s_add_i32 s4, s6, 0xfffffed4
	v_mov_b32_e32 v10, s4
	ds_read2_b32 v[10:11], v10 offset1:1
	s_waitcnt lgkmcnt(1)
	v_fma_f32 v7, -v15, v9, v7
	v_fma_f32 v7, -v12, v8, v7
	v_div_fixup_f32 v8, v16, v13, v14
	s_waitcnt lgkmcnt(0)
	v_fma_f32 v7, -v8, v11, v7
	v_div_scale_f32 v9, s[4:5], v10, v10, v7
	v_div_scale_f32 v11, vcc, v7, v10, v7
	s_add_i32 s4, s3, -4
	ds_write_b32 v2, v15
	ds_write_b32 v4, v12
	;; [unrolled: 1-line block ×3, first 2 shown]
	s_cmp_lt_i32 s3, 7
	v_rcp_f32_e32 v13, v9
	v_fma_f32 v14, -v9, v13, 1.0
	v_fmac_f32_e32 v13, v14, v13
	v_mul_f32_e32 v14, v11, v13
	v_fma_f32 v16, -v9, v14, v11
	v_fmac_f32_e32 v14, v16, v13
	v_fma_f32 v9, -v9, v14, v11
	v_div_fmas_f32 v9, v9, v13, v14
	v_div_fixup_f32 v2, v9, v10, v7
	ds_write_b32 v5, v2
	s_cbranch_scc1 .LBB30_52
; %bb.51:                               ;   in Loop: Header=BB30_48 Depth=1
	s_mov_b32 s3, s4
	s_branch .LBB30_48
.LBB30_52:
	s_cmp_lt_i32 s4, 0
	s_cbranch_scc1 .LBB30_65
; %bb.53:
	s_bitcmp1_b32 s4, 0
	s_cselect_b64 s[2:3], -1, 0
	s_and_b64 vcc, exec, s[2:3]
	s_mov_b32 s2, s4
	s_cbranch_vccnz .LBB30_58
; %bb.54:
	s_mul_i32 s2, s4, 0x60
	v_add_u32_e32 v1, s2, v3
	ds_read_b32 v2, v1
	s_cmp_le_i32 s8, s4
	s_cbranch_scc1 .LBB30_57
; %bb.55:
	s_lshl_b32 s3, s18, 2
	s_add_i32 s2, s2, s3
	s_mul_i32 s3, s18, 0x60
	v_lshl_add_u32 v4, v0, 2, s3
	s_add_i32 s2, s2, -4
	v_add_u32_e32 v4, 0x8a0, v4
	s_mov_b32 s3, s8
.LBB30_56:                              ; =>This Inner Loop Header: Depth=1
	v_mov_b32_e32 v6, s2
	ds_read_b32 v5, v4
	ds_read_b32 v6, v6
	s_add_i32 s3, s3, -1
	s_add_i32 s2, s2, -4
	v_add_u32_e32 v4, 0xffffffa0, v4
	s_cmp_gt_u32 s3, s4
	s_waitcnt lgkmcnt(0)
	v_fma_f32 v2, -v5, v6, v2
	s_cbranch_scc1 .LBB30_56
.LBB30_57:
	s_mul_i32 s2, s4, 0x64
	v_mov_b32_e32 v4, s2
	ds_read_b32 v4, v4
	s_waitcnt lgkmcnt(0)
	v_div_scale_f32 v5, s[2:3], v4, v4, v2
	v_div_scale_f32 v6, vcc, v2, v4, v2
	s_add_i32 s2, s4, -1
	v_rcp_f32_e32 v7, v5
	v_fma_f32 v8, -v5, v7, 1.0
	v_fmac_f32_e32 v7, v8, v7
	v_mul_f32_e32 v8, v6, v7
	v_fma_f32 v9, -v5, v8, v6
	v_fmac_f32_e32 v8, v9, v7
	v_fma_f32 v5, -v5, v8, v6
	v_div_fmas_f32 v5, v5, v7, v8
	v_div_fixup_f32 v2, v5, v4, v2
	ds_write_b32 v1, v2
.LBB30_58:
	s_cmp_eq_u32 s4, 0
	s_cbranch_scc1 .LBB30_65
; %bb.59:
	s_mul_i32 s3, s18, 0x60
	v_lshl_add_u32 v1, v0, 2, s3
	s_mul_i32 s3, s2, 0x60
	s_lshl_b32 s4, s18, 2
	s_add_i32 s4, s3, s4
	v_add_u32_e32 v1, 0x8a0, v1
	s_add_i32 s3, s4, -4
	s_addk_i32 s4, 0xff9c
	s_branch .LBB30_61
.LBB30_60:                              ;   in Loop: Header=BB30_61 Depth=1
	s_addk_i32 s5, 0xff9c
	v_mov_b32_e32 v4, s5
	ds_read_b32 v4, v4
	s_add_i32 s2, s2, -2
	s_addk_i32 s3, 0xff40
	s_addk_i32 s4, 0xff40
	s_cmp_eq_u32 s6, 0
	s_waitcnt lgkmcnt(0)
	v_div_scale_f32 v6, s[16:17], v4, v4, v5
	v_div_scale_f32 v7, vcc, v5, v4, v5
	v_rcp_f32_e32 v8, v6
	v_fma_f32 v9, -v6, v8, 1.0
	v_fmac_f32_e32 v8, v9, v8
	v_mul_f32_e32 v9, v7, v8
	v_fma_f32 v10, -v6, v9, v7
	v_fmac_f32_e32 v9, v10, v8
	v_fma_f32 v6, -v6, v9, v7
	v_div_fmas_f32 v6, v6, v8, v9
	v_div_fixup_f32 v4, v6, v4, v5
	ds_write_b32 v2, v4
	s_cbranch_scc1 .LBB30_65
.LBB30_61:                              ; =>This Loop Header: Depth=1
                                        ;     Child Loop BB30_62 Depth 2
                                        ;     Child Loop BB30_64 Depth 2
	s_mul_i32 s5, s2, 0x60
	v_add_u32_e32 v4, s5, v3
	ds_read_b32 v6, v4
	s_cmp_le_i32 s8, s2
	s_mov_b32 s5, s3
	v_mov_b32_e32 v2, v1
	s_mov_b32 s6, s8
	s_cbranch_scc1 .LBB30_63
.LBB30_62:                              ;   Parent Loop BB30_61 Depth=1
                                        ; =>  This Inner Loop Header: Depth=2
	v_mov_b32_e32 v7, s5
	ds_read_b32 v5, v2
	ds_read_b32 v7, v7
	s_add_i32 s6, s6, -1
	s_add_i32 s5, s5, -4
	v_add_u32_e32 v2, 0xffffffa0, v2
	s_cmp_le_u32 s6, s2
	s_waitcnt lgkmcnt(0)
	v_fma_f32 v6, -v5, v7, v6
	s_cbranch_scc0 .LBB30_62
.LBB30_63:                              ;   in Loop: Header=BB30_61 Depth=1
	s_mul_i32 s5, s2, 0x64
	v_mov_b32_e32 v2, s5
	ds_read_b32 v8, v2
	v_add_u32_e32 v2, 0xffffffa0, v4
	ds_read_b32 v5, v2
	s_mov_b32 s9, s8
	s_waitcnt lgkmcnt(1)
	v_div_scale_f32 v7, s[6:7], v8, v8, v6
	v_div_scale_f32 v9, vcc, v6, v8, v6
	s_add_i32 s6, s2, -1
	s_mov_b32 s7, s4
	s_cmp_le_i32 s18, s2
	v_rcp_f32_e32 v10, v7
	v_fma_f32 v11, -v7, v10, 1.0
	v_fmac_f32_e32 v10, v11, v10
	v_mul_f32_e32 v11, v9, v10
	v_fma_f32 v12, -v7, v11, v9
	v_fmac_f32_e32 v11, v12, v10
	v_fma_f32 v7, -v7, v11, v9
	v_div_fmas_f32 v9, v7, v10, v11
	v_mov_b32_e32 v7, v1
	v_div_fixup_f32 v6, v9, v8, v6
	ds_write_b32 v4, v6
	s_cbranch_scc1 .LBB30_60
.LBB30_64:                              ;   Parent Loop BB30_61 Depth=1
                                        ; =>  This Inner Loop Header: Depth=2
	v_mov_b32_e32 v6, s7
	ds_read_b32 v4, v7
	ds_read_b32 v6, v6
	s_add_i32 s9, s9, -1
	s_add_i32 s7, s7, -4
	v_add_u32_e32 v7, 0xffffffa0, v7
	s_cmp_gt_u32 s9, s6
	s_waitcnt lgkmcnt(0)
	v_fma_f32 v5, -v4, v6, v5
	s_cbranch_scc1 .LBB30_64
	s_branch .LBB30_60
.LBB30_65:
	s_mov_b64 s[6:7], 0
.LBB30_66:
	s_andn2_b64 vcc, exec, s[6:7]
	s_cbranch_vccnz .LBB30_78
; %bb.67:
	v_mov_b32_e32 v1, 0x900
	v_lshl_or_b32 v5, v0, 2, v1
	s_cmp_lt_i32 s12, 4
	s_mov_b32 s4, 0
	s_cbranch_scc1 .LBB30_73
; %bb.68:
	s_mov_b32 s2, 0
	s_mov_b32 s3, 0
.LBB30_69:                              ; =>This Loop Header: Depth=1
                                        ;     Child Loop BB30_70 Depth 2
	s_mul_i32 s4, s3, 24
	v_lshl_add_u32 v6, s4, 2, v5
	ds_read2_b32 v[3:4], v6 offset1:24
	ds_read2_b32 v[1:2], v6 offset0:48 offset1:72
	s_cmp_eq_u32 s3, 0
	s_mov_b32 s5, s2
	v_mov_b32_e32 v7, v5
	s_mov_b32 s6, s3
	s_cbranch_scc1 .LBB30_71
.LBB30_70:                              ;   Parent Loop BB30_69 Depth=1
                                        ; =>  This Inner Loop Header: Depth=2
	v_mov_b32_e32 v10, s5
	ds_read_b32 v12, v7
	ds_read2_b32 v[8:9], v10 offset1:24
	ds_read2_b32 v[10:11], v10 offset0:48 offset1:72
	s_add_i32 s6, s6, -1
	s_add_i32 s5, s5, 4
	v_add_u32_e32 v7, 0x60, v7
	s_cmp_eq_u32 s6, 0
	s_waitcnt lgkmcnt(1)
	v_fma_f32 v3, -v12, v8, v3
	v_fma_f32 v4, -v12, v9, v4
	s_waitcnt lgkmcnt(0)
	v_fma_f32 v1, -v12, v10, v1
	v_fma_f32 v2, -v12, v11, v2
	s_cbranch_scc0 .LBB30_70
.LBB30_71:                              ;   in Loop: Header=BB30_69 Depth=1
	s_mul_i32 s5, s3, 0x64
	v_mov_b32_e32 v7, s5
	ds_read_b32 v12, v7
	s_lshl_b32 s4, s4, 2
	s_lshl_b32 s5, s3, 2
	s_add_i32 s4, s4, s5
	v_mov_b32_e32 v13, s4
	s_waitcnt lgkmcnt(0)
	v_div_scale_f32 v14, s[4:5], v12, v12, v3
	v_div_scale_f32 v15, vcc, v3, v12, v3
	ds_read_b64 v[7:8], v13 offset:96
	ds_read_b96 v[9:11], v13 offset:192
	s_addk_i32 s2, 0x180
	v_rcp_f32_e32 v16, v14
	v_fma_f32 v17, -v14, v16, 1.0
	v_fmac_f32_e32 v16, v17, v16
	v_mul_f32_e32 v17, v15, v16
	v_fma_f32 v18, -v14, v17, v15
	v_fmac_f32_e32 v17, v18, v16
	v_fma_f32 v14, -v14, v17, v15
	v_div_fmas_f32 v14, v14, v16, v17
	v_div_fixup_f32 v3, v14, v12, v3
	s_waitcnt lgkmcnt(1)
	v_fma_f32 v4, -v3, v7, v4
	v_div_scale_f32 v7, s[4:5], v8, v8, v4
	v_div_scale_f32 v12, vcc, v4, v8, v4
	s_waitcnt lgkmcnt(0)
	v_fma_f32 v1, -v3, v9, v1
	v_rcp_f32_e32 v14, v7
	v_fma_f32 v15, -v7, v14, 1.0
	v_fmac_f32_e32 v14, v15, v14
	v_mul_f32_e32 v15, v12, v14
	v_fma_f32 v16, -v7, v15, v12
	v_fmac_f32_e32 v15, v16, v14
	v_fma_f32 v7, -v7, v15, v12
	v_div_fmas_f32 v7, v7, v14, v15
	v_div_fixup_f32 v4, v7, v8, v4
	v_fma_f32 v1, -v4, v10, v1
	v_div_scale_f32 v7, s[4:5], v11, v11, v1
	v_div_scale_f32 v8, vcc, v1, v11, v1
	ds_write2_b32 v6, v3, v4 offset1:24
	v_rcp_f32_e32 v9, v7
	v_fma_f32 v10, -v7, v9, 1.0
	v_fmac_f32_e32 v9, v10, v9
	v_mul_f32_e32 v10, v8, v9
	v_fma_f32 v12, -v7, v10, v8
	v_fmac_f32_e32 v10, v12, v9
	v_fma_f32 v7, -v7, v10, v8
	v_div_fmas_f32 v12, v7, v9, v10
	ds_read_b128 v[7:10], v13 offset:288
	s_waitcnt lgkmcnt(0)
	v_fma_f32 v2, -v3, v7, v2
	v_fma_f32 v2, -v4, v8, v2
	v_div_fixup_f32 v1, v12, v11, v1
	v_fma_f32 v2, -v1, v9, v2
	v_div_scale_f32 v7, s[4:5], v10, v10, v2
	v_div_scale_f32 v8, vcc, v2, v10, v2
	s_add_i32 s4, s3, 4
	s_add_i32 s3, s3, 7
	s_cmp_ge_i32 s3, s18
	v_rcp_f32_e32 v9, v7
	v_fma_f32 v11, -v7, v9, 1.0
	v_fmac_f32_e32 v9, v11, v9
	v_mul_f32_e32 v11, v8, v9
	v_fma_f32 v12, -v7, v11, v8
	v_fmac_f32_e32 v11, v12, v9
	v_fma_f32 v7, -v7, v11, v8
	v_div_fmas_f32 v7, v7, v9, v11
	v_div_fixup_f32 v2, v7, v10, v2
	ds_write2_b32 v6, v1, v2 offset0:48 offset1:72
	s_cbranch_scc1 .LBB30_73
; %bb.72:                               ;   in Loop: Header=BB30_69 Depth=1
	s_mov_b32 s3, s4
	s_branch .LBB30_69
.LBB30_73:
	s_cmp_ge_i32 s4, s18
	s_cbranch_scc1 .LBB30_78
; %bb.74:
	v_mov_b32_e32 v1, 0x900
	v_lshl_or_b32 v1, v0, 2, v1
	s_mul_i32 s2, s4, 0x60
	s_branch .LBB30_76
.LBB30_75:                              ;   in Loop: Header=BB30_76 Depth=1
	s_mul_i32 s3, s4, 0x64
	v_mov_b32_e32 v4, s3
	ds_read_b32 v4, v4
	s_add_i32 s4, s4, 1
	s_addk_i32 s2, 0x60
	s_cmp_ge_i32 s4, s18
	s_waitcnt lgkmcnt(0)
	v_div_scale_f32 v6, s[6:7], v4, v4, v3
	v_div_scale_f32 v7, vcc, v3, v4, v3
	v_rcp_f32_e32 v8, v6
	v_fma_f32 v9, -v6, v8, 1.0
	v_fmac_f32_e32 v8, v9, v8
	v_mul_f32_e32 v9, v7, v8
	v_fma_f32 v10, -v6, v9, v7
	v_fmac_f32_e32 v9, v10, v8
	v_fma_f32 v6, -v6, v9, v7
	v_div_fmas_f32 v6, v6, v8, v9
	v_div_fixup_f32 v3, v6, v4, v3
	ds_write_b32 v2, v3
	s_cbranch_scc1 .LBB30_78
.LBB30_76:                              ; =>This Loop Header: Depth=1
                                        ;     Child Loop BB30_77 Depth 2
	s_mul_i32 s3, s4, 0x60
	v_add_u32_e32 v2, s3, v5
	ds_read_b32 v3, v2
	s_cmp_eq_u32 s4, 0
	s_mov_b32 s3, s2
	v_mov_b32_e32 v4, v1
	s_mov_b32 s5, s4
	s_cbranch_scc1 .LBB30_75
.LBB30_77:                              ;   Parent Loop BB30_76 Depth=1
                                        ; =>  This Inner Loop Header: Depth=2
	v_mov_b32_e32 v7, s3
	ds_read_b32 v6, v4
	ds_read_b32 v7, v7
	s_add_i32 s5, s5, -1
	s_add_i32 s3, s3, 4
	v_add_u32_e32 v4, 0x60, v4
	s_cmp_eq_u32 s5, 0
	s_waitcnt lgkmcnt(0)
	v_fma_f32 v3, -v6, v7, v3
	s_cbranch_scc0 .LBB30_77
	s_branch .LBB30_75
.LBB30_78:
	s_and_saveexec_b64 s[2:3], s[0:1]
	s_cbranch_execz .LBB30_82
; %bb.79:
	s_cmp_lt_i32 s12, 1
	s_cbranch_scc1 .LBB30_82
; %bb.80:
	s_ashr_i32 s11, s10, 31
	v_lshlrev_b32_e32 v2, 2, v0
	v_mov_b32_e32 v1, s15
	v_add_co_u32_e32 v0, vcc, s14, v2
	s_lshl_b64 s[0:1], s[10:11], 2
	v_addc_co_u32_e32 v1, vcc, 0, v1, vcc
	v_or_b32_e32 v2, 0x900, v2
	v_mov_b32_e32 v3, s1
.LBB30_81:                              ; =>This Inner Loop Header: Depth=1
	ds_read_b32 v4, v2
	s_add_i32 s12, s12, -1
	v_add_u32_e32 v2, 0x60, v2
	s_cmp_lg_u32 s12, 0
	s_waitcnt lgkmcnt(0)
	global_store_dword v[0:1], v4, off
	v_add_co_u32_e32 v0, vcc, s0, v0
	v_addc_co_u32_e32 v1, vcc, v1, v3, vcc
	s_cbranch_scc1 .LBB30_81
.LBB30_82:
	s_endpgm
	.section	.rodata,"a",@progbits
	.p2align	6, 0x0
	.amdhsa_kernel _ZL31rocblas_trsm_small_right_deviceIffPKfPfLi24EEv13rocblas_fill_18rocblas_operation_17rocblas_diagonal_iiT0_T1_lilT2_lili
		.amdhsa_group_segment_fixed_size 4608
		.amdhsa_private_segment_fixed_size 0
		.amdhsa_kernarg_size 352
		.amdhsa_user_sgpr_count 6
		.amdhsa_user_sgpr_private_segment_buffer 1
		.amdhsa_user_sgpr_dispatch_ptr 0
		.amdhsa_user_sgpr_queue_ptr 0
		.amdhsa_user_sgpr_kernarg_segment_ptr 1
		.amdhsa_user_sgpr_dispatch_id 0
		.amdhsa_user_sgpr_flat_scratch_init 0
		.amdhsa_user_sgpr_private_segment_size 0
		.amdhsa_uses_dynamic_stack 0
		.amdhsa_system_sgpr_private_segment_wavefront_offset 0
		.amdhsa_system_sgpr_workgroup_id_x 1
		.amdhsa_system_sgpr_workgroup_id_y 0
		.amdhsa_system_sgpr_workgroup_id_z 1
		.amdhsa_system_sgpr_workgroup_info 0
		.amdhsa_system_vgpr_workitem_id 0
		.amdhsa_next_free_vgpr 49
		.amdhsa_next_free_sgpr 98
		.amdhsa_reserve_vcc 1
		.amdhsa_reserve_flat_scratch 0
		.amdhsa_float_round_mode_32 0
		.amdhsa_float_round_mode_16_64 0
		.amdhsa_float_denorm_mode_32 3
		.amdhsa_float_denorm_mode_16_64 3
		.amdhsa_dx10_clamp 1
		.amdhsa_ieee_mode 1
		.amdhsa_fp16_overflow 0
		.amdhsa_exception_fp_ieee_invalid_op 0
		.amdhsa_exception_fp_denorm_src 0
		.amdhsa_exception_fp_ieee_div_zero 0
		.amdhsa_exception_fp_ieee_overflow 0
		.amdhsa_exception_fp_ieee_underflow 0
		.amdhsa_exception_fp_ieee_inexact 0
		.amdhsa_exception_int_div_zero 0
	.end_amdhsa_kernel
	.section	.text._ZL31rocblas_trsm_small_right_deviceIffPKfPfLi24EEv13rocblas_fill_18rocblas_operation_17rocblas_diagonal_iiT0_T1_lilT2_lili,"axG",@progbits,_ZL31rocblas_trsm_small_right_deviceIffPKfPfLi24EEv13rocblas_fill_18rocblas_operation_17rocblas_diagonal_iiT0_T1_lilT2_lili,comdat
.Lfunc_end30:
	.size	_ZL31rocblas_trsm_small_right_deviceIffPKfPfLi24EEv13rocblas_fill_18rocblas_operation_17rocblas_diagonal_iiT0_T1_lilT2_lili, .Lfunc_end30-_ZL31rocblas_trsm_small_right_deviceIffPKfPfLi24EEv13rocblas_fill_18rocblas_operation_17rocblas_diagonal_iiT0_T1_lilT2_lili
                                        ; -- End function
	.set _ZL31rocblas_trsm_small_right_deviceIffPKfPfLi24EEv13rocblas_fill_18rocblas_operation_17rocblas_diagonal_iiT0_T1_lilT2_lili.num_vgpr, 23
	.set _ZL31rocblas_trsm_small_right_deviceIffPKfPfLi24EEv13rocblas_fill_18rocblas_operation_17rocblas_diagonal_iiT0_T1_lilT2_lili.num_agpr, 0
	.set _ZL31rocblas_trsm_small_right_deviceIffPKfPfLi24EEv13rocblas_fill_18rocblas_operation_17rocblas_diagonal_iiT0_T1_lilT2_lili.numbered_sgpr, 26
	.set _ZL31rocblas_trsm_small_right_deviceIffPKfPfLi24EEv13rocblas_fill_18rocblas_operation_17rocblas_diagonal_iiT0_T1_lilT2_lili.num_named_barrier, 0
	.set _ZL31rocblas_trsm_small_right_deviceIffPKfPfLi24EEv13rocblas_fill_18rocblas_operation_17rocblas_diagonal_iiT0_T1_lilT2_lili.private_seg_size, 0
	.set _ZL31rocblas_trsm_small_right_deviceIffPKfPfLi24EEv13rocblas_fill_18rocblas_operation_17rocblas_diagonal_iiT0_T1_lilT2_lili.uses_vcc, 1
	.set _ZL31rocblas_trsm_small_right_deviceIffPKfPfLi24EEv13rocblas_fill_18rocblas_operation_17rocblas_diagonal_iiT0_T1_lilT2_lili.uses_flat_scratch, 0
	.set _ZL31rocblas_trsm_small_right_deviceIffPKfPfLi24EEv13rocblas_fill_18rocblas_operation_17rocblas_diagonal_iiT0_T1_lilT2_lili.has_dyn_sized_stack, 0
	.set _ZL31rocblas_trsm_small_right_deviceIffPKfPfLi24EEv13rocblas_fill_18rocblas_operation_17rocblas_diagonal_iiT0_T1_lilT2_lili.has_recursion, 0
	.set _ZL31rocblas_trsm_small_right_deviceIffPKfPfLi24EEv13rocblas_fill_18rocblas_operation_17rocblas_diagonal_iiT0_T1_lilT2_lili.has_indirect_call, 0
	.section	.AMDGPU.csdata,"",@progbits
; Kernel info:
; codeLenInByte = 5564
; TotalNumSgprs: 30
; NumVgprs: 23
; ScratchSize: 0
; MemoryBound: 0
; FloatMode: 240
; IeeeMode: 1
; LDSByteSize: 4608 bytes/workgroup (compile time only)
; SGPRBlocks: 12
; VGPRBlocks: 12
; NumSGPRsForWavesPerEU: 102
; NumVGPRsForWavesPerEU: 49
; Occupancy: 4
; WaveLimiterHint : 0
; COMPUTE_PGM_RSRC2:SCRATCH_EN: 0
; COMPUTE_PGM_RSRC2:USER_SGPR: 6
; COMPUTE_PGM_RSRC2:TRAP_HANDLER: 0
; COMPUTE_PGM_RSRC2:TGID_X_EN: 1
; COMPUTE_PGM_RSRC2:TGID_Y_EN: 0
; COMPUTE_PGM_RSRC2:TGID_Z_EN: 1
; COMPUTE_PGM_RSRC2:TIDIG_COMP_CNT: 0
	.section	.text._ZL38rocblas_trsm_small_left_device_sharedBILi28ELi28ELb0EffPKfPfEv13rocblas_fill_18rocblas_operation_17rocblas_diagonal_iiT3_T4_lilT5_lili,"axG",@progbits,_ZL38rocblas_trsm_small_left_device_sharedBILi28ELi28ELb0EffPKfPfEv13rocblas_fill_18rocblas_operation_17rocblas_diagonal_iiT3_T4_lilT5_lili,comdat
	.globl	_ZL38rocblas_trsm_small_left_device_sharedBILi28ELi28ELb0EffPKfPfEv13rocblas_fill_18rocblas_operation_17rocblas_diagonal_iiT3_T4_lilT5_lili ; -- Begin function _ZL38rocblas_trsm_small_left_device_sharedBILi28ELi28ELb0EffPKfPfEv13rocblas_fill_18rocblas_operation_17rocblas_diagonal_iiT3_T4_lilT5_lili
	.p2align	8
	.type	_ZL38rocblas_trsm_small_left_device_sharedBILi28ELi28ELb0EffPKfPfEv13rocblas_fill_18rocblas_operation_17rocblas_diagonal_iiT3_T4_lilT5_lili,@function
_ZL38rocblas_trsm_small_left_device_sharedBILi28ELi28ELb0EffPKfPfEv13rocblas_fill_18rocblas_operation_17rocblas_diagonal_iiT3_T4_lilT5_lili: ; @_ZL38rocblas_trsm_small_left_device_sharedBILi28ELi28ELb0EffPKfPfEv13rocblas_fill_18rocblas_operation_17rocblas_diagonal_iiT3_T4_lilT5_lili
; %bb.0:
	s_load_dwordx4 s[8:11], s[4:5], 0x4
	s_load_dword s17, s[4:5], 0x14
	s_load_dwordx4 s[0:3], s[4:5], 0x30
	s_load_dwordx2 s[12:13], s[4:5], 0x40
	s_waitcnt lgkmcnt(0)
	s_min_i32 s16, s10, 28
	v_cmp_gt_i32_e32 vcc, s16, v0
	s_and_saveexec_b64 s[14:15], vcc
	s_cbranch_execz .LBB31_6
; %bb.1:
	s_load_dword s18, s[4:5], 0x28
	s_load_dwordx4 s[20:23], s[4:5], 0x18
	s_mul_i32 s1, s1, s7
	s_mul_hi_u32 s19, s0, s7
	s_add_i32 s1, s19, s1
	s_mul_i32 s0, s0, s7
	s_waitcnt lgkmcnt(0)
	s_ashr_i32 s19, s18, 31
	s_lshl_b64 s[0:1], s[0:1], 2
	s_add_u32 s20, s20, s0
	s_addc_u32 s21, s21, s1
	s_lshl_b64 s[0:1], s[22:23], 2
	s_add_u32 s0, s20, s0
	s_addc_u32 s1, s21, s1
	v_lshlrev_b32_e32 v3, 2, v0
	v_mov_b32_e32 v2, s1
	v_add_co_u32_e32 v1, vcc, s0, v3
	s_lshl_b64 s[0:1], s[18:19], 2
	v_addc_co_u32_e32 v2, vcc, 0, v2, vcc
	v_mov_b32_e32 v4, s1
	v_mov_b32_e32 v5, v3
	s_mov_b32 s1, s16
.LBB31_2:                               ; =>This Inner Loop Header: Depth=1
	global_load_dword v6, v[1:2], off
	v_add_co_u32_e32 v1, vcc, s0, v1
	s_add_i32 s1, s1, -1
	v_addc_co_u32_e32 v2, vcc, v2, v4, vcc
	s_cmp_eq_u32 s1, 0
	s_waitcnt vmcnt(0)
	ds_write_b32 v5, v6
	v_add_u32_e32 v5, 0x70, v5
	s_cbranch_scc0 .LBB31_2
; %bb.3:
	v_mul_u32_u24_e32 v1, 0x70, v0
	s_cmpk_lg_i32 s9, 0x84
	v_mov_b32_e32 v2, 1.0
	v_add_u32_e32 v1, v3, v1
	s_cbranch_scc0 .LBB31_5
; %bb.4:
	ds_read_b32 v2, v1
	s_waitcnt lgkmcnt(0)
	v_div_scale_f32 v3, s[0:1], v2, v2, 1.0
	v_div_scale_f32 v4, vcc, 1.0, v2, 1.0
	v_rcp_f32_e32 v5, v3
	v_fma_f32 v6, -v3, v5, 1.0
	v_fmac_f32_e32 v5, v6, v5
	v_mul_f32_e32 v6, v4, v5
	v_fma_f32 v7, -v3, v6, v4
	v_fmac_f32_e32 v6, v7, v5
	v_fma_f32 v3, -v3, v6, v4
	v_div_fmas_f32 v3, v3, v5, v6
	v_div_fixup_f32 v2, v3, v2, 1.0
.LBB31_5:
	ds_write_b32 v1, v2
.LBB31_6:
	s_or_b64 exec, exec, s[14:15]
	s_load_dword s0, s[4:5], 0x60
	s_load_dwordx2 s[14:15], s[4:5], 0x50
	s_load_dword s9, s[4:5], 0x48
	s_waitcnt lgkmcnt(0)
	s_mul_i32 s1, s15, s7
	s_mul_hi_u32 s5, s14, s7
	s_mul_i32 s4, s14, s7
	s_add_i32 s5, s5, s1
	s_lshl_b64 s[4:5], s[4:5], 2
	s_add_u32 s1, s2, s4
	s_addc_u32 s4, s3, s5
	s_lshl_b64 s[2:3], s[12:13], 2
	s_add_u32 s2, s1, s2
	s_mul_i32 s1, s6, 0xffffffe4
	s_addc_u32 s3, s4, s3
	s_add_i32 s0, s0, -1
	s_add_i32 s1, s11, s1
	s_cmp_ge_u32 s6, s0
	s_mul_i32 s6, s6, 28
	s_cselect_b32 s4, s1, 28
	s_mul_hi_i32 s1, s9, s6
	s_mul_i32 s0, s9, s6
	s_lshl_b64 s[0:1], s[0:1], 2
	s_add_u32 s6, s2, s0
	s_addc_u32 s7, s3, s1
	s_cmp_gt_i32 s10, 0
	v_cmp_gt_i32_e64 s[0:1], s4, v0
	s_cselect_b64 s[2:3], -1, 0
	s_and_b64 s[12:13], s[0:1], s[2:3]
	s_and_saveexec_b64 s[4:5], s[12:13]
	s_cbranch_execz .LBB31_9
; %bb.7:
	v_mad_i64_i32 v[1:2], s[12:13], s9, v0, 0
	v_mov_b32_e32 v3, s7
	s_mov_b32 s11, s16
	v_lshlrev_b64 v[1:2], 2, v[1:2]
	v_add_co_u32_e32 v1, vcc, s6, v1
	v_addc_co_u32_e32 v2, vcc, v3, v2, vcc
	v_mov_b32_e32 v3, 0xc40
	v_lshl_add_u32 v3, v0, 2, v3
.LBB31_8:                               ; =>This Inner Loop Header: Depth=1
	global_load_dword v4, v[1:2], off
	s_add_i32 s11, s11, -1
	v_add_co_u32_e32 v1, vcc, 4, v1
	v_addc_co_u32_e32 v2, vcc, 0, v2, vcc
	s_cmp_lg_u32 s11, 0
	s_waitcnt vmcnt(0)
	v_mul_f32_e32 v4, s17, v4
	ds_write_b32 v3, v4
	v_add_u32_e32 v3, 0x70, v3
	s_cbranch_scc1 .LBB31_8
.LBB31_9:
	s_or_b64 exec, exec, s[4:5]
	v_mov_b32_e32 v1, 0xc40
	s_cmpk_eq_i32 s8, 0x6f
	v_lshl_add_u32 v33, v0, 2, v1
	s_mov_b64 s[4:5], -1
	s_waitcnt lgkmcnt(0)
	; wave barrier
	s_cbranch_scc1 .LBB31_24
; %bb.10:
	s_cmp_gt_i32 s10, 27
	s_cselect_b64 s[4:5], -1, 0
	s_and_b64 vcc, exec, s[4:5]
	s_cbranch_vccz .LBB31_12
; %bb.11:
	v_add_u32_e32 v32, 0x400, v33
	v_add_u32_e32 v48, 0x600, v33
	;; [unrolled: 1-line block ×3, first 2 shown]
	v_mov_b32_e32 v8, 0
	ds_read2_b32 v[9:10], v33 offset1:28
	ds_read2_b32 v[19:20], v33 offset0:56 offset1:84
	ds_read2_b32 v[23:24], v33 offset0:112 offset1:140
	;; [unrolled: 1-line block ×11, first 2 shown]
	ds_read_b32 v13, v8
	ds_read_b64 v[11:12], v8 offset:112
	ds_read2_b32 v[3:4], v7 offset0:160 offset1:188
	ds_read2_b32 v[1:2], v7 offset0:216 offset1:244
	ds_read_b96 v[16:18], v8 offset:224
	s_waitcnt lgkmcnt(4)
	v_mul_f32_e32 v9, v9, v13
	s_waitcnt lgkmcnt(3)
	v_fma_f32 v10, -v9, v11, v10
	v_mul_f32_e32 v10, v10, v12
	ds_read_b128 v[12:15], v8 offset:336
	s_waitcnt lgkmcnt(1)
	v_fma_f32 v11, -v9, v16, v19
	v_fma_f32 v11, -v10, v17, v11
	v_mul_f32_e32 v11, v11, v18
	ds_read_b128 v[16:19], v8 offset:448
	s_waitcnt lgkmcnt(1)
	v_fma_f32 v12, -v9, v12, v20
	v_fma_f32 v12, -v10, v13, v12
	;; [unrolled: 1-line block ×3, first 2 shown]
	v_mul_f32_e32 v12, v12, v15
	ds_write2_b32 v33, v9, v10 offset1:28
	ds_write2_b32 v33, v11, v12 offset0:56 offset1:84
	s_waitcnt lgkmcnt(2)
	v_fma_f32 v13, -v9, v16, v23
	ds_read_b32 v14, v8 offset:464
	ds_read_b128 v[20:23], v8 offset:560
	v_fma_f32 v13, -v10, v17, v13
	v_fma_f32 v13, -v11, v18, v13
	;; [unrolled: 1-line block ×3, first 2 shown]
	s_waitcnt lgkmcnt(1)
	v_mul_f32_e32 v13, v13, v14
	s_waitcnt lgkmcnt(0)
	v_fma_f32 v14, -v9, v20, v24
	ds_read_b64 v[19:20], v8 offset:576
	ds_read_b128 v[15:18], v8 offset:672
	v_fma_f32 v14, -v10, v21, v14
	v_fma_f32 v14, -v11, v22, v14
	;; [unrolled: 1-line block ×3, first 2 shown]
	s_waitcnt lgkmcnt(1)
	v_fma_f32 v14, -v13, v19, v14
	v_mul_f32_e32 v14, v14, v20
	s_waitcnt lgkmcnt(0)
	v_fma_f32 v15, -v9, v15, v25
	ds_read_b96 v[23:25], v8 offset:688
	ds_read_b128 v[19:22], v8 offset:784
	v_fma_f32 v15, -v10, v16, v15
	v_fma_f32 v15, -v11, v17, v15
	;; [unrolled: 1-line block ×3, first 2 shown]
	s_waitcnt lgkmcnt(1)
	v_fma_f32 v15, -v13, v23, v15
	s_waitcnt lgkmcnt(0)
	v_fma_f32 v23, -v9, v19, v26
	ds_read_b128 v[16:19], v8 offset:800
	v_fma_f32 v20, -v10, v20, v23
	v_fma_f32 v20, -v11, v21, v20
	;; [unrolled: 1-line block ×4, first 2 shown]
	ds_read_b128 v[20:23], v8 offset:896
	s_waitcnt lgkmcnt(1)
	v_fma_f32 v16, -v13, v16, v24
	v_mul_f32_e32 v15, v15, v25
	v_fma_f32 v16, -v14, v17, v16
	v_fma_f32 v16, -v15, v18, v16
	v_mul_f32_e32 v16, v16, v19
	ds_write2_b32 v33, v13, v14 offset0:112 offset1:140
	ds_write2_b32 v33, v15, v16 offset0:168 offset1:196
	ds_read_b128 v[24:27], v8 offset:912
	ds_read_b32 v17, v8 offset:928
	s_waitcnt lgkmcnt(4)
	v_fma_f32 v18, -v9, v20, v28
	v_fma_f32 v18, -v10, v21, v18
	v_fma_f32 v18, -v11, v22, v18
	v_fma_f32 v18, -v12, v23, v18
	s_waitcnt lgkmcnt(1)
	v_fma_f32 v18, -v13, v24, v18
	v_fma_f32 v22, -v14, v25, v18
	ds_read_b128 v[18:21], v8 offset:1008
	v_fma_f32 v22, -v15, v26, v22
	v_fma_f32 v22, -v16, v27, v22
	s_waitcnt lgkmcnt(1)
	v_mul_f32_e32 v17, v22, v17
	ds_read_b128 v[22:25], v8 offset:1024
	s_waitcnt lgkmcnt(1)
	v_fma_f32 v18, -v9, v18, v29
	v_fma_f32 v18, -v10, v19, v18
	;; [unrolled: 1-line block ×4, first 2 shown]
	ds_read_b64 v[26:27], v8 offset:1040
	s_waitcnt lgkmcnt(1)
	v_fma_f32 v18, -v13, v22, v18
	ds_read_b128 v[19:22], v8 offset:1120
	v_fma_f32 v18, -v14, v23, v18
	v_fma_f32 v18, -v15, v24, v18
	;; [unrolled: 1-line block ×3, first 2 shown]
	s_waitcnt lgkmcnt(1)
	v_fma_f32 v18, -v17, v26, v18
	ds_read_b128 v[23:26], v8 offset:1136
	s_waitcnt lgkmcnt(1)
	v_fma_f32 v19, -v9, v19, v30
	v_fma_f32 v19, -v10, v20, v19
	v_fma_f32 v19, -v11, v21, v19
	v_mul_f32_e32 v18, v18, v27
	v_fma_f32 v19, -v12, v22, v19
	ds_read_b96 v[27:29], v8 offset:1152
	s_waitcnt lgkmcnt(1)
	v_fma_f32 v19, -v13, v23, v19
	ds_read_b128 v[20:23], v8 offset:1232
	v_fma_f32 v19, -v14, v24, v19
	v_fma_f32 v19, -v15, v25, v19
	;; [unrolled: 1-line block ×3, first 2 shown]
	s_waitcnt lgkmcnt(1)
	v_fma_f32 v19, -v17, v27, v19
	ds_read_b128 v[24:27], v8 offset:1248
	s_waitcnt lgkmcnt(1)
	v_fma_f32 v20, -v9, v20, v31
	v_fma_f32 v20, -v10, v21, v20
	;; [unrolled: 1-line block ×4, first 2 shown]
	s_waitcnt lgkmcnt(0)
	v_fma_f32 v24, -v13, v24, v20
	ds_read_b128 v[20:23], v8 offset:1264
	v_fma_f32 v24, -v14, v25, v24
	v_fma_f32 v24, -v15, v26, v24
	;; [unrolled: 1-line block ×4, first 2 shown]
	ds_read_b128 v[24:27], v8 offset:1344
	s_waitcnt lgkmcnt(1)
	v_fma_f32 v20, -v17, v20, v28
	v_mul_f32_e32 v19, v19, v29
	v_fma_f32 v20, -v18, v21, v20
	v_fma_f32 v20, -v19, v22, v20
	v_mul_f32_e32 v20, v20, v23
	ds_write2_b32 v33, v17, v18 offset0:224 offset1:252
	ds_write2_b32 v32, v19, v20 offset0:24 offset1:52
	ds_read_b128 v[28:31], v8 offset:1360
	ds_read_b128 v[34:37], v8 offset:1376
	s_waitcnt lgkmcnt(4)
	v_fma_f32 v21, -v9, v24, v38
	v_fma_f32 v21, -v10, v25, v21
	;; [unrolled: 1-line block ×4, first 2 shown]
	s_waitcnt lgkmcnt(1)
	v_fma_f32 v21, -v13, v28, v21
	v_fma_f32 v21, -v14, v29, v21
	;; [unrolled: 1-line block ×4, first 2 shown]
	s_waitcnt lgkmcnt(0)
	v_fma_f32 v21, -v17, v34, v21
	ds_read_b32 v26, v8 offset:1392
	ds_read_b128 v[22:25], v8 offset:1456
	v_fma_f32 v21, -v18, v35, v21
	v_fma_f32 v21, -v19, v36, v21
	;; [unrolled: 1-line block ×3, first 2 shown]
	s_waitcnt lgkmcnt(1)
	v_mul_f32_e32 v21, v21, v26
	ds_read_b128 v[26:29], v8 offset:1472
	s_waitcnt lgkmcnt(1)
	v_fma_f32 v22, -v9, v22, v39
	v_fma_f32 v22, -v10, v23, v22
	;; [unrolled: 1-line block ×4, first 2 shown]
	ds_read_b128 v[22:25], v8 offset:1488
	s_waitcnt lgkmcnt(1)
	v_fma_f32 v26, -v13, v26, v30
	v_fma_f32 v26, -v14, v27, v26
	v_fma_f32 v26, -v15, v28, v26
	v_fma_f32 v26, -v16, v29, v26
	s_waitcnt lgkmcnt(0)
	v_fma_f32 v22, -v17, v22, v26
	ds_read_b64 v[30:31], v8 offset:1504
	ds_read_b128 v[26:29], v8 offset:1568
	v_fma_f32 v22, -v18, v23, v22
	v_fma_f32 v22, -v19, v24, v22
	;; [unrolled: 1-line block ×3, first 2 shown]
	s_waitcnt lgkmcnt(1)
	v_fma_f32 v22, -v21, v30, v22
	s_waitcnt lgkmcnt(0)
	v_fma_f32 v30, -v9, v26, v40
	ds_read_b128 v[23:26], v8 offset:1584
	v_fma_f32 v27, -v10, v27, v30
	v_fma_f32 v27, -v11, v28, v27
	v_mul_f32_e32 v22, v22, v31
	v_fma_f32 v31, -v12, v29, v27
	ds_read_b128 v[27:30], v8 offset:1600
	s_waitcnt lgkmcnt(1)
	v_fma_f32 v23, -v13, v23, v31
	v_fma_f32 v23, -v14, v24, v23
	;; [unrolled: 1-line block ×4, first 2 shown]
	s_waitcnt lgkmcnt(0)
	v_fma_f32 v23, -v17, v27, v23
	ds_read_b96 v[34:36], v8 offset:1616
	ds_read_b128 v[24:27], v8 offset:1680
	v_fma_f32 v23, -v18, v28, v23
	v_fma_f32 v23, -v19, v29, v23
	;; [unrolled: 1-line block ×3, first 2 shown]
	ds_read_b128 v[28:31], v8 offset:1696
	s_waitcnt lgkmcnt(1)
	v_fma_f32 v24, -v9, v24, v41
	v_fma_f32 v24, -v10, v25, v24
	;; [unrolled: 1-line block ×5, first 2 shown]
	ds_read_b128 v[24:27], v8 offset:1712
	s_waitcnt lgkmcnt(1)
	v_fma_f32 v28, -v13, v28, v34
	v_fma_f32 v28, -v14, v29, v28
	v_fma_f32 v28, -v15, v30, v28
	v_fma_f32 v28, -v16, v31, v28
	s_waitcnt lgkmcnt(0)
	v_fma_f32 v24, -v17, v24, v28
	ds_read_b128 v[28:31], v8 offset:1728
	v_fma_f32 v24, -v18, v25, v24
	v_fma_f32 v24, -v19, v26, v24
	;; [unrolled: 1-line block ×3, first 2 shown]
	ds_read_b128 v[24:27], v8 offset:1792
	v_fma_f32 v23, -v22, v35, v23
	s_waitcnt lgkmcnt(1)
	v_fma_f32 v28, -v21, v28, v34
	v_mul_f32_e32 v23, v23, v36
	v_fma_f32 v28, -v22, v29, v28
	v_fma_f32 v28, -v23, v30, v28
	v_mul_f32_e32 v49, v28, v31
	ds_write2_b32 v32, v21, v22 offset0:80 offset1:108
	ds_write2_b32 v32, v23, v49 offset0:136 offset1:164
	s_waitcnt lgkmcnt(2)
	v_fma_f32 v24, -v9, v24, v42
	ds_read_b128 v[28:31], v8 offset:1808
	ds_read_b128 v[34:37], v8 offset:1824
	;; [unrolled: 1-line block ×3, first 2 shown]
	v_fma_f32 v24, -v10, v25, v24
	v_fma_f32 v24, -v11, v26, v24
	;; [unrolled: 1-line block ×3, first 2 shown]
	s_waitcnt lgkmcnt(2)
	v_fma_f32 v24, -v13, v28, v24
	v_fma_f32 v24, -v14, v29, v24
	v_fma_f32 v24, -v15, v30, v24
	v_fma_f32 v24, -v16, v31, v24
	s_waitcnt lgkmcnt(1)
	v_fma_f32 v24, -v17, v34, v24
	v_fma_f32 v24, -v18, v35, v24
	;; [unrolled: 1-line block ×4, first 2 shown]
	ds_read_b32 v28, v8 offset:1856
	s_waitcnt lgkmcnt(1)
	v_fma_f32 v24, -v21, v38, v24
	v_fma_f32 v29, -v22, v39, v24
	ds_read_b128 v[24:27], v8 offset:1904
	v_fma_f32 v29, -v23, v40, v29
	v_fma_f32 v29, -v49, v41, v29
	s_waitcnt lgkmcnt(1)
	v_mul_f32_e32 v42, v29, v28
	ds_read_b128 v[28:31], v8 offset:1920
	s_waitcnt lgkmcnt(1)
	v_fma_f32 v24, -v9, v24, v43
	v_fma_f32 v24, -v10, v25, v24
	;; [unrolled: 1-line block ×4, first 2 shown]
	s_waitcnt lgkmcnt(0)
	v_fma_f32 v28, -v13, v28, v24
	ds_read_b128 v[24:27], v8 offset:1936
	v_fma_f32 v28, -v14, v29, v28
	v_fma_f32 v28, -v15, v30, v28
	;; [unrolled: 1-line block ×3, first 2 shown]
	ds_read_b128 v[28:31], v8 offset:1952
	s_waitcnt lgkmcnt(1)
	v_fma_f32 v24, -v17, v24, v34
	v_fma_f32 v24, -v18, v25, v24
	;; [unrolled: 1-line block ×4, first 2 shown]
	s_waitcnt lgkmcnt(0)
	v_fma_f32 v24, -v21, v28, v24
	ds_read_b64 v[34:35], v8 offset:1968
	v_fma_f32 v24, -v22, v29, v24
	v_fma_f32 v28, -v23, v30, v24
	ds_read_b128 v[24:27], v8 offset:2016
	v_fma_f32 v28, -v49, v31, v28
	s_waitcnt lgkmcnt(1)
	v_fma_f32 v28, -v42, v34, v28
	v_mul_f32_e32 v43, v28, v35
	ds_read_b128 v[28:31], v8 offset:2032
	s_waitcnt lgkmcnt(1)
	v_fma_f32 v24, -v9, v24, v44
	v_fma_f32 v24, -v10, v25, v24
	;; [unrolled: 1-line block ×3, first 2 shown]
	ds_write2_b32 v32, v42, v43 offset0:192 offset1:220
	v_fma_f32 v32, -v12, v27, v24
	ds_read_b128 v[24:27], v8 offset:2048
	s_waitcnt lgkmcnt(2)
	v_fma_f32 v28, -v13, v28, v32
	v_fma_f32 v28, -v14, v29, v28
	v_fma_f32 v28, -v15, v30, v28
	v_fma_f32 v28, -v16, v31, v28
	s_waitcnt lgkmcnt(0)
	v_fma_f32 v24, -v17, v24, v28
	ds_read_b128 v[28:31], v8 offset:2064
	ds_read_b96 v[34:36], v8 offset:2080
	v_fma_f32 v24, -v18, v25, v24
	v_fma_f32 v24, -v19, v26, v24
	;; [unrolled: 1-line block ×3, first 2 shown]
	s_waitcnt lgkmcnt(1)
	v_fma_f32 v24, -v21, v28, v24
	v_fma_f32 v24, -v22, v29, v24
	;; [unrolled: 1-line block ×4, first 2 shown]
	s_waitcnt lgkmcnt(0)
	v_fma_f32 v24, -v42, v34, v24
	v_fma_f32 v28, -v43, v35, v24
	ds_read_b128 v[24:27], v8 offset:2128
	v_mul_f32_e32 v32, v28, v36
	ds_read_b128 v[28:31], v8 offset:2144
	ds_read_b128 v[34:37], v8 offset:2160
	;; [unrolled: 1-line block ×3, first 2 shown]
	s_mov_b32 s8, 28
	s_waitcnt lgkmcnt(3)
	v_fma_f32 v24, -v9, v24, v45
	v_fma_f32 v24, -v10, v25, v24
	v_fma_f32 v24, -v11, v26, v24
	v_fma_f32 v24, -v12, v27, v24
	s_waitcnt lgkmcnt(2)
	v_fma_f32 v24, -v13, v28, v24
	v_fma_f32 v24, -v14, v29, v24
	v_fma_f32 v24, -v15, v30, v24
	v_fma_f32 v24, -v16, v31, v24
	;; [unrolled: 5-line block ×3, first 2 shown]
	s_waitcnt lgkmcnt(0)
	v_fma_f32 v28, -v21, v38, v24
	ds_read_b128 v[24:27], v8 offset:2192
	v_fma_f32 v28, -v22, v39, v28
	v_fma_f32 v28, -v23, v40, v28
	;; [unrolled: 1-line block ×3, first 2 shown]
	ds_read_b128 v[28:31], v8 offset:2240
	s_waitcnt lgkmcnt(1)
	v_fma_f32 v24, -v42, v24, v34
	v_fma_f32 v24, -v43, v25, v24
	;; [unrolled: 1-line block ×3, first 2 shown]
	v_mul_f32_e32 v44, v24, v27
	ds_read_b128 v[24:27], v8 offset:2256
	s_waitcnt lgkmcnt(1)
	v_fma_f32 v28, -v9, v28, v46
	v_fma_f32 v28, -v10, v29, v28
	;; [unrolled: 1-line block ×4, first 2 shown]
	ds_read_b128 v[28:31], v8 offset:2272
	s_waitcnt lgkmcnt(1)
	v_fma_f32 v24, -v13, v24, v34
	v_fma_f32 v24, -v14, v25, v24
	;; [unrolled: 1-line block ×4, first 2 shown]
	s_waitcnt lgkmcnt(0)
	v_fma_f32 v28, -v17, v28, v24
	ds_read_b128 v[24:27], v8 offset:2288
	v_fma_f32 v28, -v18, v29, v28
	v_fma_f32 v28, -v19, v30, v28
	;; [unrolled: 1-line block ×3, first 2 shown]
	ds_read_b128 v[28:31], v8 offset:2304
	s_waitcnt lgkmcnt(1)
	v_fma_f32 v24, -v21, v24, v34
	v_fma_f32 v24, -v22, v25, v24
	;; [unrolled: 1-line block ×3, first 2 shown]
	ds_write2_b32 v48, v32, v44 offset0:120 offset1:148
	v_fma_f32 v24, -v49, v27, v24
	s_waitcnt lgkmcnt(1)
	v_fma_f32 v28, -v42, v28, v24
	ds_read_b32 v34, v8 offset:2320
	ds_read_b128 v[24:27], v8 offset:2352
	v_fma_f32 v28, -v43, v29, v28
	v_fma_f32 v28, -v32, v30, v28
	;; [unrolled: 1-line block ×3, first 2 shown]
	s_waitcnt lgkmcnt(1)
	v_mul_f32_e32 v45, v28, v34
	ds_read_b128 v[28:31], v8 offset:2368
	s_waitcnt lgkmcnt(1)
	v_fma_f32 v24, -v9, v24, v47
	v_fma_f32 v24, -v10, v25, v24
	;; [unrolled: 1-line block ×4, first 2 shown]
	ds_read_b128 v[24:27], v8 offset:2384
	s_waitcnt lgkmcnt(1)
	v_fma_f32 v28, -v13, v28, v34
	v_fma_f32 v28, -v14, v29, v28
	v_fma_f32 v28, -v15, v30, v28
	v_fma_f32 v28, -v16, v31, v28
	s_waitcnt lgkmcnt(0)
	v_fma_f32 v24, -v17, v24, v28
	ds_read_b128 v[28:31], v8 offset:2400
	v_fma_f32 v24, -v18, v25, v24
	v_fma_f32 v24, -v19, v26, v24
	;; [unrolled: 1-line block ×3, first 2 shown]
	ds_read_b128 v[24:27], v8 offset:2416
	s_waitcnt lgkmcnt(1)
	v_fma_f32 v28, -v21, v28, v34
	v_fma_f32 v28, -v22, v29, v28
	;; [unrolled: 1-line block ×4, first 2 shown]
	s_waitcnt lgkmcnt(0)
	v_fma_f32 v24, -v42, v24, v28
	ds_read_b64 v[28:29], v8 offset:2432
	v_fma_f32 v24, -v43, v25, v24
	v_fma_f32 v24, -v32, v26, v24
	;; [unrolled: 1-line block ×3, first 2 shown]
	ds_read_b128 v[24:27], v8 offset:2464
	s_waitcnt lgkmcnt(1)
	v_fma_f32 v28, -v45, v28, v30
	v_mul_f32_e32 v46, v28, v29
	ds_write2_b32 v7, v45, v46 offset0:48 offset1:76
	ds_read_b128 v[28:31], v8 offset:2480
	ds_read_b128 v[34:37], v8 offset:2496
	ds_read_b128 v[38:41], v8 offset:2512
	s_waitcnt lgkmcnt(4)
	v_fma_f32 v5, -v9, v24, v5
	v_fma_f32 v5, -v10, v25, v5
	v_fma_f32 v5, -v11, v26, v5
	v_fma_f32 v5, -v12, v27, v5
	s_waitcnt lgkmcnt(2)
	v_fma_f32 v5, -v13, v28, v5
	v_fma_f32 v5, -v14, v29, v5
	v_fma_f32 v5, -v15, v30, v5
	v_fma_f32 v5, -v16, v31, v5
	;; [unrolled: 5-line block ×3, first 2 shown]
	ds_read_b128 v[24:27], v8 offset:2528
	ds_read_b96 v[34:36], v8 offset:2544
	s_waitcnt lgkmcnt(2)
	v_fma_f32 v5, -v21, v38, v5
	v_fma_f32 v5, -v22, v39, v5
	;; [unrolled: 1-line block ×4, first 2 shown]
	s_waitcnt lgkmcnt(1)
	v_fma_f32 v5, -v42, v24, v5
	v_fma_f32 v5, -v43, v25, v5
	ds_read_b128 v[28:31], v8 offset:2576
	v_fma_f32 v5, -v32, v26, v5
	v_fma_f32 v5, -v44, v27, v5
	s_waitcnt lgkmcnt(1)
	v_fma_f32 v5, -v45, v34, v5
	v_fma_f32 v5, -v46, v35, v5
	ds_read_b128 v[24:27], v8 offset:2592
	v_mul_f32_e32 v47, v5, v36
	s_waitcnt lgkmcnt(1)
	v_fma_f32 v5, -v9, v28, v6
	v_fma_f32 v5, -v10, v29, v5
	v_fma_f32 v5, -v11, v30, v5
	v_fma_f32 v5, -v12, v31, v5
	ds_read_b128 v[28:31], v8 offset:2608
	s_waitcnt lgkmcnt(1)
	v_fma_f32 v5, -v13, v24, v5
	v_fma_f32 v5, -v14, v25, v5
	v_fma_f32 v5, -v15, v26, v5
	v_fma_f32 v5, -v16, v27, v5
	ds_read_b128 v[24:27], v8 offset:2624
	;; [unrolled: 6-line block ×5, first 2 shown]
	s_waitcnt lgkmcnt(1)
	v_fma_f32 v5, -v45, v24, v5
	v_fma_f32 v5, -v46, v25, v5
	;; [unrolled: 1-line block ×3, first 2 shown]
	v_mul_f32_e32 v48, v5, v27
	ds_read_b128 v[24:27], v8 offset:2704
	s_waitcnt lgkmcnt(1)
	v_fma_f32 v3, -v9, v28, v3
	v_fma_f32 v3, -v10, v29, v3
	v_fma_f32 v3, -v11, v30, v3
	v_fma_f32 v3, -v12, v31, v3
	ds_read_b128 v[28:31], v8 offset:2720
	s_waitcnt lgkmcnt(1)
	v_fma_f32 v3, -v13, v24, v3
	v_fma_f32 v3, -v14, v25, v3
	v_fma_f32 v3, -v15, v26, v3
	v_fma_f32 v3, -v16, v27, v3
	;; [unrolled: 6-line block ×5, first 2 shown]
	s_waitcnt lgkmcnt(0)
	v_fma_f32 v3, -v45, v24, v3
	v_fma_f32 v3, -v46, v25, v3
	;; [unrolled: 1-line block ×3, first 2 shown]
	ds_read_b32 v5, v8 offset:2784
	v_fma_f32 v3, -v48, v27, v3
	ds_read_b128 v[24:27], v8 offset:2800
	ds_write2_b32 v7, v47, v48 offset0:104 offset1:132
	ds_read_b128 v[28:31], v8 offset:2816
	ds_read_b128 v[34:37], v8 offset:2832
	;; [unrolled: 1-line block ×3, first 2 shown]
	s_waitcnt lgkmcnt(5)
	v_mul_f32_e32 v50, v3, v5
	s_waitcnt lgkmcnt(4)
	v_fma_f32 v3, -v9, v24, v4
	v_fma_f32 v3, -v10, v25, v3
	v_fma_f32 v3, -v11, v26, v3
	v_fma_f32 v3, -v12, v27, v3
	s_waitcnt lgkmcnt(2)
	v_fma_f32 v3, -v13, v28, v3
	v_fma_f32 v3, -v14, v29, v3
	v_fma_f32 v3, -v15, v30, v3
	v_fma_f32 v3, -v16, v31, v3
	;; [unrolled: 5-line block ×3, first 2 shown]
	s_waitcnt lgkmcnt(0)
	v_fma_f32 v24, -v21, v38, v3
	ds_read_b128 v[3:6], v8 offset:2864
	v_fma_f32 v24, -v22, v39, v24
	v_fma_f32 v24, -v23, v40, v24
	;; [unrolled: 1-line block ×3, first 2 shown]
	ds_read_b128 v[24:27], v8 offset:2880
	s_waitcnt lgkmcnt(1)
	v_fma_f32 v3, -v42, v3, v28
	v_fma_f32 v3, -v43, v4, v3
	;; [unrolled: 1-line block ×4, first 2 shown]
	s_waitcnt lgkmcnt(0)
	v_fma_f32 v3, -v45, v24, v3
	ds_read_b64 v[28:29], v8 offset:2896
	v_fma_f32 v3, -v46, v25, v3
	v_fma_f32 v24, -v47, v26, v3
	ds_read_b128 v[3:6], v8 offset:2912
	v_fma_f32 v24, -v48, v27, v24
	s_waitcnt lgkmcnt(1)
	v_fma_f32 v24, -v50, v28, v24
	v_mul_f32_e32 v38, v24, v29
	ds_read_b128 v[24:27], v8 offset:2928
	s_waitcnt lgkmcnt(1)
	v_fma_f32 v1, -v9, v3, v1
	v_fma_f32 v1, -v10, v4, v1
	v_fma_f32 v1, -v11, v5, v1
	v_fma_f32 v1, -v12, v6, v1
	ds_read_b128 v[3:6], v8 offset:2944
	s_waitcnt lgkmcnt(1)
	v_fma_f32 v1, -v13, v24, v1
	v_fma_f32 v1, -v14, v25, v1
	v_fma_f32 v1, -v15, v26, v1
	v_fma_f32 v1, -v16, v27, v1
	;; [unrolled: 6-line block ×4, first 2 shown]
	ds_read_b128 v[24:27], v8 offset:2992
	ds_read_b96 v[28:30], v8 offset:3008
	s_waitcnt lgkmcnt(2)
	v_fma_f32 v1, -v42, v3, v1
	v_fma_f32 v1, -v43, v4, v1
	;; [unrolled: 1-line block ×4, first 2 shown]
	s_waitcnt lgkmcnt(1)
	v_fma_f32 v1, -v45, v24, v1
	v_fma_f32 v1, -v46, v25, v1
	ds_read_b128 v[3:6], v8 offset:3024
	v_fma_f32 v1, -v47, v26, v1
	v_fma_f32 v1, -v48, v27, v1
	s_waitcnt lgkmcnt(1)
	v_fma_f32 v1, -v50, v28, v1
	v_fma_f32 v1, -v38, v29, v1
	ds_write2_b32 v7, v50, v38 offset0:160 offset1:188
	v_mul_f32_e32 v39, v1, v30
	s_waitcnt lgkmcnt(1)
	v_fma_f32 v1, -v9, v3, v2
	ds_read_b128 v[24:27], v8 offset:3040
	ds_read_b128 v[28:31], v8 offset:3056
	;; [unrolled: 1-line block ×3, first 2 shown]
	v_fma_f32 v1, -v10, v4, v1
	v_fma_f32 v1, -v11, v5, v1
	v_fma_f32 v1, -v12, v6, v1
	s_waitcnt lgkmcnt(2)
	v_fma_f32 v1, -v13, v24, v1
	v_fma_f32 v1, -v14, v25, v1
	v_fma_f32 v1, -v15, v26, v1
	v_fma_f32 v1, -v16, v27, v1
	s_waitcnt lgkmcnt(1)
	v_fma_f32 v1, -v17, v28, v1
	;; [unrolled: 5-line block ×3, first 2 shown]
	ds_read_b128 v[1:4], v8 offset:3088
	ds_read_b128 v[9:12], v8 offset:3104
	v_fma_f32 v5, -v22, v35, v5
	v_fma_f32 v5, -v23, v36, v5
	;; [unrolled: 1-line block ×3, first 2 shown]
	s_waitcnt lgkmcnt(1)
	v_fma_f32 v1, -v42, v1, v5
	v_fma_f32 v1, -v43, v2, v1
	;; [unrolled: 1-line block ×4, first 2 shown]
	ds_read_b128 v[1:4], v8 offset:3120
	s_waitcnt lgkmcnt(1)
	v_fma_f32 v5, -v45, v9, v5
	v_fma_f32 v5, -v46, v10, v5
	;; [unrolled: 1-line block ×4, first 2 shown]
	s_waitcnt lgkmcnt(0)
	v_fma_f32 v1, -v50, v1, v5
	v_fma_f32 v1, -v38, v2, v1
	;; [unrolled: 1-line block ×3, first 2 shown]
	v_mul_f32_e32 v1, v1, v4
	ds_write2_b32 v7, v39, v1 offset0:216 offset1:244
	s_cmp_lt_i32 s8, s16
	s_cbranch_scc1 .LBB31_13
	s_branch .LBB31_23
.LBB31_12:
	s_mov_b32 s8, 0
	s_cmp_lt_i32 s8, s16
	s_cbranch_scc0 .LBB31_23
.LBB31_13:
	s_add_i32 s11, s8, 23
	s_cmp_ge_u32 s11, s16
	s_cbranch_scc1 .LBB31_18
; %bb.14:
	s_mul_i32 s11, s8, 0x70
	v_add_u32_e32 v25, s11, v33
	ds_read2_b32 v[23:24], v25 offset1:28
	ds_read2_b32 v[21:22], v25 offset0:56 offset1:84
	ds_read2_b32 v[19:20], v25 offset0:112 offset1:140
	;; [unrolled: 1-line block ×4, first 2 shown]
	v_add_u32_e32 v1, 0x400, v25
	ds_read2_b32 v[13:14], v1 offset0:24 offset1:52
	ds_read2_b32 v[11:12], v1 offset0:80 offset1:108
	;; [unrolled: 1-line block ×4, first 2 shown]
	v_add_u32_e32 v1, 0x600, v25
	ds_read2_b32 v[5:6], v1 offset0:120 offset1:148
	v_add_u32_e32 v1, 0x800, v25
	ds_read2_b32 v[3:4], v1 offset0:48 offset1:76
	ds_read2_b32 v[1:2], v1 offset0:104 offset1:132
	s_andn2_b64 vcc, exec, s[4:5]
	s_cbranch_vccnz .LBB31_17
; %bb.15:
	v_mov_b32_e32 v26, 0xc40
	v_lshl_add_u32 v26, v0, 2, v26
	s_mov_b32 s4, s8
	s_mov_b32 s5, s11
.LBB31_16:                              ; =>This Inner Loop Header: Depth=1
	v_mov_b32_e32 v66, s5
	v_add_u32_e32 v67, 0x400, v66
	v_add_u32_e32 v74, 0x800, v66
	ds_read2_b32 v[31:32], v26 offset1:28
	ds_read2_b64 v[27:30], v66 offset1:14
	ds_read2_b64 v[34:37], v66 offset0:28 offset1:42
	ds_read2_b64 v[38:41], v66 offset0:56 offset1:70
	;; [unrolled: 1-line block ×11, first 2 shown]
	s_add_i32 s5, s5, 8
	s_add_i32 s4, s4, -2
	s_waitcnt lgkmcnt(11)
	v_fma_f32 v23, -v31, v27, v23
	v_fma_f32 v24, -v31, v29, v24
	s_waitcnt lgkmcnt(10)
	v_fma_f32 v21, -v31, v34, v21
	v_fma_f32 v22, -v31, v36, v22
	;; [unrolled: 3-line block ×12, first 2 shown]
	v_add_u32_e32 v26, 0xe0, v26
	s_cmp_lg_u32 s4, 0
	v_fma_f32 v23, -v32, v28, v23
	v_fma_f32 v24, -v32, v30, v24
	;; [unrolled: 1-line block ×24, first 2 shown]
	s_cbranch_scc1 .LBB31_16
.LBB31_17:
	s_lshl_b32 s4, s8, 2
	s_add_i32 s5, s4, s11
	v_mov_b32_e32 v36, s5
	ds_read2_b32 v[34:35], v36 offset1:116
	s_add_i32 s5, s11, 0x70
	s_add_i32 s12, s4, s5
	v_mov_b32_e32 v26, s12
	s_add_i32 s12, s11, 0xe0
	s_waitcnt lgkmcnt(0)
	v_mul_f32_e32 v23, v23, v34
	s_add_i32 s13, s4, s12
	ds_read_b64 v[28:29], v26
	ds_write_b32 v25, v23
	v_mov_b32_e32 v25, s13
	ds_read_b96 v[25:27], v25
	s_add_i32 s8, s8, 24
	s_waitcnt lgkmcnt(2)
	v_fma_f32 v24, -v23, v28, v24
	v_mul_f32_e32 v24, v24, v29
	v_add_u32_e32 v28, s5, v33
	s_waitcnt lgkmcnt(0)
	v_fma_f32 v21, -v23, v25, v21
	v_fma_f32 v21, -v24, v26, v21
	s_add_i32 s5, s11, 0x150
	v_mul_f32_e32 v21, v21, v27
	v_add_u32_e32 v25, s12, v33
	s_add_i32 s12, s4, s5
	ds_write_b32 v25, v21
	v_mov_b32_e32 v25, s12
	ds_write_b32 v28, v24
	ds_read_b128 v[25:28], v25
	s_add_i32 s12, s11, 0x1c0
	s_add_i32 s13, s4, s12
	v_mov_b32_e32 v29, s13
	ds_read_b128 v[29:32], v29
	s_waitcnt lgkmcnt(1)
	v_fma_f32 v22, -v23, v25, v22
	v_fma_f32 v22, -v24, v26, v22
	v_add_u32_e32 v25, s5, v33
	s_add_i32 s5, s11, 0x230
	v_fma_f32 v22, -v21, v27, v22
	s_add_i32 s13, s4, s5
	v_mul_f32_e32 v22, v22, v28
	s_waitcnt lgkmcnt(0)
	v_fma_f32 v19, -v23, v29, v19
	v_mov_b32_e32 v29, s13
	ds_write_b32 v25, v22
	ds_read_b128 v[25:28], v29
	v_fma_f32 v19, -v24, v30, v19
	v_fma_f32 v19, -v21, v31, v19
	;; [unrolled: 1-line block ×3, first 2 shown]
	v_mul_f32_e32 v37, v19, v35
	v_add_u32_e32 v19, s12, v33
	ds_write_b32 v19, v37
	s_waitcnt lgkmcnt(1)
	v_fma_f32 v19, -v23, v25, v20
	s_add_i32 s12, s11, 0x2a0
	v_fma_f32 v19, -v24, v26, v19
	s_add_i32 s13, s4, s12
	ds_read_b64 v[29:30], v29 offset:16
	v_fma_f32 v19, -v21, v27, v19
	v_mov_b32_e32 v20, s13
	v_fma_f32 v19, -v22, v28, v19
	ds_read_b128 v[25:28], v20
	s_waitcnt lgkmcnt(1)
	v_fma_f32 v19, -v37, v29, v19
	v_mul_f32_e32 v38, v19, v30
	v_add_u32_e32 v19, s5, v33
	ds_read_b96 v[29:31], v20 offset:16
	s_waitcnt lgkmcnt(1)
	v_fma_f32 v17, -v23, v25, v17
	s_add_i32 s5, s11, 0x310
	v_fma_f32 v17, -v24, v26, v17
	s_add_i32 s13, s4, s5
	ds_write_b32 v19, v38
	v_fma_f32 v17, -v21, v27, v17
	v_mov_b32_e32 v19, s13
	v_fma_f32 v17, -v22, v28, v17
	ds_read_b128 v[25:28], v19
	s_waitcnt lgkmcnt(2)
	v_fma_f32 v17, -v37, v29, v17
	v_fma_f32 v17, -v38, v30, v17
	v_mul_f32_e32 v39, v17, v31
	v_add_u32_e32 v17, s12, v33
	ds_read_b128 v[29:32], v19 offset:16
	ds_write_b32 v17, v39
	s_waitcnt lgkmcnt(2)
	v_fma_f32 v17, -v23, v25, v18
	v_fma_f32 v17, -v24, v26, v17
	;; [unrolled: 1-line block ×4, first 2 shown]
	s_add_i32 s12, s11, 0x380
	s_waitcnt lgkmcnt(1)
	v_fma_f32 v17, -v37, v29, v17
	s_add_i32 s13, s4, s12
	v_fma_f32 v17, -v38, v30, v17
	v_mov_b32_e32 v26, s13
	v_fma_f32 v25, -v39, v31, v17
	ds_read_b128 v[17:20], v26
	v_mul_f32_e32 v40, v25, v32
	v_add_u32_e32 v25, s5, v33
	ds_write_b32 v25, v40
	ds_read_b128 v[25:28], v26 offset:16
	s_waitcnt lgkmcnt(2)
	v_fma_f32 v15, -v23, v17, v15
	v_fma_f32 v15, -v24, v18, v15
	;; [unrolled: 1-line block ×3, first 2 shown]
	v_add_u32_e32 v17, 0x200, v36
	v_fma_f32 v15, -v22, v20, v15
	ds_read2_b32 v[34:35], v17 offset0:104 offset1:220
	s_waitcnt lgkmcnt(1)
	v_fma_f32 v15, -v37, v25, v15
	v_fma_f32 v15, -v38, v26, v15
	v_fma_f32 v15, -v39, v27, v15
	s_add_i32 s5, s11, 0x3f0
	v_fma_f32 v15, -v40, v28, v15
	s_add_i32 s13, s4, s5
	s_waitcnt lgkmcnt(0)
	v_mul_f32_e32 v34, v15, v34
	v_mov_b32_e32 v15, s13
	ds_read_b128 v[17:20], v15
	v_add_u32_e32 v25, s12, v33
	ds_write_b32 v25, v34
	ds_read_b128 v[25:28], v15 offset:16
	ds_read_b64 v[29:30], v15 offset:32
	s_add_i32 s12, s11, 0x460
	s_waitcnt lgkmcnt(3)
	v_fma_f32 v15, -v23, v17, v16
	v_fma_f32 v15, -v24, v18, v15
	;; [unrolled: 1-line block ×4, first 2 shown]
	s_waitcnt lgkmcnt(1)
	v_fma_f32 v15, -v37, v25, v15
	v_fma_f32 v15, -v38, v26, v15
	s_add_i32 s13, s4, s12
	v_fma_f32 v15, -v39, v27, v15
	v_mov_b32_e32 v20, s13
	v_fma_f32 v19, -v40, v28, v15
	ds_read_b128 v[15:18], v20
	s_waitcnt lgkmcnt(1)
	v_fma_f32 v19, -v34, v29, v19
	v_mul_f32_e32 v41, v19, v30
	v_add_u32_e32 v19, s5, v33
	ds_write_b32 v19, v41
	ds_read_b128 v[25:28], v20 offset:16
	ds_read_b96 v[29:31], v20 offset:32
	s_waitcnt lgkmcnt(3)
	v_fma_f32 v13, -v23, v15, v13
	v_fma_f32 v13, -v24, v16, v13
	;; [unrolled: 1-line block ×4, first 2 shown]
	s_waitcnt lgkmcnt(1)
	v_fma_f32 v13, -v37, v25, v13
	v_fma_f32 v13, -v38, v26, v13
	v_fma_f32 v13, -v39, v27, v13
	v_fma_f32 v13, -v40, v28, v13
	s_waitcnt lgkmcnt(0)
	v_fma_f32 v13, -v34, v29, v13
	s_add_i32 s5, s11, 0x4d0
	v_fma_f32 v13, -v41, v30, v13
	s_add_i32 s13, s4, s5
	v_mul_f32_e32 v42, v13, v31
	v_mov_b32_e32 v13, s13
	ds_read_b128 v[15:18], v13
	v_add_u32_e32 v19, s12, v33
	ds_write_b32 v19, v42
	ds_read_b128 v[25:28], v13 offset:16
	ds_read_b128 v[29:32], v13 offset:32
	s_add_i32 s12, s11, 0x540
	s_waitcnt lgkmcnt(3)
	v_fma_f32 v13, -v23, v15, v14
	v_fma_f32 v13, -v24, v16, v13
	;; [unrolled: 1-line block ×4, first 2 shown]
	s_waitcnt lgkmcnt(1)
	v_fma_f32 v13, -v37, v25, v13
	v_fma_f32 v13, -v38, v26, v13
	;; [unrolled: 1-line block ×3, first 2 shown]
	s_add_i32 s13, s4, s12
	v_fma_f32 v17, -v40, v28, v13
	v_mov_b32_e32 v25, s13
	ds_read_b128 v[13:16], v25
	s_waitcnt lgkmcnt(1)
	v_fma_f32 v17, -v34, v29, v17
	v_fma_f32 v17, -v41, v30, v17
	;; [unrolled: 1-line block ×3, first 2 shown]
	v_mul_f32_e32 v43, v17, v32
	v_add_u32_e32 v17, s5, v33
	ds_write_b32 v17, v43
	ds_read_b128 v[17:20], v25 offset:16
	ds_read_b128 v[25:28], v25 offset:32
	s_waitcnt lgkmcnt(3)
	v_fma_f32 v11, -v23, v13, v11
	v_fma_f32 v11, -v24, v14, v11
	v_fma_f32 v11, -v21, v15, v11
	v_fma_f32 v11, -v22, v16, v11
	s_waitcnt lgkmcnt(1)
	v_fma_f32 v11, -v37, v17, v11
	v_fma_f32 v11, -v38, v18, v11
	v_fma_f32 v11, -v39, v19, v11
	v_fma_f32 v11, -v40, v20, v11
	;; [unrolled: 5-line block ×3, first 2 shown]
	s_add_i32 s5, s11, 0x5b0
	v_mul_f32_e32 v35, v11, v35
	v_add_u32_e32 v11, s12, v33
	s_add_i32 s12, s4, s5
	v_mov_b32_e32 v29, s12
	ds_read_b128 v[13:16], v29
	ds_write_b32 v11, v35
	ds_read_b128 v[17:20], v29 offset:16
	ds_read_b128 v[25:28], v29 offset:32
	ds_read_b64 v[29:30], v29 offset:48
	s_waitcnt lgkmcnt(4)
	v_fma_f32 v11, -v23, v13, v12
	v_fma_f32 v11, -v24, v14, v11
	v_fma_f32 v11, -v21, v15, v11
	v_fma_f32 v11, -v22, v16, v11
	s_waitcnt lgkmcnt(2)
	v_fma_f32 v11, -v37, v17, v11
	v_fma_f32 v11, -v38, v18, v11
	;; [unrolled: 1-line block ×4, first 2 shown]
	s_waitcnt lgkmcnt(1)
	v_fma_f32 v11, -v34, v25, v11
	v_fma_f32 v11, -v41, v26, v11
	;; [unrolled: 1-line block ×3, first 2 shown]
	v_add_u32_e32 v15, s5, v33
	s_add_i32 s5, s11, 0x620
	v_fma_f32 v11, -v43, v28, v11
	s_add_i32 s12, s4, s5
	s_waitcnt lgkmcnt(0)
	v_fma_f32 v11, -v35, v29, v11
	v_mov_b32_e32 v19, s12
	v_mul_f32_e32 v44, v11, v30
	ds_read_b128 v[11:14], v19
	ds_write_b32 v15, v44
	ds_read_b128 v[15:18], v19 offset:16
	ds_read_b128 v[25:28], v19 offset:32
	ds_read_b96 v[29:31], v19 offset:48
	s_waitcnt lgkmcnt(4)
	v_fma_f32 v9, -v23, v11, v9
	v_fma_f32 v9, -v24, v12, v9
	v_fma_f32 v9, -v21, v13, v9
	v_fma_f32 v9, -v22, v14, v9
	s_waitcnt lgkmcnt(2)
	v_fma_f32 v9, -v37, v15, v9
	v_fma_f32 v9, -v38, v16, v9
	v_fma_f32 v9, -v39, v17, v9
	v_fma_f32 v9, -v40, v18, v9
	s_waitcnt lgkmcnt(1)
	v_fma_f32 v9, -v34, v25, v9
	v_fma_f32 v9, -v41, v26, v9
	v_fma_f32 v9, -v42, v27, v9
	v_fma_f32 v9, -v43, v28, v9
	s_waitcnt lgkmcnt(0)
	v_fma_f32 v9, -v35, v29, v9
	v_fma_f32 v9, -v44, v30, v9
	v_mul_f32_e32 v45, v9, v31
	v_add_u32_e32 v9, s5, v33
	s_add_i32 s5, s11, 0x690
	s_add_i32 s12, s4, s5
	v_mov_b32_e32 v19, s12
	ds_read_b128 v[11:14], v19
	ds_write_b32 v9, v45
	ds_read_b128 v[15:18], v19 offset:16
	ds_read_b128 v[25:28], v19 offset:32
	;; [unrolled: 1-line block ×3, first 2 shown]
	s_waitcnt lgkmcnt(4)
	v_fma_f32 v9, -v23, v11, v10
	v_fma_f32 v9, -v24, v12, v9
	v_fma_f32 v9, -v21, v13, v9
	v_fma_f32 v9, -v22, v14, v9
	s_waitcnt lgkmcnt(2)
	v_fma_f32 v9, -v37, v15, v9
	v_fma_f32 v9, -v38, v16, v9
	v_fma_f32 v9, -v39, v17, v9
	v_fma_f32 v9, -v40, v18, v9
	s_waitcnt lgkmcnt(1)
	v_fma_f32 v9, -v34, v25, v9
	v_fma_f32 v9, -v41, v26, v9
	v_fma_f32 v9, -v42, v27, v9
	v_fma_f32 v9, -v43, v28, v9
	s_waitcnt lgkmcnt(0)
	v_fma_f32 v9, -v35, v29, v9
	v_add_u32_e32 v13, s5, v33
	s_add_i32 s5, s11, 0x700
	v_fma_f32 v9, -v44, v30, v9
	s_add_i32 s12, s4, s5
	v_fma_f32 v9, -v45, v31, v9
	v_mov_b32_e32 v25, s12
	v_mul_f32_e32 v31, v9, v32
	ds_read_b128 v[9:12], v25
	ds_write_b32 v13, v31
	ds_read_b128 v[13:16], v25 offset:16
	ds_read_b128 v[17:20], v25 offset:32
	;; [unrolled: 1-line block ×3, first 2 shown]
	s_waitcnt lgkmcnt(4)
	v_fma_f32 v7, -v23, v9, v7
	v_fma_f32 v7, -v24, v10, v7
	;; [unrolled: 1-line block ×4, first 2 shown]
	s_waitcnt lgkmcnt(2)
	v_fma_f32 v7, -v37, v13, v7
	v_fma_f32 v7, -v38, v14, v7
	;; [unrolled: 1-line block ×4, first 2 shown]
	s_waitcnt lgkmcnt(1)
	v_fma_f32 v7, -v34, v17, v7
	v_fma_f32 v7, -v41, v18, v7
	;; [unrolled: 1-line block ×3, first 2 shown]
	v_add_u32_e32 v9, 0x600, v36
	v_fma_f32 v7, -v43, v20, v7
	ds_read2_b32 v[29:30], v9 offset0:80 offset1:196
	s_waitcnt lgkmcnt(1)
	v_fma_f32 v7, -v35, v25, v7
	v_fma_f32 v7, -v44, v26, v7
	;; [unrolled: 1-line block ×4, first 2 shown]
	s_waitcnt lgkmcnt(0)
	v_mul_f32_e32 v29, v7, v29
	v_add_u32_e32 v7, s5, v33
	s_add_i32 s5, s11, 0x770
	s_add_i32 s12, s4, s5
	v_mov_b32_e32 v32, s12
	ds_read_b128 v[9:12], v32
	ds_write_b32 v7, v29
	ds_read_b128 v[13:16], v32 offset:16
	ds_read_b128 v[17:20], v32 offset:32
	;; [unrolled: 1-line block ×3, first 2 shown]
	s_add_i32 s12, s11, 0x7e0
	s_add_i32 s13, s4, s12
	s_waitcnt lgkmcnt(4)
	v_fma_f32 v7, -v23, v9, v8
	v_fma_f32 v7, -v24, v10, v7
	v_fma_f32 v7, -v21, v11, v7
	v_fma_f32 v7, -v22, v12, v7
	s_waitcnt lgkmcnt(2)
	v_fma_f32 v7, -v37, v13, v7
	v_fma_f32 v7, -v38, v14, v7
	v_fma_f32 v7, -v39, v15, v7
	v_fma_f32 v7, -v40, v16, v7
	;; [unrolled: 5-line block ×3, first 2 shown]
	s_waitcnt lgkmcnt(0)
	v_fma_f32 v7, -v35, v25, v7
	v_fma_f32 v7, -v44, v26, v7
	ds_read_b64 v[11:12], v32 offset:64
	v_fma_f32 v7, -v45, v27, v7
	v_mov_b32_e32 v19, s13
	v_fma_f32 v13, -v31, v28, v7
	ds_read_b128 v[7:10], v19
	s_waitcnt lgkmcnt(1)
	v_fma_f32 v11, -v29, v11, v13
	v_mul_f32_e32 v32, v11, v12
	v_add_u32_e32 v11, s5, v33
	ds_write_b32 v11, v32
	s_waitcnt lgkmcnt(1)
	v_fma_f32 v5, -v23, v7, v5
	ds_read_b128 v[11:14], v19 offset:16
	ds_read_b128 v[15:18], v19 offset:32
	;; [unrolled: 1-line block ×3, first 2 shown]
	v_fma_f32 v5, -v24, v8, v5
	v_fma_f32 v5, -v21, v9, v5
	;; [unrolled: 1-line block ×3, first 2 shown]
	s_waitcnt lgkmcnt(2)
	v_fma_f32 v5, -v37, v11, v5
	v_fma_f32 v5, -v38, v12, v5
	;; [unrolled: 1-line block ×4, first 2 shown]
	s_waitcnt lgkmcnt(1)
	v_fma_f32 v5, -v34, v15, v5
	v_fma_f32 v5, -v41, v16, v5
	;; [unrolled: 1-line block ×4, first 2 shown]
	ds_read_b96 v[7:9], v19 offset:64
	s_waitcnt lgkmcnt(1)
	v_fma_f32 v5, -v35, v25, v5
	v_fma_f32 v5, -v44, v26, v5
	;; [unrolled: 1-line block ×4, first 2 shown]
	s_waitcnt lgkmcnt(0)
	v_fma_f32 v5, -v29, v7, v5
	v_fma_f32 v5, -v32, v8, v5
	s_add_i32 s5, s11, 0x850
	v_mul_f32_e32 v36, v5, v9
	v_add_u32_e32 v5, s12, v33
	s_add_i32 s12, s4, s5
	v_mov_b32_e32 v19, s12
	ds_read_b128 v[7:10], v19
	ds_write_b32 v5, v36
	ds_read_b128 v[11:14], v19 offset:16
	ds_read_b128 v[15:18], v19 offset:32
	;; [unrolled: 1-line block ×3, first 2 shown]
	s_add_i32 s12, s11, 0x8c0
	s_add_i32 s13, s4, s12
	s_waitcnt lgkmcnt(4)
	v_fma_f32 v5, -v23, v7, v6
	v_fma_f32 v5, -v24, v8, v5
	v_fma_f32 v5, -v21, v9, v5
	v_fma_f32 v5, -v22, v10, v5
	s_waitcnt lgkmcnt(2)
	v_fma_f32 v5, -v37, v11, v5
	v_fma_f32 v5, -v38, v12, v5
	v_fma_f32 v5, -v39, v13, v5
	v_fma_f32 v5, -v40, v14, v5
	;; [unrolled: 5-line block ×4, first 2 shown]
	ds_read_b128 v[5:8], v19 offset:64
	v_mov_b32_e32 v25, s13
	ds_read_b128 v[9:12], v25
	s_waitcnt lgkmcnt(1)
	v_fma_f32 v5, -v29, v5, v13
	v_fma_f32 v5, -v32, v6, v5
	;; [unrolled: 1-line block ×3, first 2 shown]
	v_mul_f32_e32 v26, v5, v8
	v_add_u32_e32 v5, s5, v33
	ds_write_b32 v5, v26
	s_waitcnt lgkmcnt(1)
	v_fma_f32 v3, -v23, v9, v3
	ds_read_b128 v[5:8], v25 offset:16
	ds_read_b128 v[13:16], v25 offset:32
	;; [unrolled: 1-line block ×3, first 2 shown]
	v_fma_f32 v3, -v24, v10, v3
	v_fma_f32 v3, -v21, v11, v3
	v_fma_f32 v3, -v22, v12, v3
	s_waitcnt lgkmcnt(2)
	v_fma_f32 v3, -v37, v5, v3
	v_fma_f32 v3, -v38, v6, v3
	;; [unrolled: 1-line block ×4, first 2 shown]
	s_waitcnt lgkmcnt(1)
	v_fma_f32 v3, -v34, v13, v3
	v_fma_f32 v3, -v41, v14, v3
	;; [unrolled: 1-line block ×4, first 2 shown]
	ds_read_b128 v[5:8], v25 offset:64
	s_waitcnt lgkmcnt(1)
	v_fma_f32 v3, -v35, v17, v3
	v_fma_f32 v3, -v44, v18, v3
	;; [unrolled: 1-line block ×4, first 2 shown]
	s_waitcnt lgkmcnt(0)
	v_fma_f32 v3, -v29, v5, v3
	v_fma_f32 v3, -v32, v6, v3
	;; [unrolled: 1-line block ×4, first 2 shown]
	s_add_i32 s5, s11, 0x930
	v_mul_f32_e32 v25, v3, v30
	v_add_u32_e32 v3, s12, v33
	s_add_i32 s12, s4, s5
	v_mov_b32_e32 v27, s12
	ds_read_b128 v[5:8], v27
	ds_write_b32 v3, v25
	ds_read_b128 v[9:12], v27 offset:16
	ds_read_b128 v[13:16], v27 offset:32
	;; [unrolled: 1-line block ×3, first 2 shown]
	s_waitcnt lgkmcnt(4)
	v_fma_f32 v3, -v23, v5, v4
	v_fma_f32 v3, -v24, v6, v3
	v_fma_f32 v3, -v21, v7, v3
	v_fma_f32 v3, -v22, v8, v3
	s_waitcnt lgkmcnt(2)
	v_fma_f32 v3, -v37, v9, v3
	v_fma_f32 v3, -v38, v10, v3
	v_fma_f32 v3, -v39, v11, v3
	v_fma_f32 v3, -v40, v12, v3
	;; [unrolled: 5-line block ×3, first 2 shown]
	s_waitcnt lgkmcnt(0)
	v_fma_f32 v7, -v35, v17, v3
	ds_read_b128 v[3:6], v27 offset:64
	v_fma_f32 v7, -v44, v18, v7
	v_fma_f32 v7, -v45, v19, v7
	;; [unrolled: 1-line block ×3, first 2 shown]
	ds_read_b64 v[7:8], v27 offset:80
	s_waitcnt lgkmcnt(1)
	v_fma_f32 v3, -v29, v3, v9
	v_fma_f32 v3, -v32, v4, v3
	;; [unrolled: 1-line block ×4, first 2 shown]
	s_waitcnt lgkmcnt(0)
	v_fma_f32 v3, -v25, v7, v3
	v_add_u32_e32 v7, s5, v33
	s_add_i32 s5, s11, 0x9a0
	s_add_i32 s12, s4, s5
	v_mov_b32_e32 v20, s12
	v_mul_f32_e32 v19, v3, v8
	ds_read_b128 v[3:6], v20
	ds_write_b32 v7, v19
	ds_read_b128 v[7:10], v20 offset:16
	ds_read_b128 v[11:14], v20 offset:32
	;; [unrolled: 1-line block ×3, first 2 shown]
	s_addk_i32 s11, 0xa10
	s_add_i32 s4, s4, s11
	s_waitcnt lgkmcnt(4)
	v_fma_f32 v1, -v23, v3, v1
	v_fma_f32 v1, -v24, v4, v1
	v_fma_f32 v1, -v21, v5, v1
	v_fma_f32 v1, -v22, v6, v1
	s_waitcnt lgkmcnt(2)
	v_fma_f32 v1, -v37, v7, v1
	v_fma_f32 v1, -v38, v8, v1
	v_fma_f32 v1, -v39, v9, v1
	v_fma_f32 v1, -v40, v10, v1
	;; [unrolled: 5-line block ×3, first 2 shown]
	ds_read_b128 v[3:6], v20 offset:64
	ds_read_b96 v[7:9], v20 offset:80
	s_waitcnt lgkmcnt(2)
	v_fma_f32 v1, -v35, v15, v1
	v_fma_f32 v1, -v44, v16, v1
	v_fma_f32 v1, -v45, v17, v1
	v_fma_f32 v1, -v31, v18, v1
	s_waitcnt lgkmcnt(1)
	v_fma_f32 v1, -v29, v3, v1
	v_fma_f32 v1, -v32, v4, v1
	v_fma_f32 v1, -v36, v5, v1
	v_mov_b32_e32 v27, s4
	v_fma_f32 v1, -v26, v6, v1
	ds_read_b128 v[3:6], v27
	s_waitcnt lgkmcnt(1)
	v_fma_f32 v1, -v25, v7, v1
	v_fma_f32 v1, -v19, v8, v1
	v_mul_f32_e32 v20, v1, v9
	v_add_u32_e32 v1, s5, v33
	ds_write_b32 v1, v20
	s_waitcnt lgkmcnt(1)
	v_fma_f32 v1, -v23, v3, v2
	ds_read_b128 v[7:10], v27 offset:16
	ds_read_b128 v[11:14], v27 offset:32
	ds_read_b128 v[15:18], v27 offset:48
	v_fma_f32 v1, -v24, v4, v1
	v_fma_f32 v1, -v21, v5, v1
	v_fma_f32 v1, -v22, v6, v1
	s_waitcnt lgkmcnt(2)
	v_fma_f32 v1, -v37, v7, v1
	v_fma_f32 v1, -v38, v8, v1
	v_fma_f32 v1, -v39, v9, v1
	v_fma_f32 v1, -v40, v10, v1
	s_waitcnt lgkmcnt(1)
	v_fma_f32 v1, -v34, v11, v1
	;; [unrolled: 5-line block ×3, first 2 shown]
	ds_read_b128 v[1:4], v27 offset:64
	v_fma_f32 v5, -v44, v16, v5
	v_fma_f32 v5, -v45, v17, v5
	;; [unrolled: 1-line block ×3, first 2 shown]
	ds_read_b128 v[5:8], v27 offset:80
	s_waitcnt lgkmcnt(1)
	v_fma_f32 v1, -v29, v1, v9
	v_fma_f32 v1, -v32, v2, v1
	;; [unrolled: 1-line block ×4, first 2 shown]
	s_waitcnt lgkmcnt(0)
	v_fma_f32 v1, -v25, v5, v1
	v_fma_f32 v1, -v19, v6, v1
	;; [unrolled: 1-line block ×3, first 2 shown]
	v_mul_f32_e32 v1, v1, v8
	v_add_u32_e32 v2, s11, v33
	ds_write_b32 v2, v1
.LBB31_18:
	s_cmp_ge_i32 s8, s16
	s_cbranch_scc1 .LBB31_23
; %bb.19:
	v_mov_b32_e32 v1, 0xc40
	s_mul_i32 s4, s8, 0x70
	v_lshl_add_u32 v1, v0, 2, v1
	s_branch .LBB31_21
.LBB31_20:                              ;   in Loop: Header=BB31_21 Depth=1
	s_mul_i32 s5, s8, 0x74
	v_mov_b32_e32 v4, s5
	ds_read_b32 v4, v4
	s_add_i32 s8, s8, 1
	s_addk_i32 s4, 0x70
	s_cmp_ge_i32 s8, s16
	s_waitcnt lgkmcnt(0)
	v_mul_f32_e32 v3, v3, v4
	ds_write_b32 v2, v3
	s_cbranch_scc1 .LBB31_23
.LBB31_21:                              ; =>This Loop Header: Depth=1
                                        ;     Child Loop BB31_22 Depth 2
	s_mul_i32 s5, s8, 0x70
	v_add_u32_e32 v2, s5, v33
	ds_read_b32 v3, v2
	s_cmp_eq_u32 s8, 0
	v_mov_b32_e32 v4, v1
	s_mov_b32 s5, s8
	s_mov_b32 s11, s4
	s_cbranch_scc1 .LBB31_20
.LBB31_22:                              ;   Parent Loop BB31_21 Depth=1
                                        ; =>  This Inner Loop Header: Depth=2
	v_mov_b32_e32 v6, s11
	ds_read_b32 v5, v4
	ds_read_b32 v6, v6
	s_add_i32 s11, s11, 4
	s_add_i32 s5, s5, -1
	v_add_u32_e32 v4, 0x70, v4
	s_cmp_lg_u32 s5, 0
	s_waitcnt lgkmcnt(0)
	v_fma_f32 v3, -v5, v6, v3
	s_cbranch_scc1 .LBB31_22
	s_branch .LBB31_20
.LBB31_23:
	s_mov_b64 s[4:5], 0
.LBB31_24:
	s_and_b64 vcc, exec, s[4:5]
	s_cbranch_vccz .LBB31_104
; %bb.25:
	s_add_i32 s8, s16, -1
	s_cmp_gt_i32 s10, 27
	s_cbranch_scc0 .LBB31_81
; %bb.26:
	v_add_u32_e32 v1, 0x800, v33
	v_add_u32_e32 v4, 0x600, v33
	ds_read2_b32 v[2:3], v1 offset0:160 offset1:188
	ds_read2_b32 v[6:7], v1 offset0:104 offset1:132
	;; [unrolled: 1-line block ×5, first 2 shown]
	v_add_u32_e32 v1, 0x400, v33
	ds_read2_b32 v[12:13], v1 offset0:192 offset1:220
	ds_read2_b32 v[14:15], v1 offset0:136 offset1:164
	;; [unrolled: 1-line block ×5, first 2 shown]
	v_mov_b32_e32 v1, 0
	ds_read2_b32 v[22:23], v33 offset0:168 offset1:196
	ds_read2_b32 v[24:25], v33 offset0:112 offset1:140
	;; [unrolled: 1-line block ×3, first 2 shown]
	ds_read2_b32 v[28:29], v33 offset1:28
	ds_read_b32 v1, v1 offset:3132
	s_waitcnt lgkmcnt(14)
	v_mov_b32_e32 v4, v2
	s_waitcnt lgkmcnt(13)
	v_mov_b32_e32 v5, v7
	;; [unrolled: 2-line block ×13, first 2 shown]
	s_waitcnt lgkmcnt(0)
	v_mul_f32_e32 v1, v31, v1
	s_mov_b64 s[4:5], 0
	s_movk_i32 s10, 0xc38
	v_mov_b32_e32 v2, v30
	ds_write_b32 v33, v1 offset:3024
.LBB31_27:                              ; =>This Inner Loop Header: Depth=1
	s_set_gpr_idx_on s4, gpr_idx(SRC0)
	v_mov_b32_e32 v29, v1
	s_set_gpr_idx_off
	v_mov_b32_e32 v30, s10
	ds_read_b32 v30, v30
	s_add_u32 s4, s4, 1
	s_addc_u32 s5, s5, 0
	s_addk_i32 s10, 0xff90
	s_cmp_lg_u32 s4, 1
	s_waitcnt lgkmcnt(0)
	v_fma_f32 v2, -v29, v30, v2
	s_cbranch_scc1 .LBB31_27
; %bb.28:
	v_mov_b32_e32 v29, 0
	ds_read_b32 v29, v29 offset:3016
	s_mov_b64 s[4:5], 0
	s_movk_i32 s10, 0xc34
	s_waitcnt lgkmcnt(0)
	v_mul_f32_e32 v2, v2, v29
	ds_write_b32 v33, v2 offset:2912
.LBB31_29:                              ; =>This Inner Loop Header: Depth=1
	s_set_gpr_idx_on s4, gpr_idx(SRC0)
	v_mov_b32_e32 v29, v1
	s_set_gpr_idx_off
	v_mov_b32_e32 v30, s10
	ds_read_b32 v30, v30
	s_add_u32 s4, s4, 1
	s_addc_u32 s5, s5, 0
	s_addk_i32 s10, 0xff90
	s_cmp_lg_u32 s4, 2
	s_waitcnt lgkmcnt(0)
	v_fma_f32 v3, -v29, v30, v3
	s_cbranch_scc1 .LBB31_29
; %bb.30:
	v_mov_b32_e32 v29, 0
	ds_read_b32 v29, v29 offset:2900
	s_mov_b64 s[4:5], 0
	s_movk_i32 s10, 0xc30
	s_waitcnt lgkmcnt(0)
	v_mul_f32_e32 v3, v3, v29
	;; [unrolled: 21-line block ×26, first 2 shown]
	ds_write_b32 v33, v27 offset:112
.LBB31_79:                              ; =>This Inner Loop Header: Depth=1
	s_set_gpr_idx_on s4, gpr_idx(SRC0)
	v_mov_b32_e32 v29, v1
	s_set_gpr_idx_off
	v_mov_b32_e32 v30, s10
	ds_read_b32 v30, v30
	s_add_u32 s4, s4, 1
	s_addc_u32 s5, s5, 0
	s_addk_i32 s10, 0xff90
	s_cmp_lg_u32 s4, 27
	s_waitcnt lgkmcnt(0)
	v_fma_f32 v28, -v29, v30, v28
	s_cbranch_scc1 .LBB31_79
; %bb.80:
	v_mov_b32_e32 v1, 0
	ds_read_b32 v1, v1
	s_mov_b32 s4, -1
	s_waitcnt lgkmcnt(0)
	v_mul_f32_e32 v1, v28, v1
	ds_write_b32 v33, v1
	s_cmp_gt_i32 s4, -1
	s_cbranch_scc1 .LBB31_82
	s_branch .LBB31_104
.LBB31_81:
	s_mov_b32 s4, s8
	s_cmp_gt_i32 s4, -1
	s_cbranch_scc0 .LBB31_104
.LBB31_82:
	s_cmp_lt_u32 s4, 23
	s_cbranch_scc1 .LBB31_87
; %bb.83:
	s_mul_i32 s5, s4, 0x70
	v_add_u32_e32 v5, s5, v33
	v_add_u32_e32 v1, 0xffffff90, v5
	v_add_u32_e32 v2, 0xffffff20, v5
	v_add_u32_e32 v3, 0xfffffeb0, v5
	v_add_u32_e32 v8, 0xfffffe40, v5
	v_add_u32_e32 v9, 0xfffffdd0, v5
	v_add_u32_e32 v10, 0xfffffd60, v5
	v_add_u32_e32 v12, 0xfffffcf0, v5
	ds_read_b32 v4, v5
	ds_read_b32 v25, v1
	ds_read_b32 v6, v2
	ds_read_b32 v7, v3
	ds_read_b32 v8, v8
	ds_read_b32 v9, v9
	ds_read_b32 v11, v10
	ds_read_b32 v12, v12
	v_add_u32_e32 v1, 0xfffffc80, v5
	v_add_u32_e32 v2, 0xfffffc10, v5
	v_add_u32_e32 v3, 0xfffffba0, v5
	v_add_u32_e32 v10, 0xfffffb30, v5
	v_add_u32_e32 v13, 0xfffffac0, v5
	v_add_u32_e32 v16, 0xfffffa50, v5
	v_add_u32_e32 v17, 0xfffff9e0, v5
	v_add_u32_e32 v21, 0xfffff970, v5
	ds_read_b32 v14, v1
	ds_read_b32 v15, v2
	ds_read_b32 v18, v3
	ds_read_b32 v19, v10
	ds_read_b32 v20, v13
	ds_read_b32 v22, v16
	ds_read_b32 v24, v17
	ds_read_b32 v23, v21
	;; [unrolled: 16-line block ×3, first 2 shown]
	s_cmp_le_i32 s8, s4
	s_cbranch_scc1 .LBB31_86
; %bb.84:
	s_mul_i32 s10, s16, 0x70
	s_lshl_b32 s11, s4, 2
	v_lshl_add_u32 v26, v0, 2, s10
	s_add_i32 s10, s10, s11
	v_add_u32_e32 v26, 0xbd0, v26
	s_addk_i32 s10, 0xff34
	s_mov_b32 s11, s8
.LBB31_85:                              ; =>This Inner Loop Header: Depth=1
	v_mov_b32_e32 v50, s10
	ds_read_b32 v52, v26
	ds_read2_b32 v[27:28], v50 offset0:22 offset1:23
	ds_read2_b32 v[29:30], v50 offset0:20 offset1:21
	;; [unrolled: 1-line block ×11, first 2 shown]
	ds_read2_b32 v[50:51], v50 offset1:1
	s_add_i32 s11, s11, -1
	s_addk_i32 s10, 0xff90
	v_add_u32_e32 v26, 0xffffff90, v26
	s_cmp_gt_i32 s11, s4
	s_waitcnt lgkmcnt(11)
	v_fma_f32 v4, -v52, v28, v4
	v_fma_f32 v25, -v52, v27, v25
	s_waitcnt lgkmcnt(10)
	v_fma_f32 v6, -v52, v30, v6
	v_fma_f32 v7, -v52, v29, v7
	s_waitcnt lgkmcnt(9)
	v_fma_f32 v8, -v52, v32, v8
	v_fma_f32 v9, -v52, v31, v9
	s_waitcnt lgkmcnt(8)
	v_fma_f32 v11, -v52, v35, v11
	v_fma_f32 v12, -v52, v34, v12
	s_waitcnt lgkmcnt(7)
	v_fma_f32 v14, -v52, v37, v14
	v_fma_f32 v15, -v52, v36, v15
	s_waitcnt lgkmcnt(6)
	v_fma_f32 v18, -v52, v39, v18
	v_fma_f32 v19, -v52, v38, v19
	s_waitcnt lgkmcnt(5)
	v_fma_f32 v20, -v52, v41, v20
	v_fma_f32 v22, -v52, v40, v22
	s_waitcnt lgkmcnt(4)
	v_fma_f32 v24, -v52, v43, v24
	v_fma_f32 v23, -v52, v42, v23
	s_waitcnt lgkmcnt(3)
	v_fma_f32 v21, -v52, v45, v21
	v_fma_f32 v17, -v52, v44, v17
	s_waitcnt lgkmcnt(2)
	v_fma_f32 v16, -v52, v47, v16
	v_fma_f32 v13, -v52, v46, v13
	s_waitcnt lgkmcnt(1)
	v_fma_f32 v10, -v52, v49, v10
	v_fma_f32 v3, -v52, v48, v3
	s_waitcnt lgkmcnt(0)
	v_fma_f32 v2, -v52, v51, v2
	v_fma_f32 v1, -v52, v50, v1
	s_cbranch_scc1 .LBB31_85
.LBB31_86:
	s_lshl_b32 s10, s4, 2
	s_add_i32 s11, s10, -4
	s_add_i32 s11, s11, s5
	v_mov_b32_e32 v26, s11
	ds_read2_b32 v[26:27], v26 offset1:1
	s_addk_i32 s11, 0xff90
	v_mov_b32_e32 v28, s11
	s_add_i32 s11, s5, 0xffffff90
	s_add_i32 s13, s10, -12
	s_add_i32 s14, s13, s5
	s_add_i32 s12, s13, s11
	v_mov_b32_e32 v29, s14
	v_mov_b32_e32 v30, s12
	ds_read_b32 v32, v28
	ds_read2_b32 v[28:29], v29 offset1:1
	ds_read2_b32 v[30:31], v30 offset1:1
	s_waitcnt lgkmcnt(3)
	v_mul_f32_e32 v4, v4, v27
	ds_write_b32 v5, v4
	v_fma_f32 v5, -v4, v26, v25
	s_add_i32 s12, s5, 0xffffff20
	s_waitcnt lgkmcnt(3)
	v_mul_f32_e32 v5, v5, v32
	v_add_u32_e32 v25, s11, v33
	s_add_i32 s13, s13, s12
	ds_write_b32 v25, v5
	v_mov_b32_e32 v25, s13
	ds_read2_b32 v[25:26], v25 offset1:1
	s_add_i32 s13, s14, 0xfffffeb0
	s_sub_i32 s15, s10, 20
	v_mov_b32_e32 v27, s13
	s_add_i32 s13, s15, s11
	s_waitcnt lgkmcnt(4)
	v_fma_f32 v6, -v4, v29, v6
	s_add_i32 s17, s15, s5
	v_mov_b32_e32 v34, s13
	s_waitcnt lgkmcnt(3)
	v_fma_f32 v6, -v5, v31, v6
	v_mov_b32_e32 v29, s17
	ds_read_b32 v27, v27
	ds_read2_b32 v[31:32], v29 offset1:1
	ds_read2_b32 v[34:35], v34 offset1:1
	v_fma_f32 v7, -v4, v28, v7
	s_waitcnt lgkmcnt(3)
	v_mul_f32_e32 v6, v6, v26
	v_fma_f32 v7, -v5, v30, v7
	v_fma_f32 v7, -v6, v25, v7
	s_add_i32 s13, s5, 0xfffffeb0
	s_waitcnt lgkmcnt(2)
	v_mul_f32_e32 v7, v7, v27
	v_add_u32_e32 v25, s13, v33
	s_add_i32 s14, s15, s12
	ds_write_b32 v25, v7
	v_mov_b32_e32 v25, s14
	s_add_i32 s14, s15, s13
	v_mov_b32_e32 v27, s14
	s_add_i32 s14, s5, 0xfffffe40
	v_add_u32_e32 v26, s12, v33
	s_add_i32 s15, s15, s14
	ds_write_b32 v26, v6
	v_mov_b32_e32 v29, s15
	ds_read2_b32 v[25:26], v25 offset1:1
	ds_read2_b32 v[27:28], v27 offset1:1
	;; [unrolled: 1-line block ×3, first 2 shown]
	s_waitcnt lgkmcnt(6)
	v_fma_f32 v8, -v4, v32, v8
	s_add_i32 s15, s17, 0xfffffdd0
	s_waitcnt lgkmcnt(5)
	v_fma_f32 v8, -v5, v35, v8
	v_mov_b32_e32 v32, s15
	v_fma_f32 v9, -v4, v31, v9
	ds_read_b32 v32, v32
	s_waitcnt lgkmcnt(3)
	v_fma_f32 v8, -v6, v26, v8
	v_fma_f32 v9, -v5, v34, v9
	s_sub_i32 s18, s10, 28
	s_waitcnt lgkmcnt(2)
	v_fma_f32 v8, -v7, v28, v8
	v_fma_f32 v9, -v6, v25, v9
	s_add_i32 s17, s18, s11
	s_waitcnt lgkmcnt(1)
	v_mul_f32_e32 v8, v8, v30
	v_fma_f32 v9, -v7, v27, v9
	v_mov_b32_e32 v27, s17
	s_add_i32 s17, s18, s12
	v_add_u32_e32 v26, s14, v33
	v_fma_f32 v9, -v8, v29, v9
	s_add_i32 s19, s18, s5
	v_mov_b32_e32 v29, s17
	s_add_i32 s17, s18, s13
	ds_write_b32 v26, v8
	v_mov_b32_e32 v25, s19
	v_mov_b32_e32 v31, s17
	s_waitcnt lgkmcnt(1)
	v_mul_f32_e32 v9, v9, v32
	ds_read2_b32 v[25:26], v25 offset1:1
	ds_read2_b32 v[27:28], v27 offset1:1
	;; [unrolled: 1-line block ×4, first 2 shown]
	s_add_i32 s15, s5, 0xfffffdd0
	s_add_i32 s17, s18, s14
	s_waitcnt lgkmcnt(3)
	v_fma_f32 v11, -v4, v26, v11
	v_mov_b32_e32 v26, s17
	s_add_i32 s17, s18, s15
	v_add_u32_e32 v34, s15, v33
	s_waitcnt lgkmcnt(2)
	v_fma_f32 v11, -v5, v28, v11
	v_mov_b32_e32 v28, s17
	s_add_i32 s17, s5, 0xfffffd60
	ds_write_b32 v34, v9
	s_add_i32 s18, s18, s17
	s_waitcnt lgkmcnt(2)
	v_fma_f32 v11, -v6, v30, v11
	v_mov_b32_e32 v30, s18
	ds_read2_b32 v[34:35], v26 offset1:1
	ds_read2_b32 v[36:37], v28 offset1:1
	;; [unrolled: 1-line block ×3, first 2 shown]
	s_add_i32 s18, s19, 0xfffffcf0
	v_fma_f32 v12, -v4, v25, v12
	v_mov_b32_e32 v26, s18
	v_fma_f32 v12, -v5, v27, v12
	s_waitcnt lgkmcnt(4)
	v_fma_f32 v11, -v7, v32, v11
	ds_read_b32 v26, v26
	v_fma_f32 v12, -v6, v29, v12
	s_waitcnt lgkmcnt(3)
	v_fma_f32 v11, -v8, v35, v11
	v_fma_f32 v12, -v7, v31, v12
	s_waitcnt lgkmcnt(2)
	v_fma_f32 v11, -v9, v37, v11
	v_fma_f32 v12, -v8, v34, v12
	s_waitcnt lgkmcnt(1)
	v_mul_f32_e32 v11, v11, v39
	v_fma_f32 v12, -v9, v36, v12
	s_sub_i32 s20, s10, 36
	v_fma_f32 v12, -v11, v38, v12
	s_add_i32 s18, s5, 0xfffffcf0
	s_add_i32 s19, s20, s11
	v_add_u32_e32 v28, s17, v33
	s_waitcnt lgkmcnt(0)
	v_mul_f32_e32 v12, v12, v26
	v_add_u32_e32 v25, s18, v33
	s_add_i32 s21, s20, s5
	v_mov_b32_e32 v27, s19
	s_add_i32 s19, s20, s12
	ds_write_b32 v28, v11
	ds_write_b32 v25, v12
	v_mov_b32_e32 v25, s21
	v_mov_b32_e32 v29, s19
	ds_read2_b32 v[25:26], v25 offset1:1
	ds_read2_b32 v[27:28], v27 offset1:1
	ds_read2_b32 v[29:30], v29 offset1:1
	s_add_i32 s19, s20, s13
	v_mov_b32_e32 v31, s19
	s_add_i32 s19, s20, s14
	ds_read2_b32 v[31:32], v31 offset1:1
	s_waitcnt lgkmcnt(3)
	v_fma_f32 v14, -v4, v26, v14
	v_mov_b32_e32 v26, s19
	s_add_i32 s19, s20, s15
	s_waitcnt lgkmcnt(2)
	v_fma_f32 v14, -v5, v28, v14
	v_mov_b32_e32 v28, s19
	s_add_i32 s19, s20, s17
	s_waitcnt lgkmcnt(1)
	v_fma_f32 v14, -v6, v30, v14
	v_mov_b32_e32 v30, s19
	s_add_i32 s19, s20, s18
	v_mov_b32_e32 v40, s19
	ds_read2_b32 v[34:35], v26 offset1:1
	ds_read2_b32 v[36:37], v28 offset1:1
	;; [unrolled: 1-line block ×4, first 2 shown]
	s_waitcnt lgkmcnt(4)
	v_fma_f32 v14, -v7, v32, v14
	s_waitcnt lgkmcnt(3)
	v_fma_f32 v14, -v8, v35, v14
	s_add_i32 s19, s5, 0xfffffc80
	s_waitcnt lgkmcnt(2)
	v_fma_f32 v14, -v9, v37, v14
	s_add_i32 s20, s20, s19
	v_fma_f32 v15, -v4, v25, v15
	s_waitcnt lgkmcnt(1)
	v_fma_f32 v14, -v11, v39, v14
	v_mov_b32_e32 v26, s20
	v_fma_f32 v15, -v5, v27, v15
	s_waitcnt lgkmcnt(0)
	v_fma_f32 v14, -v12, v41, v14
	ds_read2_b32 v[41:42], v26 offset1:1
	v_fma_f32 v15, -v6, v29, v15
	v_fma_f32 v15, -v7, v31, v15
	s_add_i32 s20, s21, 0xfffffc10
	s_sub_i32 s22, s10, 44
	v_fma_f32 v15, -v8, v34, v15
	v_mov_b32_e32 v26, s20
	s_add_i32 s23, s22, s5
	s_add_i32 s20, s22, s11
	v_fma_f32 v15, -v9, v36, v15
	v_mov_b32_e32 v28, s23
	v_mov_b32_e32 v30, s20
	ds_read_b32 v26, v26
	ds_read2_b32 v[43:44], v28 offset1:1
	ds_read2_b32 v[45:46], v30 offset1:1
	v_fma_f32 v15, -v11, v38, v15
	s_waitcnt lgkmcnt(3)
	v_mul_f32_e32 v14, v14, v42
	v_fma_f32 v15, -v12, v40, v15
	v_fma_f32 v15, -v14, v41, v15
	s_add_i32 s20, s5, 0xfffffc10
	s_waitcnt lgkmcnt(2)
	v_mul_f32_e32 v15, v15, v26
	v_add_u32_e32 v25, s20, v33
	s_add_i32 s21, s22, s12
	ds_write_b32 v25, v15
	v_mov_b32_e32 v25, s21
	s_add_i32 s21, s22, s13
	v_add_u32_e32 v28, s19, v33
	v_mov_b32_e32 v27, s21
	s_add_i32 s21, s22, s14
	ds_write_b32 v28, v14
	v_mov_b32_e32 v29, s21
	ds_read2_b32 v[25:26], v25 offset1:1
	ds_read2_b32 v[27:28], v27 offset1:1
	;; [unrolled: 1-line block ×3, first 2 shown]
	s_waitcnt lgkmcnt(6)
	v_fma_f32 v18, -v4, v44, v18
	s_add_i32 s21, s22, s15
	s_waitcnt lgkmcnt(5)
	v_fma_f32 v18, -v5, v46, v18
	v_mov_b32_e32 v31, s21
	s_add_i32 s21, s22, s17
	ds_read2_b32 v[31:32], v31 offset1:1
	s_waitcnt lgkmcnt(3)
	v_fma_f32 v18, -v6, v26, v18
	v_mov_b32_e32 v26, s21
	s_add_i32 s21, s22, s18
	s_waitcnt lgkmcnt(2)
	v_fma_f32 v18, -v7, v28, v18
	v_mov_b32_e32 v28, s21
	s_add_i32 s21, s22, s19
	;; [unrolled: 4-line block ×3, first 2 shown]
	v_mov_b32_e32 v40, s21
	ds_read2_b32 v[34:35], v26 offset1:1
	ds_read2_b32 v[36:37], v28 offset1:1
	;; [unrolled: 1-line block ×4, first 2 shown]
	s_waitcnt lgkmcnt(4)
	v_fma_f32 v18, -v9, v32, v18
	v_fma_f32 v19, -v4, v43, v19
	s_waitcnt lgkmcnt(3)
	v_fma_f32 v18, -v11, v35, v18
	s_add_i32 s21, s5, 0xfffffba0
	v_fma_f32 v19, -v5, v45, v19
	s_waitcnt lgkmcnt(2)
	v_fma_f32 v18, -v12, v37, v18
	s_add_i32 s22, s22, s21
	v_fma_f32 v19, -v6, v25, v19
	s_waitcnt lgkmcnt(1)
	v_fma_f32 v18, -v14, v39, v18
	v_mov_b32_e32 v26, s22
	v_fma_f32 v19, -v7, v27, v19
	s_waitcnt lgkmcnt(0)
	v_fma_f32 v18, -v15, v41, v18
	ds_read2_b32 v[41:42], v26 offset1:1
	v_fma_f32 v19, -v8, v29, v19
	v_fma_f32 v19, -v9, v31, v19
	s_add_i32 s22, s23, 0xfffffb30
	s_sub_i32 s24, s10, 52
	v_fma_f32 v19, -v11, v34, v19
	v_mov_b32_e32 v26, s22
	s_add_i32 s25, s24, s5
	s_add_i32 s22, s24, s11
	v_fma_f32 v19, -v12, v36, v19
	v_mov_b32_e32 v28, s25
	v_mov_b32_e32 v30, s22
	ds_read_b32 v26, v26
	ds_read2_b32 v[46:47], v28 offset1:1
	ds_read2_b32 v[48:49], v30 offset1:1
	v_fma_f32 v19, -v14, v38, v19
	s_waitcnt lgkmcnt(3)
	v_mul_f32_e32 v18, v18, v42
	v_fma_f32 v19, -v15, v40, v19
	v_fma_f32 v19, -v18, v41, v19
	s_add_i32 s22, s5, 0xfffffb30
	s_waitcnt lgkmcnt(2)
	v_mul_f32_e32 v19, v19, v26
	v_add_u32_e32 v25, s22, v33
	s_add_i32 s23, s24, s12
	ds_write_b32 v25, v19
	v_mov_b32_e32 v25, s23
	s_add_i32 s23, s24, s13
	v_add_u32_e32 v28, s21, v33
	v_mov_b32_e32 v27, s23
	s_add_i32 s23, s24, s14
	ds_write_b32 v28, v18
	v_mov_b32_e32 v29, s23
	ds_read2_b32 v[25:26], v25 offset1:1
	ds_read2_b32 v[27:28], v27 offset1:1
	;; [unrolled: 1-line block ×3, first 2 shown]
	s_waitcnt lgkmcnt(6)
	v_fma_f32 v20, -v4, v47, v20
	s_add_i32 s23, s24, s15
	s_waitcnt lgkmcnt(5)
	v_fma_f32 v20, -v5, v49, v20
	v_mov_b32_e32 v31, s23
	s_add_i32 s23, s24, s17
	ds_read2_b32 v[31:32], v31 offset1:1
	s_waitcnt lgkmcnt(3)
	v_fma_f32 v20, -v6, v26, v20
	v_mov_b32_e32 v26, s23
	s_add_i32 s23, s24, s18
	s_waitcnt lgkmcnt(2)
	v_fma_f32 v20, -v7, v28, v20
	v_mov_b32_e32 v28, s23
	s_add_i32 s23, s24, s19
	;; [unrolled: 4-line block ×3, first 2 shown]
	v_mov_b32_e32 v40, s23
	v_fma_f32 v22, -v4, v46, v22
	ds_read2_b32 v[34:35], v26 offset1:1
	ds_read2_b32 v[36:37], v28 offset1:1
	;; [unrolled: 1-line block ×4, first 2 shown]
	v_fma_f32 v22, -v5, v48, v22
	s_waitcnt lgkmcnt(4)
	v_fma_f32 v20, -v9, v32, v20
	s_add_i32 s23, s24, s21
	v_fma_f32 v22, -v6, v25, v22
	s_waitcnt lgkmcnt(3)
	v_fma_f32 v20, -v11, v35, v20
	v_mov_b32_e32 v26, s23
	s_add_i32 s23, s24, s22
	v_fma_f32 v22, -v7, v27, v22
	s_waitcnt lgkmcnt(2)
	v_fma_f32 v20, -v12, v37, v20
	v_mov_b32_e32 v28, s23
	s_add_i32 s23, s5, 0xfffffac0
	v_fma_f32 v22, -v8, v29, v22
	s_waitcnt lgkmcnt(1)
	v_fma_f32 v20, -v14, v39, v20
	s_add_i32 s24, s24, s23
	v_fma_f32 v22, -v9, v31, v22
	s_waitcnt lgkmcnt(0)
	v_fma_f32 v20, -v15, v41, v20
	v_mov_b32_e32 v30, s24
	ds_read2_b32 v[41:42], v26 offset1:1
	ds_read2_b32 v[43:44], v28 offset1:1
	;; [unrolled: 1-line block ×3, first 2 shown]
	s_add_i32 s24, s25, 0xfffffa50
	v_fma_f32 v22, -v11, v34, v22
	v_mov_b32_e32 v26, s24
	v_fma_f32 v22, -v12, v36, v22
	ds_read_b32 v26, v26
	v_fma_f32 v22, -v14, v38, v22
	s_sub_i32 s26, s10, 60
	s_waitcnt lgkmcnt(3)
	v_fma_f32 v20, -v18, v42, v20
	v_fma_f32 v22, -v15, v40, v22
	s_add_i32 s25, s26, s11
	s_waitcnt lgkmcnt(2)
	v_fma_f32 v20, -v19, v44, v20
	v_fma_f32 v22, -v18, v41, v22
	v_mov_b32_e32 v27, s25
	s_add_i32 s25, s26, s12
	s_waitcnt lgkmcnt(1)
	v_mul_f32_e32 v20, v20, v50
	v_add_u32_e32 v28, s23, v33
	v_fma_f32 v22, -v19, v43, v22
	s_add_i32 s27, s26, s5
	v_mov_b32_e32 v29, s25
	s_add_i32 s25, s26, s13
	ds_write_b32 v28, v20
	v_fma_f32 v22, -v20, v49, v22
	v_mov_b32_e32 v25, s27
	v_mov_b32_e32 v31, s25
	s_waitcnt lgkmcnt(1)
	v_mul_f32_e32 v22, v22, v26
	ds_read2_b32 v[25:26], v25 offset1:1
	ds_read2_b32 v[27:28], v27 offset1:1
	;; [unrolled: 1-line block ×4, first 2 shown]
	s_add_i32 s25, s26, s14
	s_add_i32 s24, s5, 0xfffffa50
	s_waitcnt lgkmcnt(3)
	v_fma_f32 v24, -v4, v26, v24
	v_mov_b32_e32 v26, s25
	s_add_i32 s25, s26, s15
	v_add_u32_e32 v34, s24, v33
	s_waitcnt lgkmcnt(2)
	v_fma_f32 v24, -v5, v28, v24
	v_mov_b32_e32 v28, s25
	s_add_i32 s25, s26, s17
	ds_write_b32 v34, v22
	s_waitcnt lgkmcnt(2)
	v_fma_f32 v24, -v6, v30, v24
	v_mov_b32_e32 v30, s25
	s_add_i32 s25, s26, s18
	ds_read2_b32 v[34:35], v26 offset1:1
	ds_read2_b32 v[36:37], v28 offset1:1
	ds_read2_b32 v[38:39], v30 offset1:1
	v_mov_b32_e32 v26, s25
	ds_read2_b32 v[40:41], v26 offset1:1
	s_add_i32 s25, s26, s19
	s_waitcnt lgkmcnt(5)
	v_fma_f32 v24, -v7, v32, v24
	v_mov_b32_e32 v26, s25
	s_add_i32 s25, s26, s20
	v_fma_f32 v23, -v4, v25, v23
	s_waitcnt lgkmcnt(3)
	v_fma_f32 v24, -v8, v35, v24
	v_mov_b32_e32 v28, s25
	s_add_i32 s25, s26, s21
	v_fma_f32 v23, -v5, v27, v23
	;; [unrolled: 5-line block ×3, first 2 shown]
	s_waitcnt lgkmcnt(1)
	v_fma_f32 v24, -v11, v39, v24
	v_mov_b32_e32 v32, s25
	ds_read2_b32 v[42:43], v26 offset1:1
	ds_read2_b32 v[44:45], v28 offset1:1
	;; [unrolled: 1-line block ×4, first 2 shown]
	v_fma_f32 v23, -v7, v31, v23
	s_waitcnt lgkmcnt(4)
	v_fma_f32 v24, -v12, v41, v24
	s_add_i32 s25, s26, s23
	v_fma_f32 v23, -v8, v34, v23
	s_waitcnt lgkmcnt(3)
	v_fma_f32 v24, -v14, v43, v24
	v_mov_b32_e32 v26, s25
	s_add_i32 s25, s26, s24
	v_fma_f32 v23, -v9, v36, v23
	s_waitcnt lgkmcnt(2)
	v_fma_f32 v24, -v15, v45, v24
	v_mov_b32_e32 v28, s25
	s_add_i32 s25, s5, 0xfffff9e0
	v_fma_f32 v23, -v11, v38, v23
	s_waitcnt lgkmcnt(1)
	v_fma_f32 v24, -v18, v47, v24
	s_add_i32 s26, s26, s25
	v_fma_f32 v23, -v12, v40, v23
	s_waitcnt lgkmcnt(0)
	v_fma_f32 v24, -v19, v49, v24
	v_mov_b32_e32 v30, s26
	ds_read2_b32 v[49:50], v26 offset1:1
	ds_read2_b32 v[51:52], v28 offset1:1
	;; [unrolled: 1-line block ×3, first 2 shown]
	s_add_i32 s26, s27, 0xfffff970
	v_fma_f32 v23, -v14, v42, v23
	v_mov_b32_e32 v26, s26
	v_fma_f32 v23, -v15, v44, v23
	ds_read_b32 v26, v26
	v_fma_f32 v23, -v18, v46, v23
	s_waitcnt lgkmcnt(3)
	v_fma_f32 v24, -v20, v50, v24
	v_fma_f32 v23, -v19, v48, v23
	s_waitcnt lgkmcnt(2)
	v_fma_f32 v24, -v22, v52, v24
	v_fma_f32 v23, -v20, v49, v23
	s_waitcnt lgkmcnt(1)
	v_mul_f32_e32 v24, v24, v54
	v_fma_f32 v23, -v22, v51, v23
	s_add_i32 s28, s10, 0xffffffbc
	v_fma_f32 v23, -v24, v53, v23
	s_add_i32 s26, s5, 0xfffff970
	s_add_i32 s27, s28, s11
	v_add_u32_e32 v28, s25, v33
	s_waitcnt lgkmcnt(0)
	v_mul_f32_e32 v23, v23, v26
	v_add_u32_e32 v25, s26, v33
	s_add_i32 s29, s28, s5
	v_mov_b32_e32 v27, s27
	s_add_i32 s27, s28, s12
	ds_write_b32 v28, v24
	ds_write_b32 v25, v23
	v_mov_b32_e32 v25, s29
	v_mov_b32_e32 v29, s27
	ds_read2_b32 v[25:26], v25 offset1:1
	ds_read2_b32 v[27:28], v27 offset1:1
	;; [unrolled: 1-line block ×3, first 2 shown]
	s_add_i32 s27, s28, s13
	v_mov_b32_e32 v31, s27
	s_add_i32 s27, s28, s14
	ds_read2_b32 v[31:32], v31 offset1:1
	s_waitcnt lgkmcnt(3)
	v_fma_f32 v21, -v4, v26, v21
	v_mov_b32_e32 v26, s27
	s_add_i32 s27, s28, s15
	s_waitcnt lgkmcnt(2)
	v_fma_f32 v21, -v5, v28, v21
	v_mov_b32_e32 v28, s27
	s_add_i32 s27, s28, s17
	;; [unrolled: 4-line block ×3, first 2 shown]
	v_mov_b32_e32 v40, s27
	ds_read2_b32 v[34:35], v26 offset1:1
	ds_read2_b32 v[36:37], v28 offset1:1
	;; [unrolled: 1-line block ×4, first 2 shown]
	s_waitcnt lgkmcnt(4)
	v_fma_f32 v21, -v7, v32, v21
	s_add_i32 s27, s28, s19
	s_waitcnt lgkmcnt(3)
	v_fma_f32 v21, -v8, v35, v21
	v_mov_b32_e32 v26, s27
	s_add_i32 s27, s28, s20
	s_waitcnt lgkmcnt(2)
	v_fma_f32 v21, -v9, v37, v21
	v_mov_b32_e32 v28, s27
	s_add_i32 s27, s28, s21
	s_waitcnt lgkmcnt(1)
	v_fma_f32 v21, -v11, v39, v21
	v_mov_b32_e32 v30, s27
	s_add_i32 s27, s28, s22
	s_waitcnt lgkmcnt(0)
	v_fma_f32 v21, -v12, v41, v21
	ds_read2_b32 v[41:42], v26 offset1:1
	ds_read2_b32 v[43:44], v28 offset1:1
	ds_read2_b32 v[45:46], v30 offset1:1
	v_mov_b32_e32 v26, s27
	v_fma_f32 v17, -v4, v25, v17
	ds_read2_b32 v[47:48], v26 offset1:1
	s_add_i32 s27, s28, s23
	v_fma_f32 v17, -v5, v27, v17
	v_mov_b32_e32 v26, s27
	s_add_i32 s27, s28, s24
	v_fma_f32 v17, -v6, v29, v17
	s_waitcnt lgkmcnt(3)
	v_fma_f32 v21, -v14, v42, v21
	v_mov_b32_e32 v28, s27
	s_add_i32 s27, s28, s25
	v_fma_f32 v17, -v7, v31, v17
	s_waitcnt lgkmcnt(2)
	v_fma_f32 v21, -v15, v44, v21
	v_mov_b32_e32 v30, s27
	s_add_i32 s27, s28, s26
	v_fma_f32 v17, -v8, v34, v17
	s_waitcnt lgkmcnt(1)
	v_fma_f32 v21, -v18, v46, v21
	v_mov_b32_e32 v32, s27
	ds_read2_b32 v[49:50], v26 offset1:1
	ds_read2_b32 v[51:52], v28 offset1:1
	;; [unrolled: 1-line block ×4, first 2 shown]
	v_fma_f32 v17, -v9, v36, v17
	s_waitcnt lgkmcnt(4)
	v_fma_f32 v21, -v19, v48, v21
	v_fma_f32 v17, -v11, v38, v17
	s_waitcnt lgkmcnt(3)
	v_fma_f32 v21, -v20, v50, v21
	s_add_i32 s27, s5, 0xfffff900
	v_fma_f32 v17, -v12, v40, v17
	s_waitcnt lgkmcnt(2)
	v_fma_f32 v21, -v22, v52, v21
	s_add_i32 s28, s28, s27
	v_fma_f32 v17, -v14, v41, v17
	s_waitcnt lgkmcnt(1)
	v_fma_f32 v21, -v24, v54, v21
	v_mov_b32_e32 v26, s28
	s_add_i32 s28, s29, 0xfffff890
	s_add_i32 s30, s10, 0xffffffb4
	v_fma_f32 v17, -v15, v43, v17
	s_waitcnt lgkmcnt(0)
	v_fma_f32 v21, -v23, v56, v21
	ds_read2_b32 v[56:57], v26 offset1:1
	v_mov_b32_e32 v26, s28
	s_add_i32 s31, s30, s5
	s_add_i32 s28, s30, s11
	v_fma_f32 v17, -v18, v45, v17
	v_mov_b32_e32 v28, s31
	v_mov_b32_e32 v30, s28
	ds_read_b32 v26, v26
	ds_read2_b32 v[58:59], v28 offset1:1
	ds_read2_b32 v[60:61], v30 offset1:1
	v_fma_f32 v17, -v19, v47, v17
	v_fma_f32 v17, -v20, v49, v17
	;; [unrolled: 1-line block ×4, first 2 shown]
	s_waitcnt lgkmcnt(3)
	v_mul_f32_e32 v21, v21, v57
	v_fma_f32 v17, -v23, v55, v17
	s_waitcnt lgkmcnt(1)
	v_fma_f32 v16, -v4, v59, v16
	s_add_i32 s29, s30, s12
	v_fma_f32 v17, -v21, v56, v17
	s_add_i32 s28, s5, 0xfffff890
	s_waitcnt lgkmcnt(0)
	v_fma_f32 v31, -v5, v61, v16
	v_mov_b32_e32 v16, s29
	s_add_i32 s29, s30, s13
	v_add_u32_e32 v28, s27, v33
	v_mul_f32_e32 v64, v17, v26
	v_add_u32_e32 v17, s28, v33
	v_mov_b32_e32 v25, s29
	s_add_i32 s29, s30, s14
	ds_write_b32 v28, v21
	ds_write_b32 v17, v64
	v_mov_b32_e32 v27, s29
	ds_read2_b32 v[16:17], v16 offset1:1
	ds_read2_b32 v[25:26], v25 offset1:1
	;; [unrolled: 1-line block ×3, first 2 shown]
	s_add_i32 s29, s30, s15
	v_mov_b32_e32 v29, s29
	s_waitcnt lgkmcnt(2)
	v_fma_f32 v17, -v6, v17, v31
	s_add_i32 s29, s30, s17
	ds_read2_b32 v[29:30], v29 offset1:1
	s_waitcnt lgkmcnt(2)
	v_fma_f32 v17, -v7, v26, v17
	v_mov_b32_e32 v26, s29
	s_add_i32 s29, s30, s18
	s_waitcnt lgkmcnt(1)
	v_fma_f32 v17, -v8, v28, v17
	v_mov_b32_e32 v28, s29
	s_add_i32 s29, s30, s19
	v_mov_b32_e32 v36, s29
	s_add_i32 s29, s30, s20
	v_mov_b32_e32 v38, s29
	ds_read2_b32 v[31:32], v26 offset1:1
	ds_read2_b32 v[34:35], v28 offset1:1
	;; [unrolled: 1-line block ×4, first 2 shown]
	s_waitcnt lgkmcnt(4)
	v_fma_f32 v17, -v9, v30, v17
	s_add_i32 s29, s30, s21
	s_waitcnt lgkmcnt(3)
	v_fma_f32 v17, -v11, v32, v17
	v_mov_b32_e32 v26, s29
	s_add_i32 s29, s30, s22
	s_waitcnt lgkmcnt(2)
	v_fma_f32 v17, -v12, v35, v17
	v_mov_b32_e32 v28, s29
	s_add_i32 s29, s30, s23
	v_fma_f32 v13, -v4, v58, v13
	s_waitcnt lgkmcnt(1)
	v_fma_f32 v17, -v14, v37, v17
	v_mov_b32_e32 v30, s29
	s_add_i32 s29, s30, s24
	v_fma_f32 v13, -v5, v60, v13
	s_waitcnt lgkmcnt(0)
	v_fma_f32 v17, -v15, v39, v17
	ds_read2_b32 v[39:40], v26 offset1:1
	ds_read2_b32 v[41:42], v28 offset1:1
	;; [unrolled: 1-line block ×3, first 2 shown]
	v_mov_b32_e32 v26, s29
	v_fma_f32 v13, -v6, v16, v13
	ds_read2_b32 v[45:46], v26 offset1:1
	s_add_i32 s29, s30, s25
	v_fma_f32 v13, -v7, v25, v13
	v_mov_b32_e32 v26, s29
	s_add_i32 s29, s30, s26
	v_fma_f32 v13, -v8, v27, v13
	s_waitcnt lgkmcnt(3)
	v_fma_f32 v17, -v18, v40, v17
	v_mov_b32_e32 v28, s29
	s_add_i32 s29, s30, s27
	v_fma_f32 v13, -v9, v29, v13
	s_waitcnt lgkmcnt(2)
	;; [unrolled: 5-line block ×3, first 2 shown]
	v_fma_f32 v17, -v20, v44, v17
	v_mov_b32_e32 v32, s29
	ds_read2_b32 v[47:48], v26 offset1:1
	ds_read2_b32 v[49:50], v28 offset1:1
	;; [unrolled: 1-line block ×4, first 2 shown]
	v_fma_f32 v13, -v12, v34, v13
	s_waitcnt lgkmcnt(4)
	v_fma_f32 v17, -v22, v46, v17
	v_fma_f32 v13, -v14, v36, v13
	s_waitcnt lgkmcnt(3)
	v_fma_f32 v17, -v24, v48, v17
	s_add_i32 s29, s5, 0xfffff820
	v_fma_f32 v13, -v15, v38, v13
	s_waitcnt lgkmcnt(2)
	v_fma_f32 v17, -v23, v50, v17
	s_add_i32 s30, s30, s29
	v_fma_f32 v13, -v18, v39, v13
	s_waitcnt lgkmcnt(1)
	v_fma_f32 v17, -v21, v52, v17
	v_mov_b32_e32 v26, s30
	v_fma_f32 v13, -v19, v41, v13
	s_waitcnt lgkmcnt(0)
	v_fma_f32 v17, -v64, v54, v17
	ds_read2_b32 v[54:55], v26 offset1:1
	v_fma_f32 v13, -v20, v43, v13
	s_add_i32 s30, s31, 0xfffff7b0
	s_add_i32 s31, s10, 0xffffffac
	v_fma_f32 v13, -v22, v45, v13
	v_mov_b32_e32 v26, s30
	s_add_i32 s30, s31, s5
	v_fma_f32 v13, -v24, v47, v13
	v_mov_b32_e32 v28, s30
	s_add_i32 s30, s31, s11
	v_fma_f32 v13, -v23, v49, v13
	v_mov_b32_e32 v30, s30
	ds_read_b32 v26, v26
	ds_read2_b32 v[56:57], v28 offset1:1
	ds_read2_b32 v[61:62], v30 offset1:1
	v_fma_f32 v13, -v21, v51, v13
	s_waitcnt lgkmcnt(3)
	v_mul_f32_e32 v65, v17, v55
	v_fma_f32 v13, -v64, v53, v13
	v_fma_f32 v13, -v65, v54, v13
	s_add_i32 s30, s5, 0xfffff7b0
	v_add_u32_e32 v17, s29, v33
	s_waitcnt lgkmcnt(2)
	v_mul_f32_e32 v13, v13, v26
	v_add_u32_e32 v16, s30, v33
	s_add_i32 s33, s31, s12
	ds_write_b32 v17, v65
	ds_write_b32 v16, v13
	v_mov_b32_e32 v16, s33
	s_add_i32 s33, s31, s13
	v_mov_b32_e32 v25, s33
	s_add_i32 s33, s31, s14
	v_mov_b32_e32 v27, s33
	ds_read2_b32 v[16:17], v16 offset1:1
	ds_read2_b32 v[25:26], v25 offset1:1
	;; [unrolled: 1-line block ×3, first 2 shown]
	s_waitcnt lgkmcnt(6)
	v_fma_f32 v10, -v4, v57, v10
	s_add_i32 s33, s31, s15
	s_waitcnt lgkmcnt(5)
	v_fma_f32 v10, -v5, v62, v10
	v_mov_b32_e32 v29, s33
	s_add_i32 s33, s31, s17
	ds_read2_b32 v[29:30], v29 offset1:1
	s_waitcnt lgkmcnt(3)
	v_fma_f32 v10, -v6, v17, v10
	v_mov_b32_e32 v17, s33
	s_add_i32 s33, s31, s18
	s_waitcnt lgkmcnt(2)
	v_fma_f32 v10, -v7, v26, v10
	v_mov_b32_e32 v26, s33
	s_add_i32 s33, s31, s19
	;; [unrolled: 4-line block ×3, first 2 shown]
	v_mov_b32_e32 v38, s33
	ds_read2_b32 v[31:32], v17 offset1:1
	ds_read2_b32 v[34:35], v26 offset1:1
	;; [unrolled: 1-line block ×4, first 2 shown]
	s_waitcnt lgkmcnt(4)
	v_fma_f32 v10, -v9, v30, v10
	s_add_i32 s33, s31, s21
	v_fma_f32 v3, -v4, v56, v3
	s_waitcnt lgkmcnt(3)
	v_fma_f32 v10, -v11, v32, v10
	v_mov_b32_e32 v17, s33
	s_add_i32 s33, s31, s22
	v_fma_f32 v3, -v5, v61, v3
	s_waitcnt lgkmcnt(2)
	v_fma_f32 v10, -v12, v35, v10
	v_mov_b32_e32 v26, s33
	;; [unrolled: 5-line block ×3, first 2 shown]
	s_add_i32 s33, s31, s24
	v_fma_f32 v3, -v7, v25, v3
	s_waitcnt lgkmcnt(0)
	v_fma_f32 v10, -v15, v39, v10
	ds_read2_b32 v[39:40], v17 offset1:1
	ds_read2_b32 v[41:42], v26 offset1:1
	;; [unrolled: 1-line block ×3, first 2 shown]
	v_mov_b32_e32 v17, s33
	v_fma_f32 v3, -v8, v27, v3
	ds_read2_b32 v[45:46], v17 offset1:1
	s_add_i32 s33, s31, s25
	v_fma_f32 v3, -v9, v29, v3
	v_mov_b32_e32 v17, s33
	s_add_i32 s33, s31, s26
	v_fma_f32 v3, -v11, v31, v3
	s_waitcnt lgkmcnt(3)
	v_fma_f32 v10, -v18, v40, v10
	v_mov_b32_e32 v26, s33
	s_add_i32 s33, s31, s27
	v_fma_f32 v3, -v12, v34, v3
	s_waitcnt lgkmcnt(2)
	;; [unrolled: 5-line block ×3, first 2 shown]
	v_fma_f32 v10, -v20, v44, v10
	v_mov_b32_e32 v30, s33
	ds_read2_b32 v[47:48], v17 offset1:1
	ds_read2_b32 v[49:50], v26 offset1:1
	;; [unrolled: 1-line block ×4, first 2 shown]
	s_add_i32 s33, s31, s29
	v_fma_f32 v3, -v15, v38, v3
	s_waitcnt lgkmcnt(4)
	v_fma_f32 v10, -v22, v46, v10
	v_mov_b32_e32 v17, s33
	s_add_i32 s33, s31, s30
	v_fma_f32 v3, -v18, v39, v3
	s_waitcnt lgkmcnt(3)
	v_fma_f32 v10, -v24, v48, v10
	v_mov_b32_e32 v26, s33
	s_add_i32 s33, s5, 0xfffff740
	v_fma_f32 v3, -v19, v41, v3
	s_waitcnt lgkmcnt(2)
	v_fma_f32 v10, -v23, v50, v10
	s_add_i32 s34, s31, s33
	v_fma_f32 v3, -v20, v43, v3
	s_waitcnt lgkmcnt(1)
	v_fma_f32 v10, -v21, v52, v10
	v_mov_b32_e32 v28, s34
	s_add_i32 s34, s5, 0xfffff6d0
	v_fma_f32 v3, -v22, v45, v3
	s_waitcnt lgkmcnt(0)
	v_fma_f32 v10, -v64, v54, v10
	ds_read2_b32 v[54:55], v17 offset1:1
	ds_read2_b32 v[57:58], v26 offset1:1
	;; [unrolled: 1-line block ×3, first 2 shown]
	s_add_i32 s31, s31, s34
	v_fma_f32 v3, -v24, v47, v3
	v_mov_b32_e32 v17, s31
	v_fma_f32 v3, -v23, v49, v3
	ds_read_b32 v17, v17
	v_fma_f32 v3, -v21, v51, v3
	s_addk_i32 s10, 0xffa4
	s_waitcnt lgkmcnt(3)
	v_fma_f32 v10, -v65, v55, v10
	v_fma_f32 v3, -v64, v53, v3
	s_add_i32 s11, s10, s11
	s_waitcnt lgkmcnt(2)
	v_fma_f32 v10, -v13, v58, v10
	v_fma_f32 v3, -v65, v54, v3
	v_mov_b32_e32 v25, s11
	s_add_i32 s11, s10, s12
	s_waitcnt lgkmcnt(1)
	v_mul_f32_e32 v10, v10, v60
	v_add_u32_e32 v26, s33, v33
	v_fma_f32 v3, -v13, v57, v3
	s_add_i32 s31, s10, s5
	v_mov_b32_e32 v27, s11
	s_add_i32 s11, s10, s13
	ds_write_b32 v26, v10
	v_fma_f32 v3, -v10, v59, v3
	v_mov_b32_e32 v16, s31
	v_mov_b32_e32 v29, s11
	s_waitcnt lgkmcnt(1)
	v_mul_f32_e32 v66, v3, v17
	ds_read2_b32 v[16:17], v16 offset1:1
	ds_read2_b32 v[25:26], v25 offset1:1
	;; [unrolled: 1-line block ×4, first 2 shown]
	s_add_i32 s11, s10, s14
	s_waitcnt lgkmcnt(3)
	v_fma_f32 v2, -v4, v17, v2
	s_waitcnt lgkmcnt(2)
	v_fma_f32 v2, -v5, v26, v2
	s_waitcnt lgkmcnt(1)
	v_fma_f32 v2, -v6, v28, v2
	v_add_u32_e32 v3, s34, v33
	s_waitcnt lgkmcnt(0)
	v_fma_f32 v17, -v7, v30, v2
	v_mov_b32_e32 v2, s11
	s_add_i32 s11, s10, s15
	ds_write_b32 v3, v66
	v_mov_b32_e32 v26, s11
	s_add_i32 s11, s10, s17
	v_mov_b32_e32 v28, s11
	ds_read2_b32 v[2:3], v2 offset1:1
	ds_read2_b32 v[30:31], v26 offset1:1
	;; [unrolled: 1-line block ×3, first 2 shown]
	s_add_i32 s11, s10, s18
	v_mov_b32_e32 v26, s11
	ds_read2_b32 v[36:37], v26 offset1:1
	s_add_i32 s11, s10, s19
	s_waitcnt lgkmcnt(3)
	v_fma_f32 v3, -v8, v3, v17
	v_mov_b32_e32 v17, s11
	s_add_i32 s11, s10, s20
	v_mov_b32_e32 v26, s11
	s_add_i32 s11, s10, s21
	s_waitcnt lgkmcnt(2)
	v_fma_f32 v3, -v9, v31, v3
	v_mov_b32_e32 v28, s11
	s_add_i32 s11, s10, s22
	v_fma_f32 v1, -v4, v16, v1
	s_waitcnt lgkmcnt(1)
	v_fma_f32 v3, -v11, v35, v3
	v_mov_b32_e32 v35, s11
	ds_read2_b32 v[31:32], v17 offset1:1
	ds_read2_b32 v[38:39], v26 offset1:1
	;; [unrolled: 1-line block ×4, first 2 shown]
	v_fma_f32 v1, -v5, v25, v1
	s_waitcnt lgkmcnt(4)
	v_fma_f32 v3, -v12, v37, v3
	s_add_i32 s11, s10, s23
	v_fma_f32 v1, -v6, v27, v1
	s_waitcnt lgkmcnt(3)
	v_fma_f32 v3, -v14, v32, v3
	v_mov_b32_e32 v17, s11
	s_add_i32 s11, s10, s24
	v_fma_f32 v1, -v7, v29, v1
	s_waitcnt lgkmcnt(2)
	v_fma_f32 v3, -v15, v39, v3
	v_mov_b32_e32 v26, s11
	;; [unrolled: 5-line block ×3, first 2 shown]
	s_add_i32 s11, s10, s26
	v_fma_f32 v1, -v9, v30, v1
	s_waitcnt lgkmcnt(0)
	v_fma_f32 v3, -v19, v43, v3
	ds_read2_b32 v[43:44], v17 offset1:1
	ds_read2_b32 v[45:46], v26 offset1:1
	;; [unrolled: 1-line block ×3, first 2 shown]
	v_mov_b32_e32 v17, s11
	v_fma_f32 v1, -v11, v34, v1
	ds_read2_b32 v[49:50], v17 offset1:1
	s_add_i32 s11, s10, s27
	v_fma_f32 v1, -v12, v36, v1
	v_mov_b32_e32 v17, s11
	s_add_i32 s11, s10, s28
	v_fma_f32 v1, -v14, v31, v1
	s_waitcnt lgkmcnt(3)
	v_fma_f32 v3, -v20, v44, v3
	v_mov_b32_e32 v26, s11
	s_add_i32 s11, s10, s29
	v_fma_f32 v1, -v15, v38, v1
	s_waitcnt lgkmcnt(2)
	;; [unrolled: 5-line block ×3, first 2 shown]
	v_fma_f32 v3, -v24, v48, v3
	v_mov_b32_e32 v32, s11
	ds_read2_b32 v[51:52], v17 offset1:1
	ds_read2_b32 v[53:54], v26 offset1:1
	;; [unrolled: 1-line block ×4, first 2 shown]
	v_fma_f32 v1, -v19, v42, v1
	s_waitcnt lgkmcnt(4)
	v_fma_f32 v3, -v23, v50, v3
	s_add_i32 s11, s10, s33
	v_fma_f32 v1, -v20, v43, v1
	s_waitcnt lgkmcnt(3)
	v_fma_f32 v3, -v21, v52, v3
	v_mov_b32_e32 v17, s11
	s_add_i32 s11, s10, s34
	v_fma_f32 v1, -v22, v45, v1
	s_waitcnt lgkmcnt(2)
	v_fma_f32 v3, -v64, v54, v3
	v_mov_b32_e32 v26, s11
	s_add_i32 s11, s5, 0xfffff660
	v_fma_f32 v1, -v24, v47, v1
	s_waitcnt lgkmcnt(1)
	v_fma_f32 v3, -v65, v56, v3
	s_add_i32 s12, s10, s11
	s_addk_i32 s5, 0xf5f0
	v_fma_f32 v1, -v23, v49, v1
	s_waitcnt lgkmcnt(0)
	v_fma_f32 v3, -v13, v58, v3
	v_mov_b32_e32 v28, s12
	ds_read2_b32 v[58:59], v17 offset1:1
	ds_read2_b32 v[60:61], v26 offset1:1
	;; [unrolled: 1-line block ×3, first 2 shown]
	s_add_i32 s10, s10, s5
	v_fma_f32 v1, -v21, v51, v1
	v_mov_b32_e32 v17, s10
	v_fma_f32 v1, -v64, v53, v1
	ds_read_b32 v17, v17
	v_fma_f32 v1, -v65, v55, v1
	s_waitcnt lgkmcnt(3)
	v_fma_f32 v3, -v10, v59, v3
	v_fma_f32 v1, -v13, v57, v1
	s_waitcnt lgkmcnt(2)
	v_fma_f32 v3, -v66, v61, v3
	v_fma_f32 v1, -v10, v58, v1
	s_waitcnt lgkmcnt(1)
	v_mul_f32_e32 v3, v3, v63
	v_fma_f32 v1, -v66, v60, v1
	v_fma_f32 v1, -v3, v62, v1
	v_add_u32_e32 v26, s11, v33
	s_waitcnt lgkmcnt(0)
	v_mul_f32_e32 v1, v1, v17
	v_add_u32_e32 v2, s5, v33
	s_sub_i32 s4, s4, 24
	ds_write_b32 v26, v3
	ds_write_b32 v2, v1
.LBB31_87:
	s_cmp_lt_i32 s4, 0
	s_cbranch_scc1 .LBB31_104
; %bb.88:
	s_and_b32 s5, s4, 3
	s_cmp_eq_u32 s5, 3
	s_mul_i32 s10, s16, 0x70
	s_mov_b32 s5, s4
	s_cbranch_scc1 .LBB31_93
; %bb.89:
	s_add_i32 s5, s4, 1
	s_and_b32 s11, s5, 3
	s_lshl_b32 s5, s4, 2
	s_add_i32 s5, s10, s5
	v_lshl_add_u32 v1, v0, 2, s10
	s_add_i32 s12, s5, 0xffffff90
	v_add_u32_e32 v1, 0xbd0, v1
	s_mov_b32 s13, 0
	s_mov_b32 s5, s4
	s_branch .LBB31_91
.LBB31_90:                              ;   in Loop: Header=BB31_91 Depth=1
	s_mul_i32 s14, s5, 0x74
	v_mov_b32_e32 v4, s14
	ds_read_b32 v4, v4
	s_add_i32 s5, s5, -1
	s_add_i32 s13, s13, 1
	s_add_i32 s12, s12, -4
	s_cmp_lg_u32 s13, s11
	s_waitcnt lgkmcnt(0)
	v_mul_f32_e32 v3, v3, v4
	ds_write_b32 v2, v3
	s_cbranch_scc0 .LBB31_93
.LBB31_91:                              ; =>This Loop Header: Depth=1
                                        ;     Child Loop BB31_92 Depth 2
	s_mul_i32 s14, s5, 0x70
	v_add_u32_e32 v2, s14, v33
	ds_read_b32 v3, v2
	s_cmp_le_i32 s8, s5
	v_mov_b32_e32 v4, v1
	s_mov_b32 s14, s12
	s_mov_b32 s15, s8
	s_cbranch_scc1 .LBB31_90
.LBB31_92:                              ;   Parent Loop BB31_91 Depth=1
                                        ; =>  This Inner Loop Header: Depth=2
	v_mov_b32_e32 v6, s14
	ds_read_b32 v5, v4
	ds_read_b32 v6, v6
	s_add_i32 s15, s15, -1
	s_addk_i32 s14, 0xff90
	v_add_u32_e32 v4, 0xffffff90, v4
	s_cmp_gt_i32 s15, s5
	s_waitcnt lgkmcnt(0)
	v_fma_f32 v3, -v5, v6, v3
	s_cbranch_scc1 .LBB31_92
	s_branch .LBB31_90
.LBB31_93:
	s_cmp_lt_u32 s4, 3
	s_cbranch_scc1 .LBB31_104
; %bb.94:
	s_lshl_b32 s4, s5, 2
	s_add_i32 s12, s10, s4
	v_lshl_add_u32 v1, v0, 2, s10
	s_add_i32 s4, s12, 0xffffff90
	v_add_u32_e32 v1, 0xbd0, v1
	s_add_i32 s10, s12, 0xffffff8c
	s_add_i32 s11, s12, 0xffffff88
	s_addk_i32 s12, 0xff84
	s_branch .LBB31_96
.LBB31_95:                              ;   in Loop: Header=BB31_96 Depth=1
	s_add_i32 s13, s14, 0xffffff8c
	v_mov_b32_e32 v3, s13
	ds_read_b32 v3, v3
	s_add_i32 s13, s5, -4
	s_add_i32 s4, s4, -16
	;; [unrolled: 1-line block ×5, first 2 shown]
	s_waitcnt lgkmcnt(0)
	v_mul_f32_e32 v3, v5, v3
	s_cmp_lt_i32 s5, 4
	s_mov_b32 s5, s13
	ds_write_b32 v2, v3
	s_cbranch_scc1 .LBB31_104
.LBB31_96:                              ; =>This Loop Header: Depth=1
                                        ;     Child Loop BB31_97 Depth 2
                                        ;     Child Loop BB31_99 Depth 2
	;; [unrolled: 1-line block ×4, first 2 shown]
	s_mul_i32 s13, s5, 0x70
	v_add_u32_e32 v3, s13, v33
	ds_read_b32 v4, v3
	s_cmp_le_i32 s8, s5
	v_mov_b32_e32 v2, v1
	s_mov_b32 s14, s4
	s_mov_b32 s15, s8
	s_cbranch_scc1 .LBB31_98
.LBB31_97:                              ;   Parent Loop BB31_96 Depth=1
                                        ; =>  This Inner Loop Header: Depth=2
	v_mov_b32_e32 v6, s14
	ds_read_b32 v5, v2
	ds_read_b32 v6, v6
	s_add_i32 s15, s15, -1
	s_addk_i32 s14, 0xff90
	v_add_u32_e32 v2, 0xffffff90, v2
	s_cmp_gt_i32 s15, s5
	s_waitcnt lgkmcnt(0)
	v_fma_f32 v4, -v5, v6, v4
	s_cbranch_scc1 .LBB31_97
.LBB31_98:                              ;   in Loop: Header=BB31_96 Depth=1
	s_mul_i32 s14, s5, 0x74
	v_mov_b32_e32 v2, s14
	ds_read_b32 v6, v2
	s_addk_i32 s13, 0xff90
	v_add_u32_e32 v2, s13, v33
	ds_read_b32 v5, v2
	s_cmp_le_i32 s16, s5
	s_waitcnt lgkmcnt(1)
	v_mul_f32_e32 v4, v4, v6
	ds_write_b32 v3, v4
	v_mov_b32_e32 v3, v1
	s_mov_b32 s15, s10
	s_mov_b32 s17, s16
	s_cbranch_scc1 .LBB31_100
.LBB31_99:                              ;   Parent Loop BB31_96 Depth=1
                                        ; =>  This Inner Loop Header: Depth=2
	v_mov_b32_e32 v6, s15
	ds_read_b32 v4, v3
	ds_read_b32 v6, v6
	s_add_i32 s17, s17, -1
	s_addk_i32 s15, 0xff90
	v_add_u32_e32 v3, 0xffffff90, v3
	s_cmp_gt_i32 s17, s5
	s_waitcnt lgkmcnt(0)
	v_fma_f32 v5, -v4, v6, v5
	s_cbranch_scc1 .LBB31_99
.LBB31_100:                             ;   in Loop: Header=BB31_96 Depth=1
	s_addk_i32 s14, 0xff8c
	v_mov_b32_e32 v3, s14
	ds_read_b32 v6, v3
	s_addk_i32 s13, 0xff90
	v_add_u32_e32 v3, s13, v33
	ds_read_b32 v4, v3
	s_add_i32 s15, s5, -2
	s_waitcnt lgkmcnt(1)
	v_mul_f32_e32 v5, v5, v6
	ds_write_b32 v2, v5
	s_cmp_le_i32 s8, s15
	v_mov_b32_e32 v2, v1
	s_mov_b32 s17, s11
	s_mov_b32 s18, s8
	s_cbranch_scc1 .LBB31_102
.LBB31_101:                             ;   Parent Loop BB31_96 Depth=1
                                        ; =>  This Inner Loop Header: Depth=2
	v_mov_b32_e32 v6, s17
	ds_read_b32 v5, v2
	ds_read_b32 v6, v6
	s_add_i32 s18, s18, -1
	s_addk_i32 s17, 0xff90
	v_add_u32_e32 v2, 0xffffff90, v2
	s_cmp_gt_i32 s18, s15
	s_waitcnt lgkmcnt(0)
	v_fma_f32 v4, -v5, v6, v4
	s_cbranch_scc1 .LBB31_101
.LBB31_102:                             ;   in Loop: Header=BB31_96 Depth=1
	s_addk_i32 s14, 0xff8c
	v_mov_b32_e32 v2, s14
	ds_read_b32 v6, v2
	s_addk_i32 s13, 0xff90
	v_add_u32_e32 v2, s13, v33
	ds_read_b32 v5, v2
	s_add_i32 s15, s5, -3
	s_waitcnt lgkmcnt(1)
	v_mul_f32_e32 v4, v4, v6
	ds_write_b32 v3, v4
	s_cmp_le_i32 s8, s15
	v_mov_b32_e32 v3, v1
	s_mov_b32 s13, s12
	s_mov_b32 s17, s8
	s_cbranch_scc1 .LBB31_95
.LBB31_103:                             ;   Parent Loop BB31_96 Depth=1
                                        ; =>  This Inner Loop Header: Depth=2
	v_mov_b32_e32 v6, s13
	ds_read_b32 v4, v3
	ds_read_b32 v6, v6
	s_add_i32 s17, s17, -1
	s_addk_i32 s13, 0xff90
	v_add_u32_e32 v3, 0xffffff90, v3
	s_cmp_gt_i32 s17, s15
	s_waitcnt lgkmcnt(0)
	v_fma_f32 v5, -v4, v6, v5
	s_cbranch_scc1 .LBB31_103
	s_branch .LBB31_95
.LBB31_104:
	s_waitcnt lgkmcnt(0)
	; wave barrier
	s_and_saveexec_b64 s[4:5], s[0:1]
	s_cbranch_execz .LBB31_108
; %bb.105:
	s_andn2_b64 vcc, exec, s[2:3]
	s_cbranch_vccnz .LBB31_108
; %bb.106:
	v_mad_i64_i32 v[1:2], s[0:1], s9, v0, 0
	v_mov_b32_e32 v3, s7
	v_lshlrev_b64 v[1:2], 2, v[1:2]
	v_add_co_u32_e32 v1, vcc, s6, v1
	v_addc_co_u32_e32 v2, vcc, v3, v2, vcc
	v_mov_b32_e32 v3, 0xc40
	v_lshl_add_u32 v0, v0, 2, v3
.LBB31_107:                             ; =>This Inner Loop Header: Depth=1
	ds_read_b32 v3, v0
	s_add_i32 s16, s16, -1
	v_add_u32_e32 v0, 0x70, v0
	s_cmp_lg_u32 s16, 0
	s_waitcnt lgkmcnt(0)
	global_store_dword v[1:2], v3, off
	v_add_co_u32_e32 v1, vcc, 4, v1
	v_addc_co_u32_e32 v2, vcc, 0, v2, vcc
	s_cbranch_scc1 .LBB31_107
.LBB31_108:
	s_endpgm
	.section	.rodata,"a",@progbits
	.p2align	6, 0x0
	.amdhsa_kernel _ZL38rocblas_trsm_small_left_device_sharedBILi28ELi28ELb0EffPKfPfEv13rocblas_fill_18rocblas_operation_17rocblas_diagonal_iiT3_T4_lilT5_lili
		.amdhsa_group_segment_fixed_size 6272
		.amdhsa_private_segment_fixed_size 0
		.amdhsa_kernarg_size 352
		.amdhsa_user_sgpr_count 6
		.amdhsa_user_sgpr_private_segment_buffer 1
		.amdhsa_user_sgpr_dispatch_ptr 0
		.amdhsa_user_sgpr_queue_ptr 0
		.amdhsa_user_sgpr_kernarg_segment_ptr 1
		.amdhsa_user_sgpr_dispatch_id 0
		.amdhsa_user_sgpr_flat_scratch_init 0
		.amdhsa_user_sgpr_private_segment_size 0
		.amdhsa_uses_dynamic_stack 0
		.amdhsa_system_sgpr_private_segment_wavefront_offset 0
		.amdhsa_system_sgpr_workgroup_id_x 1
		.amdhsa_system_sgpr_workgroup_id_y 0
		.amdhsa_system_sgpr_workgroup_id_z 1
		.amdhsa_system_sgpr_workgroup_info 0
		.amdhsa_system_vgpr_workitem_id 0
		.amdhsa_next_free_vgpr 78
		.amdhsa_next_free_sgpr 98
		.amdhsa_reserve_vcc 1
		.amdhsa_reserve_flat_scratch 0
		.amdhsa_float_round_mode_32 0
		.amdhsa_float_round_mode_16_64 0
		.amdhsa_float_denorm_mode_32 3
		.amdhsa_float_denorm_mode_16_64 3
		.amdhsa_dx10_clamp 1
		.amdhsa_ieee_mode 1
		.amdhsa_fp16_overflow 0
		.amdhsa_exception_fp_ieee_invalid_op 0
		.amdhsa_exception_fp_denorm_src 0
		.amdhsa_exception_fp_ieee_div_zero 0
		.amdhsa_exception_fp_ieee_overflow 0
		.amdhsa_exception_fp_ieee_underflow 0
		.amdhsa_exception_fp_ieee_inexact 0
		.amdhsa_exception_int_div_zero 0
	.end_amdhsa_kernel
	.section	.text._ZL38rocblas_trsm_small_left_device_sharedBILi28ELi28ELb0EffPKfPfEv13rocblas_fill_18rocblas_operation_17rocblas_diagonal_iiT3_T4_lilT5_lili,"axG",@progbits,_ZL38rocblas_trsm_small_left_device_sharedBILi28ELi28ELb0EffPKfPfEv13rocblas_fill_18rocblas_operation_17rocblas_diagonal_iiT3_T4_lilT5_lili,comdat
.Lfunc_end31:
	.size	_ZL38rocblas_trsm_small_left_device_sharedBILi28ELi28ELb0EffPKfPfEv13rocblas_fill_18rocblas_operation_17rocblas_diagonal_iiT3_T4_lilT5_lili, .Lfunc_end31-_ZL38rocblas_trsm_small_left_device_sharedBILi28ELi28ELb0EffPKfPfEv13rocblas_fill_18rocblas_operation_17rocblas_diagonal_iiT3_T4_lilT5_lili
                                        ; -- End function
	.set _ZL38rocblas_trsm_small_left_device_sharedBILi28ELi28ELb0EffPKfPfEv13rocblas_fill_18rocblas_operation_17rocblas_diagonal_iiT3_T4_lilT5_lili.num_vgpr, 78
	.set _ZL38rocblas_trsm_small_left_device_sharedBILi28ELi28ELb0EffPKfPfEv13rocblas_fill_18rocblas_operation_17rocblas_diagonal_iiT3_T4_lilT5_lili.num_agpr, 0
	.set _ZL38rocblas_trsm_small_left_device_sharedBILi28ELi28ELb0EffPKfPfEv13rocblas_fill_18rocblas_operation_17rocblas_diagonal_iiT3_T4_lilT5_lili.numbered_sgpr, 35
	.set _ZL38rocblas_trsm_small_left_device_sharedBILi28ELi28ELb0EffPKfPfEv13rocblas_fill_18rocblas_operation_17rocblas_diagonal_iiT3_T4_lilT5_lili.num_named_barrier, 0
	.set _ZL38rocblas_trsm_small_left_device_sharedBILi28ELi28ELb0EffPKfPfEv13rocblas_fill_18rocblas_operation_17rocblas_diagonal_iiT3_T4_lilT5_lili.private_seg_size, 0
	.set _ZL38rocblas_trsm_small_left_device_sharedBILi28ELi28ELb0EffPKfPfEv13rocblas_fill_18rocblas_operation_17rocblas_diagonal_iiT3_T4_lilT5_lili.uses_vcc, 1
	.set _ZL38rocblas_trsm_small_left_device_sharedBILi28ELi28ELb0EffPKfPfEv13rocblas_fill_18rocblas_operation_17rocblas_diagonal_iiT3_T4_lilT5_lili.uses_flat_scratch, 0
	.set _ZL38rocblas_trsm_small_left_device_sharedBILi28ELi28ELb0EffPKfPfEv13rocblas_fill_18rocblas_operation_17rocblas_diagonal_iiT3_T4_lilT5_lili.has_dyn_sized_stack, 0
	.set _ZL38rocblas_trsm_small_left_device_sharedBILi28ELi28ELb0EffPKfPfEv13rocblas_fill_18rocblas_operation_17rocblas_diagonal_iiT3_T4_lilT5_lili.has_recursion, 0
	.set _ZL38rocblas_trsm_small_left_device_sharedBILi28ELi28ELb0EffPKfPfEv13rocblas_fill_18rocblas_operation_17rocblas_diagonal_iiT3_T4_lilT5_lili.has_indirect_call, 0
	.section	.AMDGPU.csdata,"",@progbits
; Kernel info:
; codeLenInByte = 20852
; TotalNumSgprs: 39
; NumVgprs: 78
; ScratchSize: 0
; MemoryBound: 0
; FloatMode: 240
; IeeeMode: 1
; LDSByteSize: 6272 bytes/workgroup (compile time only)
; SGPRBlocks: 12
; VGPRBlocks: 19
; NumSGPRsForWavesPerEU: 102
; NumVGPRsForWavesPerEU: 78
; Occupancy: 3
; WaveLimiterHint : 0
; COMPUTE_PGM_RSRC2:SCRATCH_EN: 0
; COMPUTE_PGM_RSRC2:USER_SGPR: 6
; COMPUTE_PGM_RSRC2:TRAP_HANDLER: 0
; COMPUTE_PGM_RSRC2:TGID_X_EN: 1
; COMPUTE_PGM_RSRC2:TGID_Y_EN: 0
; COMPUTE_PGM_RSRC2:TGID_Z_EN: 1
; COMPUTE_PGM_RSRC2:TIDIG_COMP_CNT: 0
	.section	.text._ZL30rocblas_trsm_small_left_deviceILi28ELi28ELb0EffPKfPfEv13rocblas_fill_18rocblas_operation_17rocblas_diagonal_iiT3_T4_lilT5_lili,"axG",@progbits,_ZL30rocblas_trsm_small_left_deviceILi28ELi28ELb0EffPKfPfEv13rocblas_fill_18rocblas_operation_17rocblas_diagonal_iiT3_T4_lilT5_lili,comdat
	.globl	_ZL30rocblas_trsm_small_left_deviceILi28ELi28ELb0EffPKfPfEv13rocblas_fill_18rocblas_operation_17rocblas_diagonal_iiT3_T4_lilT5_lili ; -- Begin function _ZL30rocblas_trsm_small_left_deviceILi28ELi28ELb0EffPKfPfEv13rocblas_fill_18rocblas_operation_17rocblas_diagonal_iiT3_T4_lilT5_lili
	.p2align	8
	.type	_ZL30rocblas_trsm_small_left_deviceILi28ELi28ELb0EffPKfPfEv13rocblas_fill_18rocblas_operation_17rocblas_diagonal_iiT3_T4_lilT5_lili,@function
_ZL30rocblas_trsm_small_left_deviceILi28ELi28ELb0EffPKfPfEv13rocblas_fill_18rocblas_operation_17rocblas_diagonal_iiT3_T4_lilT5_lili: ; @_ZL30rocblas_trsm_small_left_deviceILi28ELi28ELb0EffPKfPfEv13rocblas_fill_18rocblas_operation_17rocblas_diagonal_iiT3_T4_lilT5_lili
; %bb.0:
	s_load_dwordx4 s[0:3], s[4:5], 0x4
	s_load_dword s16, s[4:5], 0x14
	s_load_dwordx4 s[8:11], s[4:5], 0x30
	s_load_dwordx2 s[12:13], s[4:5], 0x40
	s_waitcnt lgkmcnt(0)
	s_min_i32 s17, s2, 28
	v_cmp_gt_i32_e32 vcc, s17, v0
	s_and_saveexec_b64 s[14:15], vcc
	s_cbranch_execz .LBB32_6
; %bb.1:
	s_load_dword s18, s[4:5], 0x28
	s_load_dwordx4 s[20:23], s[4:5], 0x18
	s_mul_i32 s9, s9, s7
	s_mul_hi_u32 s19, s8, s7
	s_add_i32 s9, s19, s9
	s_mul_i32 s8, s8, s7
	s_waitcnt lgkmcnt(0)
	s_ashr_i32 s19, s18, 31
	s_lshl_b64 s[8:9], s[8:9], 2
	s_add_u32 s20, s20, s8
	s_addc_u32 s21, s21, s9
	s_lshl_b64 s[8:9], s[22:23], 2
	s_add_u32 s8, s20, s8
	s_addc_u32 s9, s21, s9
	v_lshlrev_b32_e32 v3, 2, v0
	v_mov_b32_e32 v2, s9
	v_add_co_u32_e32 v1, vcc, s8, v3
	s_lshl_b64 s[8:9], s[18:19], 2
	v_addc_co_u32_e32 v2, vcc, 0, v2, vcc
	v_mov_b32_e32 v4, s9
	v_mov_b32_e32 v5, v3
	s_mov_b32 s9, s17
.LBB32_2:                               ; =>This Inner Loop Header: Depth=1
	global_load_dword v6, v[1:2], off
	v_add_co_u32_e32 v1, vcc, s8, v1
	s_add_i32 s9, s9, -1
	v_addc_co_u32_e32 v2, vcc, v2, v4, vcc
	s_cmp_eq_u32 s9, 0
	s_waitcnt vmcnt(0)
	ds_write_b32 v5, v6
	v_add_u32_e32 v5, 0x70, v5
	s_cbranch_scc0 .LBB32_2
; %bb.3:
	v_mul_u32_u24_e32 v1, 0x70, v0
	s_cmpk_lg_i32 s1, 0x84
	v_mov_b32_e32 v2, 1.0
	v_add_u32_e32 v1, v3, v1
	s_cbranch_scc0 .LBB32_5
; %bb.4:
	ds_read_b32 v2, v1
	s_waitcnt lgkmcnt(0)
	v_div_scale_f32 v3, s[8:9], v2, v2, 1.0
	v_div_scale_f32 v4, vcc, 1.0, v2, 1.0
	v_rcp_f32_e32 v5, v3
	v_fma_f32 v6, -v3, v5, 1.0
	v_fmac_f32_e32 v5, v6, v5
	v_mul_f32_e32 v6, v4, v5
	v_fma_f32 v7, -v3, v6, v4
	v_fmac_f32_e32 v6, v7, v5
	v_fma_f32 v3, -v3, v6, v4
	v_div_fmas_f32 v3, v3, v5, v6
	v_div_fixup_f32 v2, v3, v2, 1.0
.LBB32_5:
	ds_write_b32 v1, v2
.LBB32_6:
	s_or_b64 exec, exec, s[14:15]
	s_load_dword s1, s[4:5], 0x60
	s_mul_i32 s8, s6, 0xffffffe4
	s_add_i32 s3, s3, s8
	s_waitcnt lgkmcnt(0)
	; wave barrier
	s_add_i32 s1, s1, -1
	s_cmp_ge_u32 s6, s1
	s_cselect_b32 s1, s3, 28
	v_cmp_gt_i32_e32 vcc, s1, v0
	s_and_saveexec_b64 s[8:9], vcc
	s_cbranch_execz .LBB32_105
; %bb.7:
	s_load_dwordx2 s[8:9], s[4:5], 0x50
	s_load_dword s1, s[4:5], 0x48
	s_waitcnt lgkmcnt(0)
	s_mul_i32 s3, s9, s7
	s_mul_hi_u32 s5, s8, s7
	s_mul_i32 s4, s8, s7
	v_mad_u64_u32 v[0:1], s[6:7], s6, 28, v[0:1]
	s_add_i32 s5, s5, s3
	s_lshl_b64 s[4:5], s[4:5], 2
	v_mad_i64_i32 v[0:1], s[6:7], s1, v0, 0
	s_add_u32 s3, s10, s4
	s_addc_u32 s8, s11, s5
	s_lshl_b64 s[6:7], s[12:13], 2
	s_add_u32 s1, s3, s6
	v_lshlrev_b64 v[28:29], 2, v[0:1]
	s_addc_u32 s3, s8, s7
	v_mov_b32_e32 v0, s3
	v_add_co_u32_e32 v32, vcc, s1, v28
	v_addc_co_u32_e32 v33, vcc, v0, v29, vcc
	s_cmpk_eq_i32 s0, 0x6f
	s_mov_b64 s[0:1], -1
	s_cbranch_scc1 .LBB32_25
; %bb.8:
	s_cmp_lt_i32 s2, 28
	s_cselect_b64 s[8:9], -1, 0
	s_cmp_gt_i32 s2, 27
	s_cbranch_scc0 .LBB32_10
; %bb.9:
	global_load_dwordx4 v[0:3], v[32:33], off
	global_load_dwordx4 v[4:7], v[32:33], off offset:16
	global_load_dwordx4 v[12:15], v[32:33], off offset:32
	;; [unrolled: 1-line block ×3, first 2 shown]
	v_mov_b32_e32 v30, 0
	ds_read_b32 v27, v30
	ds_read_b64 v[46:47], v30 offset:112
	ds_read_b96 v[20:22], v30 offset:224
	ds_read_b128 v[8:11], v30 offset:336
	ds_read_b128 v[23:26], v30 offset:448
	ds_read_b32 v31, v30 offset:464
	ds_read_b128 v[34:37], v30 offset:560
	ds_read_b64 v[53:54], v30 offset:576
	ds_read_b128 v[38:41], v30 offset:672
	ds_read_b96 v[50:52], v30 offset:688
	ds_read_b128 v[42:45], v30 offset:784
	s_mov_b32 s0, 28
	s_waitcnt vmcnt(3)
	v_mul_f32_e32 v0, s16, v0
	s_waitcnt lgkmcnt(10)
	v_mul_f32_e32 v0, v0, v27
	s_waitcnt lgkmcnt(9)
	;; [unrolled: 2-line block ×3, first 2 shown]
	v_mul_f32_e32 v20, v0, v20
	v_fma_f32 v1, s16, v1, -v27
	s_waitcnt lgkmcnt(7)
	v_mul_f32_e32 v8, v0, v8
	v_fma_f32 v2, s16, v2, -v20
	v_mul_f32_e32 v1, v1, v47
	s_waitcnt lgkmcnt(6)
	v_mul_f32_e32 v23, v0, v23
	v_fma_f32 v3, s16, v3, -v8
	v_fma_f32 v2, -v1, v21, v2
	s_waitcnt lgkmcnt(0)
	v_mul_f32_e32 v8, v0, v42
	s_waitcnt vmcnt(2)
	v_fma_f32 v27, s16, v4, -v23
	v_mul_f32_e32 v2, v2, v22
	v_fma_f32 v3, -v1, v9, v3
	v_fma_f32 v42, s16, v7, -v8
	v_fma_f32 v8, -v1, v24, v27
	v_fma_f32 v3, -v2, v10, v3
	v_mul_f32_e32 v34, v0, v34
	v_mul_f32_e32 v38, v0, v38
	v_fma_f32 v8, -v2, v25, v8
	v_mul_f32_e32 v3, v3, v11
	v_fma_f32 v34, s16, v5, -v34
	v_fma_f32 v38, s16, v6, -v38
	global_load_dwordx4 v[4:7], v[32:33], off offset:96
	global_load_dwordx4 v[20:23], v[32:33], off offset:80
	;; [unrolled: 1-line block ×3, first 2 shown]
	v_fma_f32 v57, -v3, v26, v8
	ds_read_b128 v[24:27], v30 offset:800
	ds_read_b128 v[8:11], v30 offset:896
	v_fma_f32 v34, -v1, v35, v34
	v_fma_f32 v35, -v1, v39, v38
	;; [unrolled: 1-line block ×6, first 2 shown]
	ds_read_b128 v[34:37], v30 offset:1008
	ds_read_b128 v[38:41], v30 offset:1024
	s_waitcnt lgkmcnt(2)
	v_mul_f32_e32 v8, v0, v8
	v_fma_f32 v42, -v1, v43, v42
	s_waitcnt vmcnt(4)
	v_fma_f32 v8, s16, v12, -v8
	v_fma_f32 v42, -v2, v44, v42
	v_fma_f32 v8, -v1, v9, v8
	;; [unrolled: 1-line block ×3, first 2 shown]
	ds_read_b64 v[55:56], v30 offset:1040
	ds_read_b128 v[42:45], v30 offset:1120
	v_fma_f32 v8, -v2, v10, v8
	v_fma_f32 v11, -v3, v11, v8
	s_waitcnt lgkmcnt(3)
	v_mul_f32_e32 v8, v0, v34
	v_fma_f32 v8, s16, v13, -v8
	v_fma_f32 v8, -v1, v35, v8
	v_fma_f32 v8, -v2, v36, v8
	;; [unrolled: 1-line block ×3, first 2 shown]
	s_waitcnt lgkmcnt(0)
	v_mul_f32_e32 v8, v0, v42
	v_fma_f32 v8, s16, v14, -v8
	v_fma_f32 v8, -v1, v43, v8
	v_fma_f32 v8, -v2, v44, v8
	ds_read_b128 v[34:37], v30 offset:912
	ds_read_b32 v13, v30 offset:928
	v_fma_f32 v14, -v3, v45, v8
	v_mul_f32_e32 v8, v57, v31
	v_fma_f32 v9, -v8, v53, v58
	v_fma_f32 v10, -v8, v50, v59
	v_mul_f32_e32 v9, v9, v54
	v_fma_f32 v10, -v9, v51, v10
	v_fma_f32 v24, -v8, v24, v60
	v_mul_f32_e32 v10, v10, v52
	s_waitcnt lgkmcnt(1)
	v_fma_f32 v11, -v8, v34, v11
	v_fma_f32 v24, -v9, v25, v24
	;; [unrolled: 1-line block ×7, first 2 shown]
	v_mul_f32_e32 v11, v24, v27
	v_fma_f32 v12, -v10, v40, v12
	v_fma_f32 v24, -v11, v37, v25
	;; [unrolled: 1-line block ×3, first 2 shown]
	s_waitcnt lgkmcnt(0)
	v_mul_f32_e32 v12, v24, v13
	ds_read_b128 v[42:45], v30 offset:1136
	ds_read_b96 v[50:52], v30 offset:1152
	v_fma_f32 v13, -v12, v55, v25
	ds_read_b128 v[24:27], v30 offset:1232
	ds_read_b128 v[34:37], v30 offset:1248
	s_waitcnt lgkmcnt(3)
	v_fma_f32 v14, -v8, v42, v14
	v_fma_f32 v14, -v9, v43, v14
	;; [unrolled: 1-line block ×3, first 2 shown]
	s_waitcnt lgkmcnt(1)
	v_mul_f32_e32 v24, v0, v24
	v_fma_f32 v15, s16, v15, -v24
	v_fma_f32 v15, -v1, v25, v15
	v_fma_f32 v15, -v2, v26, v15
	;; [unrolled: 1-line block ×3, first 2 shown]
	s_waitcnt lgkmcnt(0)
	v_fma_f32 v15, -v8, v34, v15
	ds_read_b128 v[24:27], v30 offset:1264
	v_fma_f32 v15, -v9, v35, v15
	v_fma_f32 v15, -v10, v36, v15
	v_fma_f32 v15, -v11, v37, v15
	ds_read_b128 v[34:37], v30 offset:1344
	v_fma_f32 v14, -v11, v45, v14
	v_mul_f32_e32 v13, v13, v56
	v_fma_f32 v14, -v12, v50, v14
	v_fma_f32 v14, -v13, v51, v14
	s_waitcnt lgkmcnt(1)
	v_fma_f32 v15, -v12, v24, v15
	v_mul_f32_e32 v14, v14, v52
	v_fma_f32 v15, -v13, v25, v15
	v_fma_f32 v15, -v14, v26, v15
	s_waitcnt lgkmcnt(0)
	v_mul_f32_e32 v24, v0, v34
	v_mul_f32_e32 v15, v15, v27
	s_waitcnt vmcnt(3)
	v_fma_f32 v16, s16, v16, -v24
	ds_read_b128 v[24:27], v30 offset:1360
	v_fma_f32 v16, -v1, v35, v16
	v_fma_f32 v16, -v2, v36, v16
	;; [unrolled: 1-line block ×3, first 2 shown]
	ds_read_b128 v[34:37], v30 offset:1376
	s_waitcnt lgkmcnt(1)
	v_fma_f32 v16, -v8, v24, v16
	v_fma_f32 v16, -v9, v25, v16
	global_store_dwordx4 v[32:33], v[0:3], off
	global_store_dwordx4 v[32:33], v[8:11], off offset:16
	global_store_dwordx4 v[32:33], v[12:15], off offset:32
	v_fma_f32 v16, -v10, v26, v16
	v_fma_f32 v16, -v11, v27, v16
	ds_read_b32 v31, v30 offset:1392
	ds_read_b128 v[24:27], v30 offset:1456
	s_waitcnt lgkmcnt(2)
	v_fma_f32 v16, -v12, v34, v16
	v_fma_f32 v16, -v13, v35, v16
	;; [unrolled: 1-line block ×4, first 2 shown]
	s_waitcnt lgkmcnt(0)
	v_mul_f32_e32 v24, v0, v24
	ds_read_b128 v[34:37], v30 offset:1472
	v_fma_f32 v17, s16, v17, -v24
	v_fma_f32 v17, -v1, v25, v17
	v_fma_f32 v17, -v2, v26, v17
	;; [unrolled: 1-line block ×3, first 2 shown]
	ds_read_b128 v[24:27], v30 offset:1488
	s_waitcnt lgkmcnt(1)
	v_fma_f32 v17, -v8, v34, v17
	v_fma_f32 v17, -v9, v35, v17
	;; [unrolled: 1-line block ×4, first 2 shown]
	ds_read_b64 v[38:39], v30 offset:1504
	ds_read_b128 v[34:37], v30 offset:1568
	s_waitcnt lgkmcnt(2)
	v_fma_f32 v17, -v12, v24, v17
	v_fma_f32 v17, -v13, v25, v17
	;; [unrolled: 1-line block ×4, first 2 shown]
	s_waitcnt lgkmcnt(0)
	v_mul_f32_e32 v24, v0, v34
	v_fma_f32 v18, s16, v18, -v24
	ds_read_b128 v[24:27], v30 offset:1584
	v_fma_f32 v18, -v1, v35, v18
	v_fma_f32 v18, -v2, v36, v18
	;; [unrolled: 1-line block ×3, first 2 shown]
	ds_read_b128 v[34:37], v30 offset:1600
	s_waitcnt lgkmcnt(1)
	v_fma_f32 v18, -v8, v24, v18
	v_mul_f32_e32 v16, v16, v31
	v_fma_f32 v18, -v9, v25, v18
	v_fma_f32 v17, -v16, v38, v17
	;; [unrolled: 1-line block ×3, first 2 shown]
	v_mul_f32_e32 v17, v17, v39
	v_fma_f32 v18, -v11, v27, v18
	ds_read_b96 v[38:40], v30 offset:1616
	ds_read_b128 v[24:27], v30 offset:1680
	s_waitcnt lgkmcnt(2)
	v_fma_f32 v18, -v12, v34, v18
	v_fma_f32 v18, -v13, v35, v18
	;; [unrolled: 1-line block ×4, first 2 shown]
	s_waitcnt lgkmcnt(0)
	v_mul_f32_e32 v24, v0, v24
	ds_read_b128 v[34:37], v30 offset:1696
	v_fma_f32 v19, s16, v19, -v24
	v_fma_f32 v19, -v1, v25, v19
	v_fma_f32 v19, -v2, v26, v19
	;; [unrolled: 1-line block ×3, first 2 shown]
	ds_read_b128 v[24:27], v30 offset:1712
	s_waitcnt lgkmcnt(1)
	v_fma_f32 v19, -v8, v34, v19
	v_fma_f32 v19, -v9, v35, v19
	;; [unrolled: 1-line block ×4, first 2 shown]
	s_waitcnt lgkmcnt(0)
	v_fma_f32 v19, -v12, v24, v19
	ds_read_b128 v[34:37], v30 offset:1728
	v_fma_f32 v19, -v13, v25, v19
	v_fma_f32 v19, -v14, v26, v19
	;; [unrolled: 1-line block ×3, first 2 shown]
	ds_read_b128 v[24:27], v30 offset:1792
	v_fma_f32 v18, -v16, v38, v18
	v_fma_f32 v18, -v17, v39, v18
	s_waitcnt lgkmcnt(1)
	v_fma_f32 v19, -v16, v34, v19
	v_mul_f32_e32 v18, v18, v40
	v_fma_f32 v19, -v17, v35, v19
	v_fma_f32 v19, -v18, v36, v19
	v_mul_f32_e32 v19, v19, v37
	s_waitcnt lgkmcnt(0)
	v_mul_f32_e32 v24, v0, v24
	global_store_dwordx4 v[32:33], v[16:19], off offset:48
	s_waitcnt vmcnt(4)
	v_fma_f32 v24, s16, v46, -v24
	ds_read_b128 v[34:37], v30 offset:1808
	ds_read_b128 v[38:41], v30 offset:1824
	;; [unrolled: 1-line block ×3, first 2 shown]
	v_fma_f32 v24, -v1, v25, v24
	v_fma_f32 v24, -v2, v26, v24
	;; [unrolled: 1-line block ×3, first 2 shown]
	s_waitcnt lgkmcnt(2)
	v_fma_f32 v24, -v8, v34, v24
	v_fma_f32 v24, -v9, v35, v24
	;; [unrolled: 1-line block ×4, first 2 shown]
	s_waitcnt lgkmcnt(1)
	v_fma_f32 v24, -v12, v38, v24
	v_fma_f32 v24, -v13, v39, v24
	;; [unrolled: 1-line block ×4, first 2 shown]
	ds_read_b32 v25, v30 offset:1856
	ds_read_b128 v[34:37], v30 offset:1904
	s_waitcnt lgkmcnt(2)
	v_fma_f32 v24, -v16, v42, v24
	v_fma_f32 v24, -v17, v43, v24
	;; [unrolled: 1-line block ×4, first 2 shown]
	s_waitcnt lgkmcnt(1)
	v_mul_f32_e32 v24, v24, v25
	ds_read_b128 v[38:41], v30 offset:1920
	s_waitcnt lgkmcnt(1)
	v_mul_f32_e32 v25, v0, v34
	v_fma_f32 v25, s16, v47, -v25
	v_fma_f32 v25, -v1, v35, v25
	v_fma_f32 v25, -v2, v36, v25
	v_fma_f32 v25, -v3, v37, v25
	ds_read_b128 v[34:37], v30 offset:1936
	s_waitcnt lgkmcnt(1)
	v_fma_f32 v25, -v8, v38, v25
	v_fma_f32 v25, -v9, v39, v25
	v_fma_f32 v25, -v10, v40, v25
	v_fma_f32 v25, -v11, v41, v25
	ds_read_b128 v[38:41], v30 offset:1952
	s_waitcnt lgkmcnt(1)
	v_fma_f32 v25, -v12, v34, v25
	v_fma_f32 v25, -v13, v35, v25
	v_fma_f32 v25, -v14, v36, v25
	v_fma_f32 v25, -v15, v37, v25
	ds_read_b128 v[34:37], v30 offset:2016
	s_waitcnt lgkmcnt(1)
	v_fma_f32 v27, -v16, v38, v25
	ds_read_b64 v[25:26], v30 offset:1968
	v_fma_f32 v27, -v17, v39, v27
	v_fma_f32 v27, -v18, v40, v27
	;; [unrolled: 1-line block ×3, first 2 shown]
	ds_read_b128 v[38:41], v30 offset:2032
	s_waitcnt lgkmcnt(1)
	v_fma_f32 v25, -v24, v25, v27
	v_mul_f32_e32 v25, v25, v26
	v_mul_f32_e32 v26, v0, v34
	v_fma_f32 v26, s16, v48, -v26
	v_fma_f32 v26, -v1, v35, v26
	v_fma_f32 v26, -v2, v36, v26
	;; [unrolled: 1-line block ×3, first 2 shown]
	ds_read_b128 v[34:37], v30 offset:2048
	s_waitcnt lgkmcnt(1)
	v_fma_f32 v26, -v8, v38, v26
	v_fma_f32 v26, -v9, v39, v26
	;; [unrolled: 1-line block ×4, first 2 shown]
	ds_read_b128 v[38:41], v30 offset:2064
	s_waitcnt lgkmcnt(1)
	v_fma_f32 v26, -v12, v34, v26
	v_fma_f32 v26, -v13, v35, v26
	;; [unrolled: 1-line block ×4, first 2 shown]
	ds_read_b96 v[42:44], v30 offset:2080
	ds_read_b128 v[34:37], v30 offset:2128
	s_waitcnt lgkmcnt(2)
	v_fma_f32 v26, -v16, v38, v26
	v_fma_f32 v26, -v17, v39, v26
	v_fma_f32 v26, -v18, v40, v26
	v_fma_f32 v26, -v19, v41, v26
	ds_read_b128 v[38:41], v30 offset:2144
	s_waitcnt lgkmcnt(1)
	v_mul_f32_e32 v27, v0, v34
	v_fma_f32 v27, s16, v49, -v27
	v_fma_f32 v27, -v1, v35, v27
	v_fma_f32 v27, -v2, v36, v27
	v_fma_f32 v27, -v3, v37, v27
	ds_read_b128 v[34:37], v30 offset:2160
	s_waitcnt lgkmcnt(1)
	v_fma_f32 v27, -v8, v38, v27
	v_fma_f32 v27, -v9, v39, v27
	v_fma_f32 v27, -v10, v40, v27
	v_fma_f32 v27, -v11, v41, v27
	ds_read_b128 v[38:41], v30 offset:2176
	s_waitcnt lgkmcnt(1)
	v_fma_f32 v27, -v12, v34, v27
	v_fma_f32 v27, -v13, v35, v27
	v_fma_f32 v27, -v14, v36, v27
	v_fma_f32 v27, -v15, v37, v27
	ds_read_b128 v[34:37], v30 offset:2192
	s_waitcnt lgkmcnt(1)
	v_fma_f32 v27, -v16, v38, v27
	v_fma_f32 v27, -v17, v39, v27
	v_fma_f32 v27, -v18, v40, v27
	;; [unrolled: 1-line block ×3, first 2 shown]
	ds_read_b128 v[38:41], v30 offset:2240
	v_fma_f32 v26, -v24, v42, v26
	v_fma_f32 v26, -v25, v43, v26
	s_waitcnt lgkmcnt(1)
	v_fma_f32 v27, -v24, v34, v27
	v_mul_f32_e32 v26, v26, v44
	v_fma_f32 v27, -v25, v35, v27
	v_fma_f32 v27, -v26, v36, v27
	v_mul_f32_e32 v27, v27, v37
	s_waitcnt lgkmcnt(0)
	v_mul_f32_e32 v31, v0, v38
	global_store_dwordx4 v[32:33], v[24:27], off offset:64
	v_fma_f32 v20, s16, v20, -v31
	ds_read_b128 v[34:37], v30 offset:2256
	ds_read_b128 v[42:45], v30 offset:2272
	;; [unrolled: 1-line block ×3, first 2 shown]
	v_fma_f32 v20, -v1, v39, v20
	v_fma_f32 v20, -v2, v40, v20
	;; [unrolled: 1-line block ×3, first 2 shown]
	s_waitcnt lgkmcnt(2)
	v_fma_f32 v20, -v8, v34, v20
	v_fma_f32 v20, -v9, v35, v20
	;; [unrolled: 1-line block ×4, first 2 shown]
	s_waitcnt lgkmcnt(1)
	v_fma_f32 v20, -v12, v42, v20
	v_fma_f32 v20, -v13, v43, v20
	v_fma_f32 v20, -v14, v44, v20
	v_fma_f32 v20, -v15, v45, v20
	ds_read_b128 v[34:37], v30 offset:2304
	s_waitcnt lgkmcnt(1)
	v_fma_f32 v20, -v16, v46, v20
	v_fma_f32 v20, -v17, v47, v20
	;; [unrolled: 1-line block ×4, first 2 shown]
	ds_read_b32 v31, v30 offset:2320
	ds_read_b128 v[38:41], v30 offset:2352
	s_waitcnt lgkmcnt(2)
	v_fma_f32 v20, -v24, v34, v20
	v_fma_f32 v20, -v25, v35, v20
	;; [unrolled: 1-line block ×4, first 2 shown]
	s_waitcnt lgkmcnt(1)
	v_mul_f32_e32 v20, v20, v31
	s_waitcnt lgkmcnt(0)
	v_mul_f32_e32 v31, v0, v38
	ds_read_b128 v[34:37], v30 offset:2368
	v_fma_f32 v21, s16, v21, -v31
	v_fma_f32 v21, -v1, v39, v21
	v_fma_f32 v21, -v2, v40, v21
	v_fma_f32 v21, -v3, v41, v21
	ds_read_b128 v[38:41], v30 offset:2384
	s_waitcnt lgkmcnt(1)
	v_fma_f32 v21, -v8, v34, v21
	v_fma_f32 v21, -v9, v35, v21
	v_fma_f32 v21, -v10, v36, v21
	v_fma_f32 v21, -v11, v37, v21
	ds_read_b128 v[34:37], v30 offset:2400
	s_waitcnt lgkmcnt(1)
	v_fma_f32 v21, -v12, v38, v21
	;; [unrolled: 6-line block ×3, first 2 shown]
	v_fma_f32 v21, -v17, v35, v21
	v_fma_f32 v21, -v18, v36, v21
	;; [unrolled: 1-line block ×3, first 2 shown]
	ds_read_b64 v[42:43], v30 offset:2432
	ds_read_b128 v[34:37], v30 offset:2464
	s_waitcnt lgkmcnt(2)
	v_fma_f32 v21, -v24, v38, v21
	v_fma_f32 v21, -v25, v39, v21
	;; [unrolled: 1-line block ×4, first 2 shown]
	s_waitcnt lgkmcnt(0)
	v_mul_f32_e32 v31, v0, v34
	ds_read_b128 v[38:41], v30 offset:2480
	v_fma_f32 v22, s16, v22, -v31
	v_fma_f32 v22, -v1, v35, v22
	v_fma_f32 v22, -v2, v36, v22
	v_fma_f32 v22, -v3, v37, v22
	ds_read_b128 v[34:37], v30 offset:2496
	s_waitcnt lgkmcnt(1)
	v_fma_f32 v22, -v8, v38, v22
	v_fma_f32 v22, -v9, v39, v22
	v_fma_f32 v22, -v10, v40, v22
	v_fma_f32 v22, -v11, v41, v22
	ds_read_b128 v[38:41], v30 offset:2512
	s_waitcnt lgkmcnt(1)
	v_fma_f32 v22, -v12, v34, v22
	;; [unrolled: 6-line block ×3, first 2 shown]
	v_fma_f32 v22, -v17, v39, v22
	v_fma_f32 v21, -v20, v42, v21
	;; [unrolled: 1-line block ×3, first 2 shown]
	v_mul_f32_e32 v21, v21, v43
	v_fma_f32 v22, -v19, v41, v22
	ds_read_b96 v[42:44], v30 offset:2544
	ds_read_b128 v[38:41], v30 offset:2576
	s_waitcnt lgkmcnt(2)
	v_fma_f32 v22, -v24, v34, v22
	v_fma_f32 v22, -v25, v35, v22
	;; [unrolled: 1-line block ×4, first 2 shown]
	s_waitcnt lgkmcnt(0)
	v_mul_f32_e32 v31, v0, v38
	ds_read_b128 v[34:37], v30 offset:2592
	v_fma_f32 v23, s16, v23, -v31
	v_fma_f32 v23, -v1, v39, v23
	v_fma_f32 v23, -v2, v40, v23
	v_fma_f32 v23, -v3, v41, v23
	ds_read_b128 v[38:41], v30 offset:2608
	s_waitcnt lgkmcnt(1)
	v_fma_f32 v23, -v8, v34, v23
	v_fma_f32 v23, -v9, v35, v23
	v_fma_f32 v23, -v10, v36, v23
	v_fma_f32 v23, -v11, v37, v23
	ds_read_b128 v[34:37], v30 offset:2624
	s_waitcnt lgkmcnt(1)
	v_fma_f32 v23, -v12, v38, v23
	;; [unrolled: 6-line block ×3, first 2 shown]
	v_fma_f32 v23, -v17, v35, v23
	v_fma_f32 v23, -v18, v36, v23
	;; [unrolled: 1-line block ×3, first 2 shown]
	s_waitcnt lgkmcnt(0)
	v_fma_f32 v23, -v24, v38, v23
	ds_read_b128 v[34:37], v30 offset:2656
	v_fma_f32 v23, -v25, v39, v23
	v_fma_f32 v23, -v26, v40, v23
	;; [unrolled: 1-line block ×3, first 2 shown]
	ds_read_b128 v[38:41], v30 offset:2688
	v_fma_f32 v22, -v20, v42, v22
	v_fma_f32 v22, -v21, v43, v22
	s_waitcnt lgkmcnt(1)
	v_fma_f32 v23, -v20, v34, v23
	v_mul_f32_e32 v22, v22, v44
	v_fma_f32 v23, -v21, v35, v23
	v_fma_f32 v23, -v22, v36, v23
	v_mul_f32_e32 v23, v23, v37
	s_waitcnt lgkmcnt(0)
	v_mul_f32_e32 v31, v0, v38
	global_store_dwordx4 v[32:33], v[20:23], off offset:80
	v_fma_f32 v4, s16, v4, -v31
	ds_read_b128 v[34:37], v30 offset:2704
	ds_read_b128 v[42:45], v30 offset:2720
	;; [unrolled: 1-line block ×3, first 2 shown]
	v_fma_f32 v4, -v1, v39, v4
	v_fma_f32 v4, -v2, v40, v4
	v_fma_f32 v4, -v3, v41, v4
	s_waitcnt lgkmcnt(2)
	v_fma_f32 v4, -v8, v34, v4
	v_fma_f32 v4, -v9, v35, v4
	;; [unrolled: 1-line block ×4, first 2 shown]
	s_waitcnt lgkmcnt(1)
	v_fma_f32 v4, -v12, v42, v4
	v_fma_f32 v4, -v13, v43, v4
	;; [unrolled: 1-line block ×4, first 2 shown]
	ds_read_b128 v[34:37], v30 offset:2752
	ds_read_b128 v[38:41], v30 offset:2768
	s_waitcnt lgkmcnt(2)
	v_fma_f32 v4, -v16, v46, v4
	v_fma_f32 v4, -v17, v47, v4
	;; [unrolled: 1-line block ×4, first 2 shown]
	s_waitcnt lgkmcnt(1)
	v_fma_f32 v4, -v24, v34, v4
	v_fma_f32 v4, -v25, v35, v4
	;; [unrolled: 1-line block ×4, first 2 shown]
	ds_read_b32 v31, v30 offset:2784
	ds_read_b128 v[34:37], v30 offset:2800
	s_waitcnt lgkmcnt(2)
	v_fma_f32 v4, -v20, v38, v4
	v_fma_f32 v4, -v21, v39, v4
	;; [unrolled: 1-line block ×4, first 2 shown]
	s_waitcnt lgkmcnt(1)
	v_mul_f32_e32 v4, v4, v31
	ds_read_b128 v[38:41], v30 offset:2816
	s_waitcnt lgkmcnt(1)
	v_mul_f32_e32 v31, v0, v34
	v_fma_f32 v5, s16, v5, -v31
	v_fma_f32 v5, -v1, v35, v5
	v_fma_f32 v5, -v2, v36, v5
	v_fma_f32 v5, -v3, v37, v5
	ds_read_b128 v[34:37], v30 offset:2832
	s_waitcnt lgkmcnt(1)
	v_fma_f32 v5, -v8, v38, v5
	v_fma_f32 v5, -v9, v39, v5
	v_fma_f32 v5, -v10, v40, v5
	v_fma_f32 v5, -v11, v41, v5
	ds_read_b128 v[38:41], v30 offset:2848
	s_waitcnt lgkmcnt(1)
	v_fma_f32 v5, -v12, v34, v5
	v_fma_f32 v5, -v13, v35, v5
	v_fma_f32 v5, -v14, v36, v5
	v_fma_f32 v5, -v15, v37, v5
	ds_read_b128 v[34:37], v30 offset:2864
	s_waitcnt lgkmcnt(1)
	v_fma_f32 v5, -v16, v38, v5
	v_fma_f32 v5, -v17, v39, v5
	v_fma_f32 v5, -v18, v40, v5
	;; [unrolled: 1-line block ×3, first 2 shown]
	ds_read_b128 v[38:41], v30 offset:2880
	ds_read_b64 v[42:43], v30 offset:2896
	s_waitcnt lgkmcnt(2)
	v_fma_f32 v5, -v24, v34, v5
	v_fma_f32 v5, -v25, v35, v5
	;; [unrolled: 1-line block ×4, first 2 shown]
	ds_read_b128 v[34:37], v30 offset:2912
	s_waitcnt lgkmcnt(2)
	v_fma_f32 v5, -v20, v38, v5
	v_fma_f32 v5, -v21, v39, v5
	;; [unrolled: 1-line block ×4, first 2 shown]
	ds_read_b128 v[38:41], v30 offset:2928
	s_waitcnt lgkmcnt(1)
	v_mul_f32_e32 v31, v0, v34
	v_fma_f32 v6, s16, v6, -v31
	v_fma_f32 v6, -v1, v35, v6
	v_fma_f32 v6, -v2, v36, v6
	v_fma_f32 v6, -v3, v37, v6
	ds_read_b128 v[34:37], v30 offset:2944
	s_waitcnt lgkmcnt(1)
	v_fma_f32 v6, -v8, v38, v6
	v_fma_f32 v6, -v9, v39, v6
	v_fma_f32 v6, -v10, v40, v6
	v_fma_f32 v6, -v11, v41, v6
	ds_read_b128 v[38:41], v30 offset:2960
	s_waitcnt lgkmcnt(1)
	v_fma_f32 v6, -v12, v34, v6
	;; [unrolled: 6-line block ×4, first 2 shown]
	v_fma_f32 v6, -v25, v35, v6
	v_fma_f32 v5, -v4, v42, v5
	;; [unrolled: 1-line block ×3, first 2 shown]
	v_mul_f32_e32 v5, v5, v43
	v_fma_f32 v6, -v27, v37, v6
	ds_read_b96 v[42:44], v30 offset:3008
	ds_read_b128 v[34:37], v30 offset:3024
	s_waitcnt lgkmcnt(2)
	v_fma_f32 v6, -v20, v38, v6
	v_fma_f32 v6, -v21, v39, v6
	v_fma_f32 v6, -v22, v40, v6
	v_fma_f32 v6, -v23, v41, v6
	ds_read_b128 v[38:41], v30 offset:3040
	s_waitcnt lgkmcnt(1)
	v_mul_f32_e32 v0, v0, v34
	v_fma_f32 v0, s16, v7, -v0
	v_fma_f32 v0, -v1, v35, v0
	v_fma_f32 v0, -v2, v36, v0
	;; [unrolled: 1-line block ×3, first 2 shown]
	s_waitcnt lgkmcnt(0)
	v_fma_f32 v7, -v8, v38, v0
	ds_read_b128 v[0:3], v30 offset:3056
	v_fma_f32 v7, -v9, v39, v7
	v_fma_f32 v7, -v10, v40, v7
	;; [unrolled: 1-line block ×3, first 2 shown]
	ds_read_b128 v[7:10], v30 offset:3072
	s_waitcnt lgkmcnt(1)
	v_fma_f32 v0, -v12, v0, v11
	v_fma_f32 v0, -v13, v1, v0
	;; [unrolled: 1-line block ×4, first 2 shown]
	s_waitcnt lgkmcnt(0)
	v_fma_f32 v7, -v16, v7, v0
	ds_read_b128 v[0:3], v30 offset:3088
	v_fma_f32 v7, -v17, v8, v7
	v_fma_f32 v7, -v18, v9, v7
	;; [unrolled: 1-line block ×3, first 2 shown]
	ds_read_b128 v[7:10], v30 offset:3104
	s_waitcnt lgkmcnt(1)
	v_fma_f32 v0, -v24, v0, v11
	v_fma_f32 v0, -v25, v1, v0
	;; [unrolled: 1-line block ×4, first 2 shown]
	ds_read_b128 v[0:3], v30 offset:3120
	s_waitcnt lgkmcnt(1)
	v_fma_f32 v7, -v20, v7, v11
	v_fma_f32 v7, -v21, v8, v7
	;; [unrolled: 1-line block ×6, first 2 shown]
	s_waitcnt lgkmcnt(0)
	v_fma_f32 v0, -v4, v0, v7
	v_mul_f32_e32 v6, v6, v44
	v_fma_f32 v0, -v5, v1, v0
	v_fma_f32 v0, -v6, v2, v0
	v_mul_f32_e32 v7, v0, v3
	global_store_dwordx4 v[32:33], v[4:7], off offset:96
	s_cmp_lt_i32 s0, s17
	s_cbranch_scc1 .LBB32_11
	s_branch .LBB32_24
.LBB32_10:
	s_mov_b32 s0, 0
	s_cmp_lt_i32 s0, s17
	s_cbranch_scc0 .LBB32_24
.LBB32_11:
	s_add_i32 s1, s0, 23
	s_cmp_ge_u32 s1, s17
	s_cbranch_scc1 .LBB32_19
; %bb.12:
	s_lshl_b32 s1, s0, 2
	v_add_co_u32_e32 v8, vcc, s1, v32
	v_addc_co_u32_e32 v9, vcc, 0, v33, vcc
	global_load_dwordx4 v[0:3], v[8:9], off
	global_load_dwordx4 v[4:7], v[8:9], off offset:16
	global_load_dwordx4 v[10:13], v[8:9], off offset:32
	;; [unrolled: 1-line block ×5, first 2 shown]
	s_andn2_b64 vcc, exec, s[8:9]
	s_waitcnt vmcnt(5)
	v_mul_f32_e32 v27, s16, v0
	v_mul_f32_e32 v30, s16, v1
	v_mul_f32_e32 v2, s16, v2
	v_mul_f32_e32 v3, s16, v3
	s_waitcnt vmcnt(4)
	v_mul_f32_e32 v4, s16, v4
	v_mul_f32_e32 v5, s16, v5
	v_mul_f32_e32 v6, s16, v6
	v_mul_f32_e32 v7, s16, v7
	;; [unrolled: 5-line block ×6, first 2 shown]
	s_cbranch_vccnz .LBB32_14
; %bb.13:
	s_mul_i32 s3, s0, 0x70
	s_mov_b64 s[8:9], 0
	s_branch .LBB32_15
.LBB32_14:
	s_mov_b64 s[8:9], -1
                                        ; implicit-def: $sgpr3
.LBB32_15:
	s_andn2_b64 vcc, exec, s[8:9]
	s_cbranch_vccnz .LBB32_18
; %bb.16:
	s_add_u32 s6, s10, s6
	s_addc_u32 s7, s11, s7
	s_add_u32 s4, s6, s4
	s_addc_u32 s5, s7, s5
	v_mov_b32_e32 v0, s5
	v_add_co_u32_e32 v1, vcc, s4, v28
	v_addc_co_u32_e32 v22, vcc, v0, v29, vcc
	s_mul_i32 s3, s0, 0x70
	v_add_co_u32_e32 v0, vcc, 4, v1
	v_addc_co_u32_e32 v1, vcc, 0, v22, vcc
	s_mov_b32 s4, s0
	s_mov_b32 s5, s3
.LBB32_17:                              ; =>This Inner Loop Header: Depth=1
	global_load_dwordx2 v[78:79], v[0:1], off offset:-4
	v_mov_b32_e32 v22, s5
	ds_read2_b64 v[34:37], v22 offset1:14
	ds_read2_b64 v[38:41], v22 offset0:56 offset1:70
	ds_read2_b64 v[42:45], v22 offset0:84 offset1:98
	;; [unrolled: 1-line block ×7, first 2 shown]
	s_add_i32 s5, s5, 8
	v_add_co_u32_e32 v0, vcc, 8, v0
	s_add_i32 s4, s4, -2
	v_addc_co_u32_e32 v1, vcc, 0, v1, vcc
	s_cmp_lg_u32 s4, 0
	s_waitcnt vmcnt(0) lgkmcnt(7)
	v_fma_f32 v27, -v78, v34, v27
	v_fma_f32 v34, -v78, v36, v30
	ds_read2_b64 v[28:31], v22 offset0:28 offset1:42
	s_waitcnt lgkmcnt(7)
	v_fma_f32 v4, -v78, v38, v4
	v_fma_f32 v5, -v78, v40, v5
	s_waitcnt lgkmcnt(6)
	v_fma_f32 v6, -v78, v42, v6
	v_fma_f32 v7, -v78, v44, v7
	s_waitcnt lgkmcnt(0)
	v_fma_f32 v2, -v78, v28, v2
	v_add_u32_e32 v28, 0x400, v22
	v_add_u32_e32 v22, 0x800, v22
	ds_read2_b64 v[66:69], v28 offset0:124 offset1:138
	ds_read2_b64 v[70:73], v22 offset0:24 offset1:38
	;; [unrolled: 1-line block ×3, first 2 shown]
	v_fma_f32 v3, -v78, v30, v3
	v_fma_f32 v26, -v78, v46, v26
	;; [unrolled: 1-line block ×11, first 2 shown]
	s_waitcnt lgkmcnt(2)
	v_fma_f32 v15, -v78, v66, v15
	v_fma_f32 v14, -v78, v68, v14
	s_waitcnt lgkmcnt(1)
	v_fma_f32 v13, -v78, v70, v13
	v_fma_f32 v12, -v78, v72, v12
	;; [unrolled: 3-line block ×3, first 2 shown]
	v_fma_f32 v27, -v79, v35, v27
	v_fma_f32 v30, -v79, v37, v34
	;; [unrolled: 1-line block ×24, first 2 shown]
	s_cbranch_scc1 .LBB32_17
.LBB32_18:
	s_add_i32 s3, s1, s3
	v_mov_b32_e32 v47, s3
	s_or_b32 s3, s0, 1
	s_mulk_i32 s3, 0x70
	ds_read2_b32 v[41:42], v47 offset1:116
	s_add_i32 s1, s1, s3
	v_mov_b32_e32 v22, s1
	ds_read2_b64 v[34:37], v22 offset1:58
	ds_read_b96 v[38:40], v22 offset:112
	ds_read_b128 v[43:46], v22 offset:1024
	s_waitcnt lgkmcnt(3)
	v_mul_f32_e32 v0, v27, v41
	s_add_i32 s0, s0, 24
	s_waitcnt lgkmcnt(2)
	v_fma_f32 v1, -v0, v34, v30
	ds_read_b128 v[27:30], v22 offset:224
	v_mul_f32_e32 v1, v1, v35
	s_waitcnt lgkmcnt(2)
	v_fma_f32 v2, -v0, v38, v2
	v_fma_f32 v2, -v1, v39, v2
	v_mul_f32_e32 v2, v2, v40
	ds_read_b128 v[38:41], v22 offset:336
	s_waitcnt lgkmcnt(1)
	v_fma_f32 v3, -v0, v27, v3
	v_fma_f32 v3, -v1, v28, v3
	;; [unrolled: 1-line block ×3, first 2 shown]
	v_mul_f32_e32 v3, v3, v30
	ds_read_b128 v[27:30], v22 offset:448
	s_waitcnt lgkmcnt(1)
	v_fma_f32 v4, -v0, v38, v4
	v_fma_f32 v4, -v1, v39, v4
	;; [unrolled: 1-line block ×4, first 2 shown]
	ds_read_b128 v[38:41], v22 offset:560
	s_waitcnt lgkmcnt(1)
	v_fma_f32 v5, -v0, v27, v5
	v_fma_f32 v5, -v1, v28, v5
	;; [unrolled: 1-line block ×3, first 2 shown]
	v_mul_f32_e32 v4, v4, v42
	v_fma_f32 v5, -v3, v30, v5
	v_fma_f32 v5, -v4, v36, v5
	ds_read_b96 v[34:36], v22 offset:576
	ds_read_b128 v[27:30], v22 offset:672
	s_waitcnt lgkmcnt(2)
	v_fma_f32 v6, -v0, v38, v6
	v_fma_f32 v6, -v1, v39, v6
	;; [unrolled: 1-line block ×4, first 2 shown]
	v_mul_f32_e32 v5, v5, v37
	s_waitcnt lgkmcnt(1)
	v_fma_f32 v6, -v4, v34, v6
	v_fma_f32 v6, -v5, v35, v6
	v_mul_f32_e32 v6, v6, v36
	ds_read_b128 v[34:37], v22 offset:688
	s_waitcnt lgkmcnt(1)
	v_fma_f32 v7, -v0, v27, v7
	v_fma_f32 v7, -v1, v28, v7
	;; [unrolled: 1-line block ×4, first 2 shown]
	ds_read_b128 v[27:30], v22 offset:784
	s_waitcnt lgkmcnt(1)
	v_fma_f32 v7, -v4, v34, v7
	v_fma_f32 v7, -v5, v35, v7
	v_fma_f32 v7, -v6, v36, v7
	v_mul_f32_e32 v7, v7, v37
	ds_read_b128 v[34:37], v22 offset:800
	ds_read_b128 v[39:42], v22 offset:1008
	s_waitcnt lgkmcnt(2)
	v_fma_f32 v26, -v0, v27, v26
	v_fma_f32 v26, -v1, v28, v26
	;; [unrolled: 1-line block ×4, first 2 shown]
	s_waitcnt lgkmcnt(1)
	v_fma_f32 v26, -v4, v34, v26
	v_add_u32_e32 v27, 0x200, v47
	ds_read2_b32 v[30:31], v27 offset0:104 offset1:220
	v_fma_f32 v34, -v5, v35, v26
	ds_read_b128 v[26:29], v22 offset:896
	v_fma_f32 v34, -v6, v36, v34
	v_fma_f32 v34, -v7, v37, v34
	ds_read_b128 v[35:38], v22 offset:912
	s_waitcnt lgkmcnt(3)
	v_fma_f32 v24, -v0, v39, v24
	s_waitcnt lgkmcnt(1)
	v_fma_f32 v25, -v0, v26, v25
	v_fma_f32 v25, -v1, v27, v25
	;; [unrolled: 1-line block ×4, first 2 shown]
	s_waitcnt lgkmcnt(0)
	v_fma_f32 v29, -v4, v35, v25
	ds_read2_b64 v[25:28], v22 offset0:116 offset1:174
	v_fma_f32 v29, -v5, v36, v29
	v_fma_f32 v29, -v6, v37, v29
	;; [unrolled: 1-line block ×3, first 2 shown]
	v_mul_f32_e32 v34, v34, v30
	v_fma_f32 v29, -v7, v38, v29
	v_fma_f32 v24, -v2, v41, v24
	s_waitcnt lgkmcnt(0)
	v_fma_f32 v25, -v34, v25, v29
	v_fma_f32 v24, -v3, v42, v24
	v_mul_f32_e32 v35, v25, v26
	ds_read_b128 v[37:40], v22 offset:1120
	v_fma_f32 v29, -v4, v43, v24
	ds_read_b96 v[24:26], v22 offset:1040
	v_fma_f32 v29, -v5, v44, v29
	v_fma_f32 v29, -v6, v45, v29
	;; [unrolled: 1-line block ×3, first 2 shown]
	global_store_dwordx4 v[8:9], v[0:3], off
	s_waitcnt lgkmcnt(0)
	v_fma_f32 v24, -v34, v24, v29
	v_fma_f32 v24, -v35, v25, v24
	v_mul_f32_e32 v36, v24, v26
	v_fma_f32 v29, -v0, v37, v23
	ds_read_b128 v[23:26], v22 offset:1136
	v_fma_f32 v29, -v1, v38, v29
	v_fma_f32 v29, -v2, v39, v29
	;; [unrolled: 1-line block ×3, first 2 shown]
	ds_read_b128 v[37:40], v22 offset:1152
	s_waitcnt lgkmcnt(1)
	v_fma_f32 v23, -v4, v23, v29
	v_fma_f32 v23, -v5, v24, v23
	;; [unrolled: 1-line block ×4, first 2 shown]
	s_waitcnt lgkmcnt(0)
	v_fma_f32 v23, -v34, v37, v23
	v_fma_f32 v23, -v35, v38, v23
	;; [unrolled: 1-line block ×3, first 2 shown]
	ds_read_b128 v[23:26], v22 offset:1232
	v_mul_f32_e32 v37, v29, v40
	global_store_dwordx4 v[8:9], v[4:7], off offset:16
	global_store_dwordx4 v[8:9], v[34:37], off offset:32
	ds_read_b128 v[38:41], v22 offset:1248
	ds_read_b128 v[42:45], v22 offset:1264
	s_waitcnt lgkmcnt(2)
	v_fma_f32 v21, -v0, v23, v21
	v_fma_f32 v21, -v1, v24, v21
	;; [unrolled: 1-line block ×4, first 2 shown]
	s_waitcnt lgkmcnt(1)
	v_fma_f32 v21, -v4, v38, v21
	ds_read_b128 v[23:26], v22 offset:1344
	v_fma_f32 v21, -v5, v39, v21
	v_fma_f32 v21, -v6, v40, v21
	;; [unrolled: 1-line block ×3, first 2 shown]
	s_waitcnt lgkmcnt(1)
	v_fma_f32 v21, -v34, v42, v21
	ds_read_b128 v[39:42], v22 offset:1360
	s_waitcnt lgkmcnt(1)
	v_fma_f32 v20, -v0, v23, v20
	v_fma_f32 v20, -v1, v24, v20
	;; [unrolled: 1-line block ×4, first 2 shown]
	ds_read_b128 v[23:26], v22 offset:1376
	s_waitcnt lgkmcnt(1)
	v_fma_f32 v20, -v4, v39, v20
	v_fma_f32 v20, -v5, v40, v20
	;; [unrolled: 1-line block ×5, first 2 shown]
	ds_read_b128 v[40:43], v22 offset:1456
	s_waitcnt lgkmcnt(1)
	v_fma_f32 v20, -v34, v23, v20
	v_fma_f32 v20, -v35, v24, v20
	;; [unrolled: 1-line block ×5, first 2 shown]
	ds_read_b128 v[23:26], v22 offset:1472
	v_fma_f32 v21, -v37, v45, v21
	s_waitcnt lgkmcnt(1)
	v_fma_f32 v19, -v0, v40, v19
	v_mul_f32_e32 v38, v21, v31
	v_fma_f32 v19, -v1, v41, v19
	v_fma_f32 v20, -v38, v27, v20
	;; [unrolled: 1-line block ×3, first 2 shown]
	v_mul_f32_e32 v39, v20, v28
	v_fma_f32 v19, -v3, v43, v19
	ds_read_b128 v[27:30], v22 offset:1488
	s_waitcnt lgkmcnt(1)
	v_fma_f32 v19, -v4, v23, v19
	v_fma_f32 v19, -v5, v24, v19
	;; [unrolled: 1-line block ×4, first 2 shown]
	s_waitcnt lgkmcnt(0)
	v_fma_f32 v23, -v34, v27, v23
	v_fma_f32 v23, -v35, v28, v23
	ds_read_b96 v[19:21], v22 offset:1504
	v_fma_f32 v23, -v36, v29, v23
	v_fma_f32 v27, -v37, v30, v23
	ds_read_b128 v[23:26], v22 offset:1568
	s_waitcnt lgkmcnt(1)
	v_fma_f32 v19, -v38, v19, v27
	ds_read_b128 v[27:30], v22 offset:1584
	v_fma_f32 v19, -v39, v20, v19
	s_waitcnt lgkmcnt(1)
	v_fma_f32 v18, -v0, v23, v18
	v_fma_f32 v18, -v1, v24, v18
	;; [unrolled: 1-line block ×4, first 2 shown]
	v_mul_f32_e32 v40, v19, v21
	s_waitcnt lgkmcnt(0)
	v_fma_f32 v23, -v4, v27, v18
	ds_read_b128 v[18:21], v22 offset:1600
	v_fma_f32 v23, -v5, v28, v23
	v_fma_f32 v23, -v6, v29, v23
	;; [unrolled: 1-line block ×3, first 2 shown]
	ds_read_b128 v[23:26], v22 offset:1616
	s_waitcnt lgkmcnt(1)
	v_fma_f32 v18, -v34, v18, v27
	v_fma_f32 v18, -v35, v19, v18
	;; [unrolled: 1-line block ×4, first 2 shown]
	s_waitcnt lgkmcnt(0)
	v_fma_f32 v18, -v38, v23, v18
	v_fma_f32 v18, -v39, v24, v18
	;; [unrolled: 1-line block ×3, first 2 shown]
	v_mul_f32_e32 v41, v18, v26
	ds_read_b128 v[18:21], v22 offset:1680
	global_store_dwordx4 v[8:9], v[38:41], off offset:48
	ds_read_b128 v[23:26], v22 offset:1696
	ds_read_b128 v[27:30], v22 offset:1712
	;; [unrolled: 1-line block ×3, first 2 shown]
	s_waitcnt lgkmcnt(3)
	v_fma_f32 v17, -v0, v18, v17
	v_fma_f32 v17, -v1, v19, v17
	v_fma_f32 v17, -v2, v20, v17
	v_fma_f32 v17, -v3, v21, v17
	s_waitcnt lgkmcnt(2)
	v_fma_f32 v17, -v4, v23, v17
	v_fma_f32 v17, -v5, v24, v17
	v_fma_f32 v17, -v6, v25, v17
	v_fma_f32 v17, -v7, v26, v17
	s_waitcnt lgkmcnt(1)
	v_fma_f32 v17, -v34, v27, v17
	v_fma_f32 v17, -v35, v28, v17
	v_fma_f32 v17, -v36, v29, v17
	v_fma_f32 v17, -v37, v30, v17
	s_waitcnt lgkmcnt(0)
	v_fma_f32 v17, -v38, v42, v17
	v_add_u32_e32 v18, 0x600, v47
	ds_read2_b32 v[49:50], v18 offset0:80 offset1:196
	v_fma_f32 v21, -v39, v43, v17
	ds_read_b128 v[17:20], v22 offset:1792
	ds_read_b128 v[24:27], v22 offset:1808
	;; [unrolled: 1-line block ×3, first 2 shown]
	v_fma_f32 v21, -v40, v44, v21
	v_fma_f32 v21, -v41, v45, v21
	s_waitcnt lgkmcnt(2)
	v_fma_f32 v16, -v0, v17, v16
	v_fma_f32 v16, -v1, v18, v16
	;; [unrolled: 1-line block ×4, first 2 shown]
	s_waitcnt lgkmcnt(1)
	v_fma_f32 v20, -v4, v24, v16
	ds_read_b128 v[16:19], v22 offset:1824
	v_fma_f32 v20, -v5, v25, v20
	v_fma_f32 v20, -v6, v26, v20
	;; [unrolled: 1-line block ×3, first 2 shown]
	ds_read_b128 v[24:27], v22 offset:1840
	s_waitcnt lgkmcnt(1)
	v_fma_f32 v16, -v34, v16, v20
	v_fma_f32 v16, -v35, v17, v16
	v_fma_f32 v16, -v36, v18, v16
	v_fma_f32 v16, -v37, v19, v16
	ds_read_b128 v[42:45], v22 offset:1920
	s_waitcnt lgkmcnt(1)
	v_fma_f32 v20, -v38, v24, v16
	v_fma_f32 v15, -v0, v28, v15
	;; [unrolled: 1-line block ×8, first 2 shown]
	ds_read_b128 v[25:28], v22 offset:1936
	s_waitcnt lgkmcnt(1)
	v_fma_f32 v15, -v4, v42, v15
	v_add_u32_e32 v16, 0x400, v22
	v_fma_f32 v15, -v5, v43, v15
	ds_read2_b64 v[16:19], v16 offset0:104 offset1:162
	v_fma_f32 v15, -v6, v44, v15
	v_fma_f32 v15, -v7, v45, v15
	ds_read_b128 v[42:45], v22 offset:1952
	s_waitcnt lgkmcnt(2)
	v_fma_f32 v15, -v34, v25, v15
	v_fma_f32 v15, -v35, v26, v15
	v_mul_f32_e32 v23, v21, v49
	v_fma_f32 v15, -v36, v27, v15
	s_waitcnt lgkmcnt(1)
	v_fma_f32 v16, -v23, v16, v20
	v_fma_f32 v15, -v37, v28, v15
	v_mul_f32_e32 v24, v16, v17
	s_waitcnt lgkmcnt(0)
	v_fma_f32 v20, -v38, v42, v15
	ds_read_b96 v[15:17], v22 offset:1968
	ds_read_b128 v[26:29], v22 offset:2016
	v_fma_f32 v20, -v39, v43, v20
	v_fma_f32 v20, -v40, v44, v20
	;; [unrolled: 1-line block ×3, first 2 shown]
	s_waitcnt lgkmcnt(1)
	v_fma_f32 v15, -v23, v15, v20
	v_fma_f32 v15, -v24, v16, v15
	v_mul_f32_e32 v25, v15, v17
	s_waitcnt lgkmcnt(0)
	v_fma_f32 v20, -v0, v26, v14
	ds_read_b128 v[14:17], v22 offset:2032
	v_fma_f32 v20, -v1, v27, v20
	v_fma_f32 v20, -v2, v28, v20
	v_fma_f32 v20, -v3, v29, v20
	ds_read_b128 v[26:29], v22 offset:2048
	s_waitcnt lgkmcnt(1)
	v_fma_f32 v14, -v4, v14, v20
	v_fma_f32 v14, -v5, v15, v14
	;; [unrolled: 1-line block ×4, first 2 shown]
	s_waitcnt lgkmcnt(0)
	v_fma_f32 v20, -v34, v26, v14
	ds_read_b128 v[14:17], v22 offset:2064
	v_fma_f32 v20, -v35, v27, v20
	v_fma_f32 v20, -v36, v28, v20
	;; [unrolled: 1-line block ×3, first 2 shown]
	ds_read_b128 v[26:29], v22 offset:2080
	s_waitcnt lgkmcnt(1)
	v_fma_f32 v14, -v38, v14, v20
	v_fma_f32 v14, -v39, v15, v14
	;; [unrolled: 1-line block ×4, first 2 shown]
	s_waitcnt lgkmcnt(0)
	v_fma_f32 v14, -v23, v26, v14
	v_fma_f32 v14, -v24, v27, v14
	;; [unrolled: 1-line block ×3, first 2 shown]
	v_mul_f32_e32 v26, v14, v29
	ds_read_b128 v[14:17], v22 offset:2128
	global_store_dwordx4 v[8:9], v[23:26], off offset:64
	ds_read_b128 v[27:30], v22 offset:2144
	ds_read_b128 v[42:45], v22 offset:2160
	;; [unrolled: 1-line block ×3, first 2 shown]
	s_waitcnt lgkmcnt(3)
	v_fma_f32 v13, -v0, v14, v13
	v_fma_f32 v13, -v1, v15, v13
	v_fma_f32 v13, -v2, v16, v13
	v_fma_f32 v13, -v3, v17, v13
	s_waitcnt lgkmcnt(2)
	v_fma_f32 v13, -v4, v27, v13
	v_fma_f32 v13, -v5, v28, v13
	v_fma_f32 v13, -v6, v29, v13
	v_fma_f32 v13, -v7, v30, v13
	;; [unrolled: 5-line block ×3, first 2 shown]
	s_waitcnt lgkmcnt(0)
	v_fma_f32 v17, -v38, v46, v13
	ds_read_b128 v[13:16], v22 offset:2192
	ds_read_b128 v[27:30], v22 offset:2240
	v_fma_f32 v17, -v39, v47, v17
	v_fma_f32 v17, -v40, v48, v17
	;; [unrolled: 1-line block ×3, first 2 shown]
	s_waitcnt lgkmcnt(1)
	v_fma_f32 v13, -v23, v13, v17
	v_fma_f32 v13, -v24, v14, v13
	v_fma_f32 v13, -v25, v15, v13
	v_fma_f32 v13, -v26, v16, v13
	ds_read_b128 v[14:17], v22 offset:2256
	s_waitcnt lgkmcnt(1)
	v_fma_f32 v12, -v0, v27, v12
	v_fma_f32 v12, -v1, v28, v12
	v_fma_f32 v12, -v2, v29, v12
	v_fma_f32 v12, -v3, v30, v12
	ds_read_b128 v[27:30], v22 offset:2272
	;; [unrolled: 6-line block ×4, first 2 shown]
	s_waitcnt lgkmcnt(1)
	v_fma_f32 v12, -v38, v14, v12
	v_fma_f32 v12, -v39, v15, v12
	;; [unrolled: 1-line block ×4, first 2 shown]
	s_waitcnt lgkmcnt(0)
	v_fma_f32 v12, -v23, v27, v12
	ds_read_b128 v[42:45], v22 offset:2352
	v_fma_f32 v12, -v24, v28, v12
	v_fma_f32 v12, -v25, v29, v12
	v_mul_f32_e32 v13, v13, v50
	v_fma_f32 v12, -v26, v30, v12
	v_fma_f32 v12, -v13, v18, v12
	ds_read_b128 v[15:18], v22 offset:2368
	s_waitcnt lgkmcnt(1)
	v_fma_f32 v11, -v0, v42, v11
	v_fma_f32 v11, -v1, v43, v11
	v_fma_f32 v11, -v2, v44, v11
	v_fma_f32 v11, -v3, v45, v11
	ds_read_b128 v[27:30], v22 offset:2384
	s_waitcnt lgkmcnt(1)
	v_fma_f32 v11, -v4, v15, v11
	v_fma_f32 v11, -v5, v16, v11
	;; [unrolled: 6-line block ×3, first 2 shown]
	v_fma_f32 v11, -v36, v29, v11
	v_fma_f32 v11, -v37, v30, v11
	ds_read_b128 v[27:30], v22 offset:2416
	ds_read_b96 v[42:44], v22 offset:2432
	s_waitcnt lgkmcnt(2)
	v_fma_f32 v11, -v38, v15, v11
	v_fma_f32 v11, -v39, v16, v11
	;; [unrolled: 1-line block ×3, first 2 shown]
	v_mul_f32_e32 v14, v12, v19
	v_fma_f32 v11, -v41, v18, v11
	ds_read_b128 v[16:19], v22 offset:2464
	s_waitcnt lgkmcnt(2)
	v_fma_f32 v11, -v23, v27, v11
	v_fma_f32 v11, -v24, v28, v11
	;; [unrolled: 1-line block ×4, first 2 shown]
	ds_read_b128 v[27:30], v22 offset:2480
	s_waitcnt lgkmcnt(1)
	v_fma_f32 v0, -v0, v16, v10
	v_fma_f32 v0, -v1, v17, v0
	;; [unrolled: 1-line block ×4, first 2 shown]
	s_waitcnt lgkmcnt(0)
	v_fma_f32 v4, -v4, v27, v0
	ds_read_b128 v[0:3], v22 offset:2496
	v_fma_f32 v4, -v5, v28, v4
	v_fma_f32 v4, -v6, v29, v4
	;; [unrolled: 1-line block ×3, first 2 shown]
	ds_read_b128 v[4:7], v22 offset:2512
	s_waitcnt lgkmcnt(1)
	v_fma_f32 v0, -v34, v0, v10
	v_fma_f32 v0, -v35, v1, v0
	;; [unrolled: 1-line block ×4, first 2 shown]
	s_waitcnt lgkmcnt(0)
	v_fma_f32 v4, -v38, v4, v0
	ds_read_b128 v[0:3], v22 offset:2528
	v_fma_f32 v4, -v39, v5, v4
	v_fma_f32 v4, -v40, v6, v4
	;; [unrolled: 1-line block ×3, first 2 shown]
	ds_read_b128 v[4:7], v22 offset:2544
	s_waitcnt lgkmcnt(1)
	v_fma_f32 v0, -v23, v0, v10
	v_fma_f32 v0, -v24, v1, v0
	;; [unrolled: 1-line block ×6, first 2 shown]
	s_waitcnt lgkmcnt(0)
	v_fma_f32 v0, -v13, v4, v0
	v_mul_f32_e32 v15, v11, v44
	v_fma_f32 v0, -v14, v5, v0
	v_fma_f32 v0, -v15, v6, v0
	v_mul_f32_e32 v16, v0, v7
	global_store_dwordx4 v[8:9], v[13:16], off offset:80
.LBB32_19:
	s_cmp_ge_i32 s0, s17
	s_cbranch_scc1 .LBB32_24
; %bb.20:
	s_mul_i32 s3, s0, 0x70
	s_mov_b32 s1, 0
	s_branch .LBB32_22
.LBB32_21:                              ;   in Loop: Header=BB32_22 Depth=1
	s_mul_i32 s4, s0, 0x74
	v_mov_b32_e32 v2, s4
	ds_read_b32 v2, v2
	s_add_i32 s0, s0, 1
	s_addk_i32 s3, 0x70
	s_cmp_ge_i32 s0, s17
	s_waitcnt lgkmcnt(0)
	v_mul_f32_e32 v2, v4, v2
	global_store_dword v[0:1], v2, off
	s_cbranch_scc1 .LBB32_24
.LBB32_22:                              ; =>This Loop Header: Depth=1
                                        ;     Child Loop BB32_23 Depth 2
	s_lshl_b64 s[4:5], s[0:1], 2
	v_mov_b32_e32 v1, s5
	v_add_co_u32_e32 v0, vcc, s4, v32
	v_addc_co_u32_e32 v1, vcc, v33, v1, vcc
	global_load_dword v4, v[0:1], off
	v_mov_b32_e32 v2, v32
	v_mov_b32_e32 v3, v33
	s_mov_b32 s4, s0
	s_cmp_eq_u32 s0, 0
	s_mov_b32 s5, s3
	s_waitcnt vmcnt(0)
	v_mul_f32_e32 v4, s16, v4
	s_cbranch_scc1 .LBB32_21
.LBB32_23:                              ;   Parent Loop BB32_22 Depth=1
                                        ; =>  This Inner Loop Header: Depth=2
	global_load_dword v5, v[2:3], off
	v_mov_b32_e32 v6, s5
	ds_read_b32 v6, v6
	s_add_i32 s5, s5, 4
	s_add_i32 s4, s4, -1
	v_add_co_u32_e32 v2, vcc, 4, v2
	v_addc_co_u32_e32 v3, vcc, 0, v3, vcc
	s_cmp_lg_u32 s4, 0
	s_waitcnt vmcnt(0) lgkmcnt(0)
	v_fma_f32 v4, -v5, v6, v4
	s_cbranch_scc1 .LBB32_23
	s_branch .LBB32_21
.LBB32_24:
	s_mov_b64 s[0:1], 0
.LBB32_25:
	s_and_b64 vcc, exec, s[0:1]
	s_cbranch_vccz .LBB32_105
; %bb.26:
	s_add_i32 s8, s17, -1
	s_cmp_gt_i32 s2, 27
	s_cbranch_scc0 .LBB32_82
; %bb.27:
	global_load_dwordx4 v[3:6], v[32:33], off offset:96
	global_load_dwordx4 v[7:10], v[32:33], off offset:80
	;; [unrolled: 1-line block ×6, first 2 shown]
	global_load_dwordx4 v[27:30], v[32:33], off
	s_mov_b64 s[0:1], 0
	s_movk_i32 s2, 0xc38
	s_waitcnt vmcnt(6)
	v_mul_f32_e32 v2, s16, v4
	v_mov_b32_e32 v4, 0
	ds_read_b32 v31, v4 offset:3132
	v_mul_f32_e32 v0, s16, v6
	v_mul_f32_e32 v1, s16, v5
	v_mul_f32_e32 v3, s16, v3
	s_waitcnt vmcnt(5)
	v_mul_f32_e32 v4, s16, v10
	v_mul_f32_e32 v5, s16, v9
	v_mul_f32_e32 v6, s16, v8
	v_mul_f32_e32 v7, s16, v7
	s_waitcnt vmcnt(4)
	v_mul_f32_e32 v8, s16, v14
	;; [unrolled: 5-line block ×6, first 2 shown]
	v_mul_f32_e32 v25, s16, v29
	v_mul_f32_e32 v26, s16, v28
	v_mul_f32_e32 v27, s16, v27
	s_waitcnt lgkmcnt(0)
	v_mul_f32_e32 v0, v0, v31
	global_store_dword v[32:33], v0, off offset:108
.LBB32_28:                              ; =>This Inner Loop Header: Depth=1
	s_set_gpr_idx_on s0, gpr_idx(SRC0)
	v_mov_b32_e32 v28, v0
	s_set_gpr_idx_off
	v_mov_b32_e32 v29, s2
	ds_read_b32 v29, v29
	s_add_u32 s0, s0, 1
	s_addc_u32 s1, s1, 0
	s_addk_i32 s2, 0xff90
	s_cmp_lg_u32 s0, 1
	s_waitcnt lgkmcnt(0)
	v_fma_f32 v1, -v28, v29, v1
	s_cbranch_scc1 .LBB32_28
; %bb.29:
	v_mov_b32_e32 v28, 0
	ds_read_b32 v28, v28 offset:3016
	s_mov_b64 s[0:1], 0
	s_movk_i32 s2, 0xc34
	s_waitcnt lgkmcnt(0)
	v_mul_f32_e32 v1, v1, v28
	global_store_dword v[32:33], v1, off offset:104
.LBB32_30:                              ; =>This Inner Loop Header: Depth=1
	s_set_gpr_idx_on s0, gpr_idx(SRC0)
	v_mov_b32_e32 v28, v0
	s_set_gpr_idx_off
	v_mov_b32_e32 v29, s2
	ds_read_b32 v29, v29
	s_add_u32 s0, s0, 1
	s_addc_u32 s1, s1, 0
	s_addk_i32 s2, 0xff90
	s_cmp_lg_u32 s0, 2
	s_waitcnt lgkmcnt(0)
	v_fma_f32 v2, -v28, v29, v2
	s_cbranch_scc1 .LBB32_30
; %bb.31:
	v_mov_b32_e32 v28, 0
	ds_read_b32 v28, v28 offset:2900
	s_mov_b64 s[0:1], 0
	s_movk_i32 s2, 0xc30
	;; [unrolled: 21-line block ×26, first 2 shown]
	s_waitcnt lgkmcnt(0)
	v_mul_f32_e32 v26, v26, v28
	global_store_dword v[32:33], v26, off offset:4
.LBB32_80:                              ; =>This Inner Loop Header: Depth=1
	s_set_gpr_idx_on s0, gpr_idx(SRC0)
	v_mov_b32_e32 v28, v0
	s_set_gpr_idx_off
	v_mov_b32_e32 v29, s2
	ds_read_b32 v29, v29
	s_add_u32 s0, s0, 1
	s_addc_u32 s1, s1, 0
	s_addk_i32 s2, 0xff90
	s_cmp_lg_u32 s0, 27
	s_waitcnt lgkmcnt(0)
	v_fma_f32 v27, -v28, v29, v27
	s_cbranch_scc1 .LBB32_80
; %bb.81:
	v_mov_b32_e32 v0, 0
	ds_read_b32 v0, v0
	s_mov_b32 s0, -1
	s_waitcnt lgkmcnt(0)
	v_mul_f32_e32 v0, v27, v0
	global_store_dword v[32:33], v0, off
	s_cmp_gt_i32 s0, -1
	s_cbranch_scc1 .LBB32_83
	s_branch .LBB32_105
.LBB32_82:
	s_mov_b32 s0, s8
	s_cmp_gt_i32 s0, -1
	s_cbranch_scc0 .LBB32_105
.LBB32_83:
	s_cmp_lt_u32 s0, 23
	s_cbranch_scc1 .LBB32_88
; %bb.84:
	s_mov_b32 s3, 0
	s_mov_b32 s1, s3
	s_lshl_b64 s[4:5], s[0:1], 2
	v_mov_b32_e32 v1, s5
	v_add_co_u32_e32 v0, vcc, s4, v32
	v_addc_co_u32_e32 v1, vcc, v33, v1, vcc
	global_load_dwordx4 v[2:5], v[0:1], off offset:-12
	global_load_dwordx4 v[10:13], v[0:1], off offset:-28
	;; [unrolled: 1-line block ×6, first 2 shown]
	s_cmp_le_i32 s8, s0
	s_waitcnt vmcnt(5)
	v_mul_f32_e32 v5, s16, v5
	v_mul_f32_e32 v25, s16, v4
	v_mul_f32_e32 v24, s16, v3
	v_mul_f32_e32 v6, s16, v2
	s_waitcnt vmcnt(4)
	v_mul_f32_e32 v7, s16, v13
	v_mul_f32_e32 v8, s16, v12
	v_mul_f32_e32 v9, s16, v11
	v_mul_f32_e32 v10, s16, v10
	;; [unrolled: 5-line block ×6, first 2 shown]
	s_cbranch_scc1 .LBB32_87
; %bb.85:
	s_mul_i32 s1, s17, 0x70
	s_lshl_b32 s2, s0, 2
	s_add_i32 s1, s1, s2
	s_addk_i32 s1, 0xff34
	s_mov_b32 s2, s8
.LBB32_86:                              ; =>This Inner Loop Header: Depth=1
	s_lshl_b64 s[4:5], s[2:3], 2
	v_mov_b32_e32 v27, s5
	v_add_co_u32_e32 v26, vcc, s4, v32
	v_addc_co_u32_e32 v27, vcc, v33, v27, vcc
	global_load_dword v52, v[26:27], off
	v_mov_b32_e32 v50, s1
	ds_read2_b32 v[26:27], v50 offset0:22 offset1:23
	ds_read2_b32 v[28:29], v50 offset0:20 offset1:21
	;; [unrolled: 1-line block ×11, first 2 shown]
	ds_read2_b32 v[50:51], v50 offset1:1
	s_add_i32 s2, s2, -1
	s_addk_i32 s1, 0xff90
	s_cmp_gt_i32 s2, s0
	s_waitcnt vmcnt(0) lgkmcnt(11)
	v_fma_f32 v5, -v52, v27, v5
	v_fma_f32 v25, -v52, v26, v25
	s_waitcnt lgkmcnt(10)
	v_fma_f32 v24, -v52, v29, v24
	v_fma_f32 v6, -v52, v28, v6
	s_waitcnt lgkmcnt(9)
	;; [unrolled: 3-line block ×11, first 2 shown]
	v_fma_f32 v3, -v52, v51, v3
	v_fma_f32 v2, -v52, v50, v2
	s_cbranch_scc1 .LBB32_86
.LBB32_87:
	s_add_i32 s2, s0, -1
	s_lshl_b32 s3, s2, 2
	s_mul_i32 s1, s0, 0x70
	s_add_i32 s4, s3, s1
	s_add_i32 s9, s1, 0xffffff90
	s_add_i32 s6, s0, -3
	v_mov_b32_e32 v26, s4
	s_add_i32 s3, s3, s9
	s_lshl_b32 s7, s6, 2
	ds_read2_b32 v[26:27], v26 offset1:1
	v_mov_b32_e32 v28, s3
	s_add_i32 s3, s7, s1
	v_mov_b32_e32 v29, s3
	s_add_i32 s3, s7, s9
	v_mov_b32_e32 v30, s3
	ds_read_b32 v34, v28
	ds_read2_b32 v[28:29], v29 offset1:1
	ds_read2_b32 v[30:31], v30 offset1:1
	s_mov_b32 s3, 0
	s_waitcnt lgkmcnt(3)
	v_mul_f32_e32 v5, v5, v27
	s_lshl_b64 s[4:5], s[2:3], 2
	s_add_i32 s10, s1, 0xffffff20
	global_store_dword v[0:1], v5, off
	v_fma_f32 v0, -v5, v26, v25
	v_mov_b32_e32 v1, s5
	v_add_co_u32_e32 v25, vcc, s4, v32
	s_add_i32 s4, s7, s10
	s_waitcnt lgkmcnt(2)
	v_mul_f32_e32 v0, v0, v34
	v_addc_co_u32_e32 v26, vcc, v33, v1, vcc
	s_waitcnt lgkmcnt(1)
	v_fma_f32 v1, -v5, v29, v24
	v_mov_b32_e32 v24, s4
	s_add_i32 s11, s1, 0xfffffeb0
	global_store_dword v[25:26], v0, off
	ds_read2_b32 v[24:25], v24 offset1:1
	s_add_i32 s4, s7, s11
	v_mov_b32_e32 v26, s4
	s_add_i32 s4, s0, -5
	s_lshl_b32 s5, s4, 2
	s_add_i32 s2, s0, -2
	s_add_i32 s7, s5, s1
	s_waitcnt lgkmcnt(1)
	v_fma_f32 v1, -v0, v31, v1
	v_mov_b32_e32 v27, s7
	s_add_i32 s7, s5, s9
	s_lshl_b64 s[12:13], s[2:3], 2
	v_mov_b32_e32 v29, s7
	ds_read_b32 v31, v26
	ds_read2_b32 v[26:27], v27 offset1:1
	ds_read2_b32 v[34:35], v29 offset1:1
	s_waitcnt lgkmcnt(3)
	v_mul_f32_e32 v1, v1, v25
	v_mov_b32_e32 v25, s13
	v_add_co_u32_e32 v36, vcc, s12, v32
	v_fma_f32 v6, -v5, v28, v6
	s_mov_b32 s7, s3
	v_addc_co_u32_e32 v37, vcc, v33, v25, vcc
	v_fma_f32 v6, -v0, v30, v6
	s_lshl_b64 s[6:7], s[6:7], 2
	v_fma_f32 v6, -v1, v24, v6
	v_mov_b32_e32 v25, s7
	v_add_co_u32_e32 v24, vcc, s6, v32
	s_waitcnt lgkmcnt(2)
	v_mul_f32_e32 v6, v6, v31
	v_addc_co_u32_e32 v25, vcc, v33, v25, vcc
	s_add_i32 s6, s5, s10
	global_store_dword v[24:25], v6, off
	v_mov_b32_e32 v24, s6
	s_add_i32 s6, s5, s11
	s_add_i32 s12, s1, 0xfffffe40
	s_waitcnt lgkmcnt(1)
	v_fma_f32 v7, -v5, v27, v7
	v_mov_b32_e32 v27, s6
	s_add_i32 s6, s5, s12
	global_store_dword v[36:37], v1, off
	v_mov_b32_e32 v29, s6
	ds_read2_b32 v[24:25], v24 offset1:1
	ds_read2_b32 v[27:28], v27 offset1:1
	;; [unrolled: 1-line block ×3, first 2 shown]
	s_add_i32 s13, s1, 0xfffffdd0
	s_waitcnt lgkmcnt(3)
	v_fma_f32 v7, -v0, v35, v7
	s_add_i32 s5, s5, s13
	s_add_i32 s2, s0, -4
	v_mov_b32_e32 v31, s5
	s_waitcnt lgkmcnt(2)
	v_fma_f32 v7, -v1, v25, v7
	ds_read_b32 v35, v31
	s_waitcnt lgkmcnt(2)
	v_fma_f32 v7, -v6, v28, v7
	s_lshl_b64 s[6:7], s[2:3], 2
	v_fma_f32 v8, -v5, v26, v8
	s_waitcnt lgkmcnt(1)
	v_mul_f32_e32 v7, v7, v30
	v_mov_b32_e32 v25, s7
	v_add_co_u32_e32 v30, vcc, s6, v32
	v_fma_f32 v8, -v0, v34, v8
	s_mov_b32 s5, s3
	v_addc_co_u32_e32 v31, vcc, v33, v25, vcc
	v_fma_f32 v8, -v1, v24, v8
	s_lshl_b64 s[4:5], s[4:5], 2
	v_fma_f32 v8, -v6, v27, v8
	v_add_co_u32_e32 v24, vcc, s4, v32
	s_add_i32 s4, s0, -7
	v_fma_f32 v8, -v7, v29, v8
	v_mov_b32_e32 v25, s5
	s_lshl_b32 s5, s4, 2
	s_waitcnt lgkmcnt(0)
	v_mul_f32_e32 v8, v8, v35
	v_addc_co_u32_e32 v25, vcc, v33, v25, vcc
	s_add_i32 s2, s5, s1
	global_store_dword v[24:25], v8, off
	v_mov_b32_e32 v24, s2
	s_add_i32 s2, s5, s9
	v_mov_b32_e32 v26, s2
	s_add_i32 s2, s5, s10
	;; [unrolled: 2-line block ×3, first 2 shown]
	global_store_dword v[30:31], v7, off
	v_mov_b32_e32 v30, s2
	ds_read2_b32 v[24:25], v24 offset1:1
	ds_read2_b32 v[26:27], v26 offset1:1
	;; [unrolled: 1-line block ×4, first 2 shown]
	s_add_i32 s6, s5, s12
	s_waitcnt lgkmcnt(3)
	v_fma_f32 v9, -v5, v25, v9
	v_mov_b32_e32 v25, s6
	s_add_i32 s6, s5, s13
	s_add_i32 s14, s1, 0xfffffd60
	s_waitcnt lgkmcnt(2)
	v_fma_f32 v9, -v0, v27, v9
	v_mov_b32_e32 v27, s6
	s_add_i32 s6, s5, s14
	s_add_i32 s15, s1, 0xfffffcf0
	s_waitcnt lgkmcnt(1)
	v_fma_f32 v9, -v1, v29, v9
	v_mov_b32_e32 v29, s6
	ds_read2_b32 v[34:35], v25 offset1:1
	ds_read2_b32 v[36:37], v27 offset1:1
	;; [unrolled: 1-line block ×3, first 2 shown]
	s_add_i32 s5, s5, s15
	v_fma_f32 v10, -v5, v24, v10
	v_mov_b32_e32 v25, s5
	v_fma_f32 v10, -v0, v26, v10
	s_waitcnt lgkmcnt(3)
	v_fma_f32 v9, -v6, v31, v9
	ds_read_b32 v25, v25
	v_fma_f32 v10, -v1, v28, v10
	s_add_i32 s2, s0, -6
	s_waitcnt lgkmcnt(3)
	v_fma_f32 v9, -v7, v35, v9
	v_fma_f32 v10, -v6, v30, v10
	s_waitcnt lgkmcnt(2)
	v_fma_f32 v9, -v8, v37, v9
	s_lshl_b64 s[6:7], s[2:3], 2
	v_fma_f32 v10, -v7, v34, v10
	s_waitcnt lgkmcnt(1)
	v_mul_f32_e32 v9, v9, v39
	v_mov_b32_e32 v27, s7
	v_add_co_u32_e32 v39, vcc, s6, v32
	v_fma_f32 v10, -v8, v36, v10
	s_mov_b32 s5, s3
	v_addc_co_u32_e32 v40, vcc, v33, v27, vcc
	v_fma_f32 v10, -v9, v38, v10
	s_lshl_b64 s[4:5], s[4:5], 2
	s_add_i32 s6, s0, -9
	s_waitcnt lgkmcnt(0)
	v_mul_f32_e32 v10, v10, v25
	v_mov_b32_e32 v25, s5
	v_add_co_u32_e32 v24, vcc, s4, v32
	s_lshl_b32 s7, s6, 2
	v_addc_co_u32_e32 v25, vcc, v33, v25, vcc
	s_add_i32 s4, s7, s1
	global_store_dword v[24:25], v10, off
	v_mov_b32_e32 v24, s4
	s_add_i32 s4, s7, s9
	v_mov_b32_e32 v26, s4
	s_add_i32 s4, s7, s10
	global_store_dword v[39:40], v9, off
	v_mov_b32_e32 v28, s4
	ds_read2_b32 v[24:25], v24 offset1:1
	ds_read2_b32 v[26:27], v26 offset1:1
	;; [unrolled: 1-line block ×3, first 2 shown]
	s_add_i32 s4, s7, s11
	v_mov_b32_e32 v30, s4
	s_add_i32 s4, s7, s12
	s_waitcnt lgkmcnt(2)
	v_fma_f32 v12, -v5, v25, v12
	v_mov_b32_e32 v25, s4
	s_add_i32 s4, s7, s13
	s_waitcnt lgkmcnt(1)
	v_fma_f32 v12, -v0, v27, v12
	v_mov_b32_e32 v27, s4
	s_add_i32 s4, s7, s14
	s_add_i32 s2, s0, -8
	s_waitcnt lgkmcnt(0)
	v_fma_f32 v12, -v1, v29, v12
	v_mov_b32_e32 v29, s4
	s_add_i32 s4, s7, s15
	ds_read2_b32 v[30:31], v30 offset1:1
	v_mov_b32_e32 v42, s4
	s_lshl_b64 s[4:5], s[2:3], 2
	s_add_i32 s19, s1, 0xfffffc10
	v_add_co_u32_e32 v34, vcc, s4, v32
	s_add_i32 s4, s7, s19
	ds_read2_b32 v[36:37], v25 offset1:1
	ds_read2_b32 v[38:39], v27 offset1:1
	;; [unrolled: 1-line block ×4, first 2 shown]
	v_mov_b32_e32 v25, s4
	s_add_i32 s4, s0, -11
	v_mov_b32_e32 v35, s5
	s_add_i32 s18, s1, 0xfffffc80
	s_lshl_b32 s5, s4, 2
	v_fma_f32 v13, -v5, v24, v13
	s_add_i32 s2, s7, s18
	s_add_i32 s7, s5, s1
	;; [unrolled: 1-line block ×3, first 2 shown]
	v_fma_f32 v13, -v0, v26, v13
	s_waitcnt lgkmcnt(4)
	v_fma_f32 v12, -v6, v31, v12
	v_mov_b32_e32 v27, s2
	v_mov_b32_e32 v29, s7
	;; [unrolled: 1-line block ×3, first 2 shown]
	ds_read_b32 v25, v25
	ds_read2_b32 v[44:45], v29 offset1:1
	ds_read2_b32 v[46:47], v31 offset1:1
	ds_read2_b32 v[48:49], v27 offset1:1
	v_fma_f32 v13, -v1, v28, v13
	s_waitcnt lgkmcnt(7)
	v_fma_f32 v12, -v7, v37, v12
	v_fma_f32 v13, -v6, v30, v13
	s_waitcnt lgkmcnt(6)
	v_fma_f32 v12, -v8, v39, v12
	;; [unrolled: 3-line block ×4, first 2 shown]
	v_fma_f32 v13, -v9, v40, v13
	s_waitcnt lgkmcnt(0)
	v_mul_f32_e32 v12, v12, v49
	v_fma_f32 v13, -v10, v42, v13
	s_mov_b32 s7, s3
	v_addc_co_u32_e32 v35, vcc, v33, v35, vcc
	v_fma_f32 v13, -v12, v48, v13
	s_lshl_b64 s[6:7], s[6:7], 2
	v_mul_f32_e32 v13, v13, v25
	v_mov_b32_e32 v25, s7
	v_add_co_u32_e32 v24, vcc, s6, v32
	v_addc_co_u32_e32 v25, vcc, v33, v25, vcc
	s_add_i32 s6, s5, s10
	global_store_dword v[24:25], v13, off
	v_mov_b32_e32 v24, s6
	s_add_i32 s6, s5, s11
	v_mov_b32_e32 v26, s6
	s_add_i32 s6, s5, s12
	;; [unrolled: 2-line block ×3, first 2 shown]
	global_store_dword v[34:35], v12, off
	v_mov_b32_e32 v30, s6
	v_fma_f32 v15, -v5, v45, v15
	ds_read2_b32 v[24:25], v24 offset1:1
	ds_read2_b32 v[26:27], v26 offset1:1
	;; [unrolled: 1-line block ×4, first 2 shown]
	v_fma_f32 v15, -v0, v47, v15
	s_add_i32 s6, s5, s14
	s_waitcnt lgkmcnt(3)
	v_fma_f32 v15, -v1, v25, v15
	v_mov_b32_e32 v25, s6
	s_add_i32 s6, s5, s15
	s_add_i32 s2, s0, -10
	s_waitcnt lgkmcnt(2)
	v_fma_f32 v15, -v6, v27, v15
	v_mov_b32_e32 v27, s6
	s_add_i32 s6, s5, s18
	s_waitcnt lgkmcnt(1)
	v_fma_f32 v15, -v7, v29, v15
	v_mov_b32_e32 v29, s6
	s_lshl_b64 s[6:7], s[2:3], 2
	s_waitcnt lgkmcnt(0)
	v_fma_f32 v15, -v8, v31, v15
	s_add_i32 s20, s5, s19
	v_mov_b32_e32 v31, s7
	v_add_co_u32_e32 v34, vcc, s6, v32
	v_fma_f32 v16, -v5, v44, v16
	v_addc_co_u32_e32 v35, vcc, v33, v31, vcc
	v_mov_b32_e32 v31, s20
	s_add_i32 s22, s1, 0xfffffba0
	s_add_i32 s20, s1, 0xfffffb30
	s_add_i32 s6, s0, -13
	v_fma_f32 v16, -v0, v46, v16
	s_add_i32 s2, s5, s22
	s_add_i32 s5, s5, s20
	s_lshl_b32 s7, s6, 2
	v_fma_f32 v16, -v1, v24, v16
	ds_read2_b32 v[36:37], v25 offset1:1
	ds_read2_b32 v[38:39], v27 offset1:1
	;; [unrolled: 1-line block ×4, first 2 shown]
	v_mov_b32_e32 v25, s5
	s_add_i32 s5, s7, s1
	s_add_i32 s21, s7, s9
	v_fma_f32 v16, -v6, v26, v16
	v_mov_b32_e32 v27, s2
	v_mov_b32_e32 v29, s5
	;; [unrolled: 1-line block ×3, first 2 shown]
	ds_read_b32 v25, v25
	ds_read2_b32 v[47:48], v29 offset1:1
	ds_read2_b32 v[49:50], v31 offset1:1
	;; [unrolled: 1-line block ×3, first 2 shown]
	v_fma_f32 v16, -v7, v28, v16
	s_waitcnt lgkmcnt(7)
	v_fma_f32 v15, -v9, v37, v15
	v_fma_f32 v16, -v8, v30, v16
	s_waitcnt lgkmcnt(6)
	v_fma_f32 v15, -v10, v39, v15
	;; [unrolled: 3-line block ×4, first 2 shown]
	v_fma_f32 v16, -v12, v40, v16
	s_waitcnt lgkmcnt(0)
	v_mul_f32_e32 v15, v15, v52
	v_fma_f32 v16, -v13, v42, v16
	s_mov_b32 s5, s3
	v_fma_f32 v16, -v15, v51, v16
	s_lshl_b64 s[4:5], s[4:5], 2
	v_mul_f32_e32 v16, v16, v25
	v_mov_b32_e32 v25, s5
	v_add_co_u32_e32 v24, vcc, s4, v32
	v_addc_co_u32_e32 v25, vcc, v33, v25, vcc
	s_add_i32 s4, s7, s10
	global_store_dword v[24:25], v16, off
	v_mov_b32_e32 v24, s4
	s_add_i32 s4, s7, s11
	v_mov_b32_e32 v26, s4
	s_add_i32 s4, s7, s12
	;; [unrolled: 2-line block ×3, first 2 shown]
	global_store_dword v[34:35], v15, off
	v_mov_b32_e32 v30, s4
	v_fma_f32 v19, -v5, v48, v19
	ds_read2_b32 v[24:25], v24 offset1:1
	ds_read2_b32 v[26:27], v26 offset1:1
	;; [unrolled: 1-line block ×4, first 2 shown]
	v_fma_f32 v19, -v0, v50, v19
	s_add_i32 s4, s7, s14
	s_waitcnt lgkmcnt(3)
	v_fma_f32 v19, -v1, v25, v19
	v_mov_b32_e32 v25, s4
	s_add_i32 s4, s7, s15
	v_fma_f32 v20, -v5, v47, v20
	s_waitcnt lgkmcnt(2)
	v_fma_f32 v19, -v6, v27, v19
	v_mov_b32_e32 v27, s4
	s_add_i32 s4, s7, s18
	ds_read2_b32 v[36:37], v25 offset1:1
	ds_read2_b32 v[38:39], v27 offset1:1
	v_fma_f32 v20, -v0, v49, v20
	s_add_i32 s2, s0, -12
	s_waitcnt lgkmcnt(3)
	v_fma_f32 v19, -v7, v29, v19
	v_mov_b32_e32 v29, s4
	s_add_i32 s21, s7, s19
	v_fma_f32 v20, -v1, v24, v20
	s_lshl_b64 s[4:5], s[2:3], 2
	v_mov_b32_e32 v25, s21
	ds_read2_b32 v[40:41], v29 offset1:1
	ds_read2_b32 v[42:43], v25 offset1:1
	s_add_i32 s23, s1, 0xfffffac0
	s_mul_i32 s21, s0, 0x74
	v_fma_f32 v20, -v6, v26, v20
	s_waitcnt lgkmcnt(4)
	v_fma_f32 v19, -v8, v31, v19
	v_mov_b32_e32 v31, s5
	v_add_co_u32_e32 v34, vcc, s4, v32
	s_add_i32 s2, s7, s22
	s_add_i32 s4, s7, s20
	;; [unrolled: 1-line block ×4, first 2 shown]
	v_fma_f32 v20, -v7, v28, v20
	s_waitcnt lgkmcnt(3)
	v_fma_f32 v19, -v9, v37, v19
	v_mov_b32_e32 v25, s7
	v_fma_f32 v20, -v8, v30, v20
	v_addc_co_u32_e32 v35, vcc, v33, v31, vcc
	s_waitcnt lgkmcnt(2)
	v_fma_f32 v19, -v10, v39, v19
	v_mov_b32_e32 v27, s2
	v_mov_b32_e32 v29, s4
	;; [unrolled: 1-line block ×3, first 2 shown]
	ds_read_b32 v25, v25
	ds_read2_b32 v[44:45], v27 offset1:1
	ds_read2_b32 v[50:51], v29 offset1:1
	;; [unrolled: 1-line block ×3, first 2 shown]
	v_fma_f32 v20, -v9, v36, v20
	s_waitcnt lgkmcnt(5)
	v_fma_f32 v19, -v12, v41, v19
	v_fma_f32 v20, -v10, v38, v20
	s_waitcnt lgkmcnt(4)
	v_fma_f32 v19, -v13, v43, v19
	;; [unrolled: 3-line block ×4, first 2 shown]
	v_fma_f32 v20, -v15, v44, v20
	s_mov_b32 s7, s3
	s_waitcnt lgkmcnt(0)
	v_mul_f32_e32 v19, v19, v53
	v_fma_f32 v20, -v16, v50, v20
	s_lshl_b64 s[4:5], s[6:7], 2
	v_fma_f32 v20, -v19, v52, v20
	v_add_co_u32_e32 v24, vcc, s4, v32
	s_add_i32 s4, s0, -15
	v_mul_f32_e32 v20, v20, v25
	v_mov_b32_e32 v25, s5
	s_lshl_b32 s5, s4, 2
	v_addc_co_u32_e32 v25, vcc, v33, v25, vcc
	s_add_i32 s6, s5, s1
	global_store_dword v[24:25], v20, off
	v_mov_b32_e32 v24, s6
	s_add_i32 s6, s5, s9
	v_mov_b32_e32 v26, s6
	s_add_i32 s6, s5, s10
	global_store_dword v[34:35], v19, off
	v_mov_b32_e32 v28, s6
	ds_read2_b32 v[24:25], v24 offset1:1
	ds_read2_b32 v[26:27], v26 offset1:1
	;; [unrolled: 1-line block ×3, first 2 shown]
	s_add_i32 s6, s5, s11
	v_mov_b32_e32 v30, s6
	s_add_i32 s6, s5, s12
	ds_read2_b32 v[30:31], v30 offset1:1
	s_waitcnt lgkmcnt(3)
	v_fma_f32 v21, -v5, v25, v21
	v_mov_b32_e32 v25, s6
	s_add_i32 s6, s5, s13
	s_waitcnt lgkmcnt(2)
	v_fma_f32 v21, -v0, v27, v21
	v_mov_b32_e32 v27, s6
	s_add_i32 s6, s5, s14
	;; [unrolled: 4-line block ×3, first 2 shown]
	v_mov_b32_e32 v42, s6
	ds_read2_b32 v[36:37], v25 offset1:1
	ds_read2_b32 v[38:39], v27 offset1:1
	;; [unrolled: 1-line block ×4, first 2 shown]
	s_waitcnt lgkmcnt(4)
	v_fma_f32 v21, -v6, v31, v21
	s_add_i32 s2, s0, -14
	s_waitcnt lgkmcnt(3)
	v_fma_f32 v21, -v7, v37, v21
	v_fma_f32 v23, -v5, v24, v23
	s_lshl_b64 s[6:7], s[2:3], 2
	s_waitcnt lgkmcnt(2)
	v_fma_f32 v21, -v8, v39, v21
	s_add_i32 s2, s5, s18
	v_fma_f32 v23, -v0, v26, v23
	v_add_co_u32_e32 v34, vcc, s6, v32
	s_waitcnt lgkmcnt(1)
	v_fma_f32 v21, -v9, v41, v21
	s_add_i32 s6, s5, s19
	v_mov_b32_e32 v25, s2
	v_fma_f32 v23, -v1, v28, v23
	v_mov_b32_e32 v35, s7
	s_waitcnt lgkmcnt(0)
	v_fma_f32 v21, -v10, v43, v21
	s_add_i32 s7, s5, s22
	v_mov_b32_e32 v27, s6
	ds_read2_b32 v[43:44], v25 offset1:1
	ds_read2_b32 v[45:46], v27 offset1:1
	v_fma_f32 v23, -v6, v30, v23
	s_add_i32 s24, s5, s20
	v_mov_b32_e32 v29, s7
	v_fma_f32 v23, -v7, v36, v23
	v_mov_b32_e32 v25, s24
	ds_read2_b32 v[47:48], v29 offset1:1
	ds_read2_b32 v[49:50], v25 offset1:1
	v_fma_f32 v23, -v8, v38, v23
	s_add_i32 s24, s1, 0xfffffa50
	s_add_i32 s25, s1, 0xfffff9e0
	;; [unrolled: 1-line block ×3, first 2 shown]
	v_fma_f32 v23, -v9, v40, v23
	s_waitcnt lgkmcnt(3)
	v_fma_f32 v21, -v12, v44, v21
	s_add_i32 s2, s5, s23
	s_add_i32 s6, s5, s24
	;; [unrolled: 1-line block ×3, first 2 shown]
	v_mov_b32_e32 v25, s7
	v_fma_f32 v23, -v10, v42, v23
	s_waitcnt lgkmcnt(2)
	v_fma_f32 v21, -v13, v46, v21
	v_mov_b32_e32 v27, s2
	v_mov_b32_e32 v29, s6
	v_mov_b32_e32 v31, s5
	ds_read_b32 v25, v25
	ds_read2_b32 v[51:52], v27 offset1:1
	ds_read2_b32 v[53:54], v29 offset1:1
	;; [unrolled: 1-line block ×3, first 2 shown]
	v_fma_f32 v23, -v12, v43, v23
	s_waitcnt lgkmcnt(5)
	v_fma_f32 v21, -v15, v48, v21
	v_fma_f32 v23, -v13, v45, v23
	s_waitcnt lgkmcnt(4)
	v_fma_f32 v21, -v16, v50, v21
	;; [unrolled: 3-line block ×4, first 2 shown]
	v_fma_f32 v23, -v19, v51, v23
	s_waitcnt lgkmcnt(0)
	v_mul_f32_e32 v21, v21, v56
	v_fma_f32 v23, -v20, v53, v23
	s_mov_b32 s5, s3
	v_addc_co_u32_e32 v35, vcc, v33, v35, vcc
	v_fma_f32 v23, -v21, v55, v23
	s_lshl_b64 s[4:5], s[4:5], 2
	s_sub_i32 s6, s0, 17
	v_mul_f32_e32 v23, v23, v25
	v_mov_b32_e32 v25, s5
	v_add_co_u32_e32 v24, vcc, s4, v32
	s_lshl_b32 s7, s6, 2
	v_addc_co_u32_e32 v25, vcc, v33, v25, vcc
	s_add_i32 s4, s7, s1
	global_store_dword v[24:25], v23, off
	v_mov_b32_e32 v24, s4
	s_add_i32 s4, s7, s9
	v_mov_b32_e32 v26, s4
	s_add_i32 s4, s7, s10
	global_store_dword v[34:35], v21, off
	v_mov_b32_e32 v28, s4
	ds_read2_b32 v[24:25], v24 offset1:1
	ds_read2_b32 v[26:27], v26 offset1:1
	;; [unrolled: 1-line block ×3, first 2 shown]
	s_add_i32 s4, s7, s11
	v_mov_b32_e32 v30, s4
	s_add_i32 s4, s7, s12
	ds_read2_b32 v[30:31], v30 offset1:1
	s_waitcnt lgkmcnt(3)
	v_fma_f32 v22, -v5, v25, v22
	v_mov_b32_e32 v25, s4
	s_add_i32 s4, s7, s13
	s_waitcnt lgkmcnt(2)
	v_fma_f32 v22, -v0, v27, v22
	v_mov_b32_e32 v27, s4
	s_add_i32 s4, s7, s14
	;; [unrolled: 4-line block ×3, first 2 shown]
	v_mov_b32_e32 v42, s4
	ds_read2_b32 v[36:37], v25 offset1:1
	ds_read2_b32 v[38:39], v27 offset1:1
	;; [unrolled: 1-line block ×4, first 2 shown]
	s_waitcnt lgkmcnt(4)
	v_fma_f32 v22, -v6, v31, v22
	s_add_i32 s2, s0, -16
	s_waitcnt lgkmcnt(3)
	v_fma_f32 v22, -v7, v37, v22
	s_lshl_b64 s[4:5], s[2:3], 2
	s_waitcnt lgkmcnt(2)
	v_fma_f32 v22, -v8, v39, v22
	s_add_i32 s2, s7, s18
	v_mov_b32_e32 v35, s5
	v_add_co_u32_e32 v34, vcc, s4, v32
	s_waitcnt lgkmcnt(1)
	v_fma_f32 v22, -v9, v41, v22
	s_add_i32 s4, s7, s19
	s_add_i32 s5, s7, s22
	;; [unrolled: 1-line block ×3, first 2 shown]
	v_mov_b32_e32 v25, s2
	s_waitcnt lgkmcnt(0)
	v_fma_f32 v22, -v10, v43, v22
	v_mov_b32_e32 v27, s4
	v_mov_b32_e32 v29, s5
	ds_read2_b32 v[43:44], v25 offset1:1
	ds_read2_b32 v[45:46], v27 offset1:1
	;; [unrolled: 1-line block ×3, first 2 shown]
	v_mov_b32_e32 v25, s26
	v_fma_f32 v18, -v5, v24, v18
	ds_read2_b32 v[49:50], v25 offset1:1
	v_fma_f32 v18, -v0, v26, v18
	v_fma_f32 v18, -v1, v28, v18
	s_waitcnt lgkmcnt(3)
	v_fma_f32 v22, -v12, v44, v22
	s_add_i32 s2, s7, s23
	s_add_i32 s26, s1, 0xfffff970
	v_fma_f32 v18, -v6, v30, v18
	s_waitcnt lgkmcnt(2)
	v_fma_f32 v22, -v13, v46, v22
	s_add_i32 s4, s7, s24
	s_add_i32 s5, s7, s25
	s_add_i32 s27, s7, s26
	v_mov_b32_e32 v25, s2
	v_fma_f32 v18, -v7, v36, v18
	s_waitcnt lgkmcnt(1)
	v_fma_f32 v22, -v15, v48, v22
	v_mov_b32_e32 v27, s4
	v_mov_b32_e32 v29, s5
	;; [unrolled: 1-line block ×3, first 2 shown]
	ds_read2_b32 v[51:52], v25 offset1:1
	ds_read2_b32 v[53:54], v27 offset1:1
	;; [unrolled: 1-line block ×4, first 2 shown]
	v_fma_f32 v18, -v8, v38, v18
	s_waitcnt lgkmcnt(4)
	v_fma_f32 v22, -v16, v50, v22
	s_sub_i32 s4, s0, 19
	v_fma_f32 v18, -v9, v40, v18
	s_waitcnt lgkmcnt(3)
	v_fma_f32 v22, -v19, v52, v22
	s_add_i32 s27, s1, 0xfffff900
	s_lshl_b32 s5, s4, 2
	v_fma_f32 v18, -v10, v42, v18
	s_waitcnt lgkmcnt(2)
	v_fma_f32 v22, -v20, v54, v22
	s_add_i32 s2, s7, s27
	s_add_i32 s7, s5, s1
	v_fma_f32 v18, -v12, v43, v18
	s_waitcnt lgkmcnt(1)
	v_fma_f32 v22, -v21, v56, v22
	s_add_i32 s28, s5, s9
	v_mov_b32_e32 v27, s7
	v_fma_f32 v18, -v13, v45, v18
	s_waitcnt lgkmcnt(0)
	v_fma_f32 v22, -v23, v58, v22
	v_mov_b32_e32 v25, s2
	v_mov_b32_e32 v29, s28
	ds_read2_b32 v[58:59], v27 offset1:1
	ds_read2_b32 v[60:61], v29 offset1:1
	;; [unrolled: 1-line block ×3, first 2 shown]
	s_add_i32 s2, s21, 0xfffff84c
	v_fma_f32 v18, -v15, v47, v18
	v_mov_b32_e32 v24, s2
	v_fma_f32 v18, -v16, v49, v18
	ds_read_b32 v24, v24
	v_fma_f32 v18, -v19, v51, v18
	v_fma_f32 v18, -v20, v53, v18
	;; [unrolled: 1-line block ×3, first 2 shown]
	s_waitcnt lgkmcnt(1)
	v_mul_f32_e32 v22, v22, v63
	v_fma_f32 v18, -v23, v57, v18
	s_mov_b32 s7, s3
	v_addc_co_u32_e32 v35, vcc, v33, v35, vcc
	v_fma_f32 v18, -v22, v62, v18
	s_lshl_b64 s[6:7], s[6:7], 2
	s_waitcnt lgkmcnt(0)
	v_mul_f32_e32 v18, v18, v24
	v_mov_b32_e32 v25, s7
	v_add_co_u32_e32 v24, vcc, s6, v32
	v_addc_co_u32_e32 v25, vcc, v33, v25, vcc
	s_add_i32 s6, s5, s10
	global_store_dword v[24:25], v18, off
	v_mov_b32_e32 v24, s6
	s_add_i32 s6, s5, s11
	v_mov_b32_e32 v26, s6
	s_add_i32 s6, s5, s12
	;; [unrolled: 2-line block ×3, first 2 shown]
	global_store_dword v[34:35], v22, off
	v_mov_b32_e32 v30, s6
	v_fma_f32 v17, -v5, v59, v17
	ds_read2_b32 v[24:25], v24 offset1:1
	ds_read2_b32 v[26:27], v26 offset1:1
	;; [unrolled: 1-line block ×4, first 2 shown]
	v_fma_f32 v17, -v0, v61, v17
	s_add_i32 s6, s5, s14
	s_waitcnt lgkmcnt(3)
	v_fma_f32 v17, -v1, v25, v17
	v_mov_b32_e32 v25, s6
	s_add_i32 s6, s5, s15
	s_waitcnt lgkmcnt(2)
	v_fma_f32 v17, -v6, v27, v17
	v_mov_b32_e32 v27, s6
	s_add_i32 s6, s5, s18
	s_add_i32 s28, s5, s19
	s_waitcnt lgkmcnt(1)
	v_fma_f32 v17, -v7, v29, v17
	v_mov_b32_e32 v29, s6
	ds_read2_b32 v[36:37], v25 offset1:1
	ds_read2_b32 v[38:39], v27 offset1:1
	;; [unrolled: 1-line block ×3, first 2 shown]
	v_mov_b32_e32 v25, s28
	ds_read2_b32 v[42:43], v25 offset1:1
	s_sub_i32 s2, s0, 18
	s_waitcnt lgkmcnt(4)
	v_fma_f32 v17, -v8, v31, v17
	s_lshl_b64 s[6:7], s[2:3], 2
	s_waitcnt lgkmcnt(3)
	v_fma_f32 v17, -v9, v37, v17
	s_add_i32 s2, s5, s22
	v_fma_f32 v14, -v5, v58, v14
	v_mov_b32_e32 v31, s7
	v_add_co_u32_e32 v34, vcc, s6, v32
	s_waitcnt lgkmcnt(2)
	v_fma_f32 v17, -v10, v39, v17
	s_add_i32 s6, s5, s20
	s_add_i32 s7, s5, s23
	;; [unrolled: 1-line block ×3, first 2 shown]
	v_mov_b32_e32 v25, s2
	v_fma_f32 v14, -v0, v60, v14
	v_addc_co_u32_e32 v35, vcc, v33, v31, vcc
	s_waitcnt lgkmcnt(1)
	v_fma_f32 v17, -v12, v41, v17
	v_mov_b32_e32 v27, s6
	v_mov_b32_e32 v29, s7
	;; [unrolled: 1-line block ×3, first 2 shown]
	ds_read2_b32 v[44:45], v25 offset1:1
	ds_read2_b32 v[46:47], v27 offset1:1
	;; [unrolled: 1-line block ×4, first 2 shown]
	v_fma_f32 v14, -v1, v24, v14
	s_waitcnt lgkmcnt(4)
	v_fma_f32 v17, -v13, v43, v17
	v_fma_f32 v14, -v6, v26, v14
	s_waitcnt lgkmcnt(3)
	v_fma_f32 v17, -v15, v45, v17
	;; [unrolled: 3-line block ×3, first 2 shown]
	s_add_i32 s2, s5, s25
	s_add_i32 s28, s1, 0xfffff890
	v_fma_f32 v14, -v8, v30, v14
	s_waitcnt lgkmcnt(1)
	v_fma_f32 v17, -v19, v49, v17
	s_add_i32 s6, s5, s26
	s_add_i32 s7, s5, s27
	;; [unrolled: 1-line block ×3, first 2 shown]
	v_mov_b32_e32 v25, s2
	v_fma_f32 v14, -v9, v36, v14
	s_waitcnt lgkmcnt(0)
	v_fma_f32 v17, -v20, v51, v17
	v_mov_b32_e32 v27, s6
	v_mov_b32_e32 v29, s7
	v_mov_b32_e32 v31, s29
	ds_read2_b32 v[51:52], v25 offset1:1
	ds_read2_b32 v[53:54], v27 offset1:1
	;; [unrolled: 1-line block ×4, first 2 shown]
	v_fma_f32 v14, -v10, v38, v14
	s_sub_i32 s6, s0, 21
	v_fma_f32 v14, -v12, v40, v14
	s_waitcnt lgkmcnt(3)
	v_fma_f32 v17, -v21, v52, v17
	s_add_i32 s29, s1, 0xfffff820
	s_lshl_b32 s7, s6, 2
	v_fma_f32 v14, -v13, v42, v14
	s_waitcnt lgkmcnt(2)
	v_fma_f32 v17, -v23, v54, v17
	s_add_i32 s2, s5, s29
	s_add_i32 s5, s7, s1
	v_fma_f32 v14, -v15, v44, v14
	s_waitcnt lgkmcnt(1)
	v_fma_f32 v17, -v22, v56, v17
	s_add_i32 s30, s7, s9
	v_mov_b32_e32 v27, s5
	v_fma_f32 v14, -v16, v46, v14
	s_waitcnt lgkmcnt(0)
	v_fma_f32 v17, -v18, v62, v17
	v_mov_b32_e32 v25, s2
	v_mov_b32_e32 v29, s30
	ds_read2_b32 v[56:57], v27 offset1:1
	ds_read2_b32 v[62:63], v29 offset1:1
	;; [unrolled: 1-line block ×3, first 2 shown]
	s_add_i32 s2, s21, 0xfffff764
	v_fma_f32 v14, -v19, v48, v14
	v_mov_b32_e32 v24, s2
	v_fma_f32 v14, -v20, v50, v14
	ds_read_b32 v24, v24
	v_fma_f32 v14, -v21, v51, v14
	v_fma_f32 v14, -v23, v53, v14
	;; [unrolled: 1-line block ×3, first 2 shown]
	s_waitcnt lgkmcnt(1)
	v_mul_f32_e32 v17, v17, v65
	v_fma_f32 v14, -v18, v61, v14
	s_mov_b32 s5, s3
	v_fma_f32 v14, -v17, v64, v14
	s_lshl_b64 s[4:5], s[4:5], 2
	s_waitcnt lgkmcnt(0)
	v_mul_f32_e32 v14, v14, v24
	v_mov_b32_e32 v25, s5
	v_add_co_u32_e32 v24, vcc, s4, v32
	v_addc_co_u32_e32 v25, vcc, v33, v25, vcc
	s_add_i32 s4, s7, s10
	global_store_dword v[24:25], v14, off
	v_mov_b32_e32 v24, s4
	s_add_i32 s4, s7, s11
	v_mov_b32_e32 v26, s4
	s_add_i32 s4, s7, s12
	;; [unrolled: 2-line block ×3, first 2 shown]
	global_store_dword v[34:35], v17, off
	v_mov_b32_e32 v30, s4
	v_fma_f32 v11, -v5, v57, v11
	ds_read2_b32 v[24:25], v24 offset1:1
	ds_read2_b32 v[26:27], v26 offset1:1
	ds_read2_b32 v[28:29], v28 offset1:1
	ds_read2_b32 v[30:31], v30 offset1:1
	v_fma_f32 v11, -v0, v63, v11
	s_add_i32 s4, s7, s14
	s_waitcnt lgkmcnt(3)
	v_fma_f32 v11, -v1, v25, v11
	v_mov_b32_e32 v25, s4
	s_add_i32 s4, s7, s15
	s_waitcnt lgkmcnt(2)
	v_fma_f32 v11, -v6, v27, v11
	v_mov_b32_e32 v27, s4
	s_add_i32 s4, s7, s18
	s_add_i32 s30, s7, s19
	s_waitcnt lgkmcnt(1)
	v_fma_f32 v11, -v7, v29, v11
	v_mov_b32_e32 v29, s4
	ds_read2_b32 v[36:37], v25 offset1:1
	ds_read2_b32 v[38:39], v27 offset1:1
	;; [unrolled: 1-line block ×3, first 2 shown]
	v_mov_b32_e32 v25, s30
	ds_read2_b32 v[42:43], v25 offset1:1
	s_sub_i32 s2, s0, 20
	s_waitcnt lgkmcnt(4)
	v_fma_f32 v11, -v8, v31, v11
	s_lshl_b64 s[4:5], s[2:3], 2
	s_waitcnt lgkmcnt(3)
	v_fma_f32 v11, -v9, v37, v11
	s_add_i32 s2, s7, s22
	v_mov_b32_e32 v31, s5
	v_add_co_u32_e32 v34, vcc, s4, v32
	s_waitcnt lgkmcnt(2)
	v_fma_f32 v11, -v10, v39, v11
	s_add_i32 s4, s7, s20
	s_add_i32 s5, s7, s23
	;; [unrolled: 1-line block ×3, first 2 shown]
	v_mov_b32_e32 v25, s2
	v_addc_co_u32_e32 v35, vcc, v33, v31, vcc
	s_waitcnt lgkmcnt(1)
	v_fma_f32 v11, -v12, v41, v11
	v_mov_b32_e32 v27, s4
	v_mov_b32_e32 v29, s5
	;; [unrolled: 1-line block ×3, first 2 shown]
	ds_read2_b32 v[44:45], v25 offset1:1
	ds_read2_b32 v[46:47], v27 offset1:1
	;; [unrolled: 1-line block ×4, first 2 shown]
	v_fma_f32 v4, -v5, v56, v4
	s_waitcnt lgkmcnt(4)
	v_fma_f32 v11, -v13, v43, v11
	v_fma_f32 v4, -v0, v62, v4
	s_waitcnt lgkmcnt(3)
	v_fma_f32 v11, -v15, v45, v11
	;; [unrolled: 3-line block ×3, first 2 shown]
	s_add_i32 s2, s7, s25
	v_fma_f32 v4, -v6, v26, v4
	s_waitcnt lgkmcnt(1)
	v_fma_f32 v11, -v19, v49, v11
	s_add_i32 s4, s7, s26
	s_add_i32 s5, s7, s27
	;; [unrolled: 1-line block ×3, first 2 shown]
	v_mov_b32_e32 v25, s2
	v_fma_f32 v4, -v7, v28, v4
	s_waitcnt lgkmcnt(0)
	v_fma_f32 v11, -v20, v51, v11
	v_mov_b32_e32 v27, s4
	v_mov_b32_e32 v29, s5
	;; [unrolled: 1-line block ×3, first 2 shown]
	ds_read2_b32 v[51:52], v25 offset1:1
	ds_read2_b32 v[53:54], v27 offset1:1
	;; [unrolled: 1-line block ×4, first 2 shown]
	v_fma_f32 v4, -v8, v30, v4
	v_fma_f32 v4, -v9, v36, v4
	s_waitcnt lgkmcnt(3)
	v_fma_f32 v11, -v21, v52, v11
	v_fma_f32 v4, -v10, v38, v4
	s_waitcnt lgkmcnt(2)
	v_fma_f32 v11, -v23, v54, v11
	s_add_i32 s2, s7, s29
	s_add_i32 s30, s1, 0xfffff7b0
	;; [unrolled: 1-line block ×3, first 2 shown]
	v_fma_f32 v4, -v12, v40, v4
	s_waitcnt lgkmcnt(1)
	v_fma_f32 v11, -v22, v58, v11
	s_add_i32 s4, s7, s30
	s_add_i32 s7, s7, s5
	v_mov_b32_e32 v25, s2
	v_fma_f32 v4, -v13, v42, v4
	s_waitcnt lgkmcnt(0)
	v_fma_f32 v11, -v18, v60, v11
	v_mov_b32_e32 v27, s4
	v_mov_b32_e32 v29, s7
	ds_read2_b32 v[54:55], v25 offset1:1
	ds_read2_b32 v[60:61], v27 offset1:1
	;; [unrolled: 1-line block ×3, first 2 shown]
	v_fma_f32 v4, -v15, v44, v4
	v_fma_f32 v4, -v16, v46, v4
	;; [unrolled: 1-line block ×3, first 2 shown]
	s_waitcnt lgkmcnt(2)
	v_fma_f32 v11, -v17, v55, v11
	v_fma_f32 v4, -v20, v50, v4
	s_waitcnt lgkmcnt(1)
	v_fma_f32 v11, -v14, v61, v11
	s_add_i32 s2, s21, 0xfffff67c
	v_fma_f32 v4, -v21, v51, v4
	s_waitcnt lgkmcnt(0)
	v_mul_f32_e32 v43, v11, v64
	v_mov_b32_e32 v11, s2
	v_fma_f32 v4, -v23, v53, v4
	ds_read_b32 v11, v11
	v_fma_f32 v4, -v22, v57, v4
	v_fma_f32 v4, -v18, v59, v4
	;; [unrolled: 1-line block ×3, first 2 shown]
	s_mov_b32 s7, s3
	v_fma_f32 v4, -v14, v60, v4
	s_lshl_b64 s[6:7], s[6:7], 2
	s_sub_i32 s4, s0, 23
	v_fma_f32 v4, -v43, v63, v4
	v_add_co_u32_e32 v24, vcc, s6, v32
	s_lshl_b32 s6, s4, 2
	s_waitcnt lgkmcnt(0)
	v_mul_f32_e32 v42, v4, v11
	v_mov_b32_e32 v4, s7
	s_add_i32 s1, s6, s1
	v_addc_co_u32_e32 v25, vcc, v33, v4, vcc
	v_mov_b32_e32 v4, s1
	s_add_i32 s1, s6, s9
	v_mov_b32_e32 v11, s1
	s_add_i32 s1, s6, s10
	;; [unrolled: 2-line block ×3, first 2 shown]
	global_store_dword v[34:35], v43, off
	global_store_dword v[24:25], v42, off
	v_mov_b32_e32 v30, s1
	ds_read2_b32 v[24:25], v4 offset1:1
	ds_read2_b32 v[26:27], v11 offset1:1
	;; [unrolled: 1-line block ×4, first 2 shown]
	s_add_i32 s1, s6, s12
	s_waitcnt lgkmcnt(3)
	v_fma_f32 v3, -v5, v25, v3
	s_waitcnt lgkmcnt(2)
	v_fma_f32 v3, -v0, v27, v3
	;; [unrolled: 2-line block ×4, first 2 shown]
	v_mov_b32_e32 v3, s1
	s_add_i32 s1, s6, s13
	v_mov_b32_e32 v25, s1
	s_add_i32 s1, s6, s14
	v_mov_b32_e32 v27, s1
	ds_read2_b32 v[3:4], v3 offset1:1
	ds_read2_b32 v[34:35], v25 offset1:1
	;; [unrolled: 1-line block ×3, first 2 shown]
	s_add_i32 s1, s6, s15
	v_mov_b32_e32 v25, s1
	s_waitcnt lgkmcnt(2)
	v_fma_f32 v4, -v7, v4, v11
	ds_read2_b32 v[38:39], v25 offset1:1
	s_waitcnt lgkmcnt(2)
	v_fma_f32 v4, -v8, v35, v4
	s_add_i32 s1, s6, s18
	s_waitcnt lgkmcnt(1)
	v_fma_f32 v11, -v9, v37, v4
	v_mov_b32_e32 v4, s1
	s_add_i32 s1, s6, s19
	v_mov_b32_e32 v25, s1
	s_add_i32 s1, s6, s22
	v_fma_f32 v2, -v5, v24, v2
	v_mov_b32_e32 v27, s1
	s_add_i32 s1, s6, s20
	v_mov_b32_e32 v29, s1
	v_fma_f32 v0, -v0, v26, v2
	ds_read2_b32 v[4:5], v4 offset1:1
	ds_read2_b32 v[24:25], v25 offset1:1
	;; [unrolled: 1-line block ×4, first 2 shown]
	s_waitcnt lgkmcnt(4)
	v_fma_f32 v2, -v10, v39, v11
	s_waitcnt lgkmcnt(3)
	v_fma_f32 v2, -v12, v5, v2
	;; [unrolled: 2-line block ×3, first 2 shown]
	s_add_i32 s1, s6, s23
	s_waitcnt lgkmcnt(1)
	v_fma_f32 v2, -v15, v27, v2
	v_fma_f32 v0, -v1, v28, v0
	v_mov_b32_e32 v1, s1
	s_add_i32 s1, s6, s24
	s_waitcnt lgkmcnt(0)
	v_fma_f32 v11, -v16, v41, v2
	v_mov_b32_e32 v2, s1
	s_add_i32 s1, s6, s25
	v_mov_b32_e32 v25, s1
	v_fma_f32 v29, -v6, v30, v0
	ds_read2_b32 v[0:1], v1 offset1:1
	ds_read2_b32 v[5:6], v2 offset1:1
	;; [unrolled: 1-line block ×3, first 2 shown]
	s_add_i32 s1, s6, s26
	v_mov_b32_e32 v2, s1
	v_fma_f32 v7, -v7, v3, v29
	ds_read2_b32 v[2:3], v2 offset1:1
	s_waitcnt lgkmcnt(3)
	v_fma_f32 v1, -v19, v1, v11
	s_add_i32 s1, s6, s27
	s_waitcnt lgkmcnt(2)
	v_fma_f32 v1, -v20, v6, v1
	v_mov_b32_e32 v6, s1
	s_add_i32 s1, s6, s28
	v_fma_f32 v7, -v8, v34, v7
	v_mov_b32_e32 v8, s1
	s_add_i32 s1, s6, s29
	v_mov_b32_e32 v11, s1
	s_add_i32 s1, s6, s30
	v_fma_f32 v7, -v9, v36, v7
	s_waitcnt lgkmcnt(1)
	v_fma_f32 v1, -v21, v28, v1
	v_mov_b32_e32 v25, s1
	v_fma_f32 v30, -v10, v38, v7
	ds_read2_b32 v[6:7], v6 offset1:1
	ds_read2_b32 v[8:9], v8 offset1:1
	;; [unrolled: 1-line block ×4, first 2 shown]
	s_waitcnt lgkmcnt(4)
	v_fma_f32 v1, -v23, v3, v1
	s_waitcnt lgkmcnt(3)
	v_fma_f32 v1, -v22, v7, v1
	;; [unrolled: 2-line block ×3, first 2 shown]
	s_add_i32 s1, s6, s5
	s_waitcnt lgkmcnt(1)
	v_fma_f32 v1, -v17, v11, v1
	v_mov_b32_e32 v3, s1
	s_add_i32 s5, s1, 0xffffff90
	s_addk_i32 s1, 0xff20
	s_waitcnt lgkmcnt(0)
	v_fma_f32 v1, -v14, v29, v1
	v_mov_b32_e32 v29, s1
	s_add_i32 s1, s21, 0xfffff594
	v_mov_b32_e32 v7, s5
	v_fma_f32 v9, -v12, v4, v30
	v_mov_b32_e32 v30, s1
	ds_read2_b32 v[3:4], v3 offset1:1
	ds_read2_b32 v[11:12], v7 offset1:1
	ds_read_b32 v7, v30
	ds_read2_b32 v[29:30], v29 offset1:1
	v_fma_f32 v9, -v13, v24, v9
	s_waitcnt lgkmcnt(3)
	v_fma_f32 v1, -v43, v4, v1
	v_fma_f32 v4, -v15, v26, v9
	;; [unrolled: 1-line block ×10, first 2 shown]
	s_sub_i32 s2, s0, 22
	v_fma_f32 v0, -v14, v28, v0
	s_lshl_b64 s[6:7], s[2:3], 2
	s_waitcnt lgkmcnt(2)
	v_fma_f32 v1, -v42, v12, v1
	v_fma_f32 v0, -v43, v3, v0
	v_mov_b32_e32 v25, s7
	v_add_co_u32_e32 v34, vcc, s6, v32
	s_waitcnt lgkmcnt(0)
	v_mul_f32_e32 v1, v1, v30
	v_fma_f32 v0, -v42, v11, v0
	s_mov_b32 s5, s3
	v_addc_co_u32_e32 v35, vcc, v33, v25, vcc
	v_fma_f32 v0, -v1, v29, v0
	s_lshl_b64 s[2:3], s[4:5], 2
	global_store_dword v[34:35], v1, off
	v_mul_f32_e32 v2, v0, v7
	v_mov_b32_e32 v1, s3
	v_add_co_u32_e32 v0, vcc, s2, v32
	v_addc_co_u32_e32 v1, vcc, v33, v1, vcc
	s_sub_i32 s0, s0, 24
	global_store_dword v[0:1], v2, off
.LBB32_88:
	s_cmp_lt_i32 s0, 0
	s_cbranch_scc1 .LBB32_105
; %bb.89:
	s_and_b32 s1, s0, 3
	s_cmp_eq_u32 s1, 3
	s_mul_i32 s1, s17, 0x70
	s_mov_b32 s2, s0
	s_cbranch_scc1 .LBB32_94
; %bb.90:
	s_add_i32 s2, s0, 1
	s_and_b32 s6, s2, 3
	s_lshl_b32 s2, s0, 2
	s_add_i32 s2, s1, s2
	s_add_i32 s7, s2, 0xffffff90
	s_mov_b32 s5, 0
	s_mov_b32 s2, s0
	;; [unrolled: 1-line block ×3, first 2 shown]
	s_branch .LBB32_92
.LBB32_91:                              ;   in Loop: Header=BB32_92 Depth=1
	s_mul_i32 s3, s2, 0x74
	v_mov_b32_e32 v3, s3
	ds_read_b32 v3, v3
	s_add_i32 s2, s2, -1
	s_add_i32 s9, s9, 1
	s_add_i32 s7, s7, -4
	s_cmp_lg_u32 s9, s6
	s_waitcnt lgkmcnt(0)
	v_mul_f32_e32 v2, v2, v3
	global_store_dword v[0:1], v2, off
	s_cbranch_scc0 .LBB32_94
.LBB32_92:                              ; =>This Loop Header: Depth=1
                                        ;     Child Loop BB32_93 Depth 2
	s_mov_b32 s3, s5
	s_lshl_b64 s[10:11], s[2:3], 2
	v_mov_b32_e32 v1, s11
	v_add_co_u32_e32 v0, vcc, s10, v32
	v_addc_co_u32_e32 v1, vcc, v33, v1, vcc
	global_load_dword v2, v[0:1], off
	s_mov_b32 s3, s7
	s_cmp_le_i32 s8, s2
	s_mov_b32 s4, s8
	s_waitcnt vmcnt(0)
	v_mul_f32_e32 v2, s16, v2
	s_cbranch_scc1 .LBB32_91
.LBB32_93:                              ;   Parent Loop BB32_92 Depth=1
                                        ; =>  This Inner Loop Header: Depth=2
	s_lshl_b64 s[10:11], s[4:5], 2
	v_mov_b32_e32 v4, s11
	v_add_co_u32_e32 v3, vcc, s10, v32
	v_addc_co_u32_e32 v4, vcc, v33, v4, vcc
	global_load_dword v3, v[3:4], off
	v_mov_b32_e32 v4, s3
	ds_read_b32 v4, v4
	s_add_i32 s4, s4, -1
	s_addk_i32 s3, 0xff90
	s_cmp_gt_i32 s4, s2
	s_waitcnt vmcnt(0) lgkmcnt(0)
	v_fma_f32 v2, -v3, v4, v2
	s_cbranch_scc1 .LBB32_93
	s_branch .LBB32_91
.LBB32_94:
	s_cmp_lt_u32 s0, 3
	s_cbranch_scc1 .LBB32_105
; %bb.95:
	s_lshl_b32 s0, s2, 2
	s_add_i32 s0, s1, s0
	s_add_i32 s6, s0, 0xffffff90
	;; [unrolled: 1-line block ×5, first 2 shown]
	s_mov_b32 s1, 0
	s_branch .LBB32_97
.LBB32_96:                              ;   in Loop: Header=BB32_97 Depth=1
	s_add_i32 s0, s3, 0xffffff8c
	v_mov_b32_e32 v3, s0
	ds_read_b32 v3, v3
	s_add_i32 s0, s2, -4
	s_add_i32 s6, s6, -16
	;; [unrolled: 1-line block ×5, first 2 shown]
	s_waitcnt lgkmcnt(0)
	v_mul_f32_e32 v2, v2, v3
	s_cmp_lt_i32 s2, 4
	s_mov_b32 s2, s0
	global_store_dword v[0:1], v2, off
	s_cbranch_scc1 .LBB32_105
.LBB32_97:                              ; =>This Loop Header: Depth=1
                                        ;     Child Loop BB32_98 Depth 2
                                        ;     Child Loop BB32_100 Depth 2
	;; [unrolled: 1-line block ×4, first 2 shown]
	s_mov_b32 s3, s1
	s_lshl_b64 s[4:5], s[2:3], 2
	v_mov_b32_e32 v0, s5
	v_add_co_u32_e32 v2, vcc, s4, v32
	v_addc_co_u32_e32 v3, vcc, v33, v0, vcc
	global_load_dword v0, v[2:3], off
	s_mov_b32 s3, s6
	s_cmp_le_i32 s8, s2
	s_mov_b32 s0, s8
	s_waitcnt vmcnt(0)
	v_mul_f32_e32 v4, s16, v0
	s_cbranch_scc1 .LBB32_99
.LBB32_98:                              ;   Parent Loop BB32_97 Depth=1
                                        ; =>  This Inner Loop Header: Depth=2
	s_lshl_b64 s[4:5], s[0:1], 2
	v_mov_b32_e32 v1, s5
	v_add_co_u32_e32 v0, vcc, s4, v32
	v_addc_co_u32_e32 v1, vcc, v33, v1, vcc
	global_load_dword v0, v[0:1], off
	v_mov_b32_e32 v1, s3
	ds_read_b32 v1, v1
	s_add_i32 s0, s0, -1
	s_addk_i32 s3, 0xff90
	s_cmp_gt_i32 s0, s2
	s_waitcnt vmcnt(0) lgkmcnt(0)
	v_fma_f32 v4, -v0, v1, v4
	s_cbranch_scc1 .LBB32_98
.LBB32_99:                              ;   in Loop: Header=BB32_97 Depth=1
	s_add_i32 s0, s2, -1
	s_lshl_b64 s[4:5], s[0:1], 2
	v_mov_b32_e32 v1, s5
	v_add_co_u32_e32 v0, vcc, s4, v32
	v_addc_co_u32_e32 v1, vcc, v33, v1, vcc
	global_load_dword v5, v[0:1], off
	s_mul_i32 s3, s2, 0x74
	v_mov_b32_e32 v6, s3
	ds_read_b32 v6, v6
	s_mov_b32 s4, s7
	s_cmp_le_i32 s17, s2
	s_mov_b32 s0, s17
	s_waitcnt lgkmcnt(0)
	v_mul_f32_e32 v4, v4, v6
	global_store_dword v[2:3], v4, off
	s_waitcnt vmcnt(1)
	v_mul_f32_e32 v4, s16, v5
	s_cbranch_scc1 .LBB32_101
.LBB32_100:                             ;   Parent Loop BB32_97 Depth=1
                                        ; =>  This Inner Loop Header: Depth=2
	s_add_i32 s0, s0, -1
	s_lshl_b64 s[12:13], s[0:1], 2
	v_mov_b32_e32 v3, s13
	v_add_co_u32_e32 v2, vcc, s12, v32
	v_addc_co_u32_e32 v3, vcc, v33, v3, vcc
	global_load_dword v2, v[2:3], off
	v_mov_b32_e32 v3, s4
	ds_read_b32 v3, v3
	s_addk_i32 s4, 0xff90
	s_cmp_gt_i32 s0, s2
	s_waitcnt vmcnt(0) lgkmcnt(0)
	v_fma_f32 v4, -v2, v3, v4
	s_cbranch_scc1 .LBB32_100
.LBB32_101:                             ;   in Loop: Header=BB32_97 Depth=1
	s_add_i32 s4, s2, -2
	s_mov_b32 s5, s1
	s_lshl_b64 s[12:13], s[4:5], 2
	v_mov_b32_e32 v3, s13
	v_add_co_u32_e32 v2, vcc, s12, v32
	v_addc_co_u32_e32 v3, vcc, v33, v3, vcc
	global_load_dword v5, v[2:3], off
	s_addk_i32 s3, 0xff8c
	v_mov_b32_e32 v6, s3
	ds_read_b32 v6, v6
	s_mov_b32 s5, s9
	s_cmp_le_i32 s8, s4
	s_mov_b32 s0, s8
	s_waitcnt lgkmcnt(0)
	v_mul_f32_e32 v4, v4, v6
	global_store_dword v[0:1], v4, off
	s_waitcnt vmcnt(1)
	v_mul_f32_e32 v4, s16, v5
	s_cbranch_scc1 .LBB32_103
.LBB32_102:                             ;   Parent Loop BB32_97 Depth=1
                                        ; =>  This Inner Loop Header: Depth=2
	s_lshl_b64 s[12:13], s[0:1], 2
	v_mov_b32_e32 v1, s13
	v_add_co_u32_e32 v0, vcc, s12, v32
	v_addc_co_u32_e32 v1, vcc, v33, v1, vcc
	global_load_dword v0, v[0:1], off
	v_mov_b32_e32 v1, s5
	ds_read_b32 v1, v1
	s_add_i32 s0, s0, -1
	s_addk_i32 s5, 0xff90
	s_cmp_gt_i32 s0, s4
	s_waitcnt vmcnt(0) lgkmcnt(0)
	v_fma_f32 v4, -v0, v1, v4
	s_cbranch_scc1 .LBB32_102
.LBB32_103:                             ;   in Loop: Header=BB32_97 Depth=1
	s_add_i32 s4, s2, -3
	s_mov_b32 s5, s1
	s_lshl_b64 s[12:13], s[4:5], 2
	v_mov_b32_e32 v1, s13
	v_add_co_u32_e32 v0, vcc, s12, v32
	v_addc_co_u32_e32 v1, vcc, v33, v1, vcc
	global_load_dword v5, v[0:1], off
	s_addk_i32 s3, 0xff8c
	v_mov_b32_e32 v6, s3
	ds_read_b32 v6, v6
	s_mov_b32 s5, s10
	s_cmp_le_i32 s8, s4
	s_mov_b32 s0, s8
	s_waitcnt lgkmcnt(0)
	v_mul_f32_e32 v4, v4, v6
	global_store_dword v[2:3], v4, off
	s_waitcnt vmcnt(1)
	v_mul_f32_e32 v2, s16, v5
	s_cbranch_scc1 .LBB32_96
.LBB32_104:                             ;   Parent Loop BB32_97 Depth=1
                                        ; =>  This Inner Loop Header: Depth=2
	s_lshl_b64 s[12:13], s[0:1], 2
	v_mov_b32_e32 v4, s13
	v_add_co_u32_e32 v3, vcc, s12, v32
	v_addc_co_u32_e32 v4, vcc, v33, v4, vcc
	global_load_dword v3, v[3:4], off
	v_mov_b32_e32 v4, s5
	ds_read_b32 v4, v4
	s_add_i32 s0, s0, -1
	s_addk_i32 s5, 0xff90
	s_cmp_gt_i32 s0, s4
	s_waitcnt vmcnt(0) lgkmcnt(0)
	v_fma_f32 v2, -v3, v4, v2
	s_cbranch_scc1 .LBB32_104
	s_branch .LBB32_96
.LBB32_105:
	s_endpgm
	.section	.rodata,"a",@progbits
	.p2align	6, 0x0
	.amdhsa_kernel _ZL30rocblas_trsm_small_left_deviceILi28ELi28ELb0EffPKfPfEv13rocblas_fill_18rocblas_operation_17rocblas_diagonal_iiT3_T4_lilT5_lili
		.amdhsa_group_segment_fixed_size 3136
		.amdhsa_private_segment_fixed_size 0
		.amdhsa_kernarg_size 352
		.amdhsa_user_sgpr_count 6
		.amdhsa_user_sgpr_private_segment_buffer 1
		.amdhsa_user_sgpr_dispatch_ptr 0
		.amdhsa_user_sgpr_queue_ptr 0
		.amdhsa_user_sgpr_kernarg_segment_ptr 1
		.amdhsa_user_sgpr_dispatch_id 0
		.amdhsa_user_sgpr_flat_scratch_init 0
		.amdhsa_user_sgpr_private_segment_size 0
		.amdhsa_uses_dynamic_stack 0
		.amdhsa_system_sgpr_private_segment_wavefront_offset 0
		.amdhsa_system_sgpr_workgroup_id_x 1
		.amdhsa_system_sgpr_workgroup_id_y 0
		.amdhsa_system_sgpr_workgroup_id_z 1
		.amdhsa_system_sgpr_workgroup_info 0
		.amdhsa_system_vgpr_workitem_id 0
		.amdhsa_next_free_vgpr 80
		.amdhsa_next_free_sgpr 98
		.amdhsa_reserve_vcc 1
		.amdhsa_reserve_flat_scratch 0
		.amdhsa_float_round_mode_32 0
		.amdhsa_float_round_mode_16_64 0
		.amdhsa_float_denorm_mode_32 3
		.amdhsa_float_denorm_mode_16_64 3
		.amdhsa_dx10_clamp 1
		.amdhsa_ieee_mode 1
		.amdhsa_fp16_overflow 0
		.amdhsa_exception_fp_ieee_invalid_op 0
		.amdhsa_exception_fp_denorm_src 0
		.amdhsa_exception_fp_ieee_div_zero 0
		.amdhsa_exception_fp_ieee_overflow 0
		.amdhsa_exception_fp_ieee_underflow 0
		.amdhsa_exception_fp_ieee_inexact 0
		.amdhsa_exception_int_div_zero 0
	.end_amdhsa_kernel
	.section	.text._ZL30rocblas_trsm_small_left_deviceILi28ELi28ELb0EffPKfPfEv13rocblas_fill_18rocblas_operation_17rocblas_diagonal_iiT3_T4_lilT5_lili,"axG",@progbits,_ZL30rocblas_trsm_small_left_deviceILi28ELi28ELb0EffPKfPfEv13rocblas_fill_18rocblas_operation_17rocblas_diagonal_iiT3_T4_lilT5_lili,comdat
.Lfunc_end32:
	.size	_ZL30rocblas_trsm_small_left_deviceILi28ELi28ELb0EffPKfPfEv13rocblas_fill_18rocblas_operation_17rocblas_diagonal_iiT3_T4_lilT5_lili, .Lfunc_end32-_ZL30rocblas_trsm_small_left_deviceILi28ELi28ELb0EffPKfPfEv13rocblas_fill_18rocblas_operation_17rocblas_diagonal_iiT3_T4_lilT5_lili
                                        ; -- End function
	.set _ZL30rocblas_trsm_small_left_deviceILi28ELi28ELb0EffPKfPfEv13rocblas_fill_18rocblas_operation_17rocblas_diagonal_iiT3_T4_lilT5_lili.num_vgpr, 80
	.set _ZL30rocblas_trsm_small_left_deviceILi28ELi28ELb0EffPKfPfEv13rocblas_fill_18rocblas_operation_17rocblas_diagonal_iiT3_T4_lilT5_lili.num_agpr, 0
	.set _ZL30rocblas_trsm_small_left_deviceILi28ELi28ELb0EffPKfPfEv13rocblas_fill_18rocblas_operation_17rocblas_diagonal_iiT3_T4_lilT5_lili.numbered_sgpr, 31
	.set _ZL30rocblas_trsm_small_left_deviceILi28ELi28ELb0EffPKfPfEv13rocblas_fill_18rocblas_operation_17rocblas_diagonal_iiT3_T4_lilT5_lili.num_named_barrier, 0
	.set _ZL30rocblas_trsm_small_left_deviceILi28ELi28ELb0EffPKfPfEv13rocblas_fill_18rocblas_operation_17rocblas_diagonal_iiT3_T4_lilT5_lili.private_seg_size, 0
	.set _ZL30rocblas_trsm_small_left_deviceILi28ELi28ELb0EffPKfPfEv13rocblas_fill_18rocblas_operation_17rocblas_diagonal_iiT3_T4_lilT5_lili.uses_vcc, 1
	.set _ZL30rocblas_trsm_small_left_deviceILi28ELi28ELb0EffPKfPfEv13rocblas_fill_18rocblas_operation_17rocblas_diagonal_iiT3_T4_lilT5_lili.uses_flat_scratch, 0
	.set _ZL30rocblas_trsm_small_left_deviceILi28ELi28ELb0EffPKfPfEv13rocblas_fill_18rocblas_operation_17rocblas_diagonal_iiT3_T4_lilT5_lili.has_dyn_sized_stack, 0
	.set _ZL30rocblas_trsm_small_left_deviceILi28ELi28ELb0EffPKfPfEv13rocblas_fill_18rocblas_operation_17rocblas_diagonal_iiT3_T4_lilT5_lili.has_recursion, 0
	.set _ZL30rocblas_trsm_small_left_deviceILi28ELi28ELb0EffPKfPfEv13rocblas_fill_18rocblas_operation_17rocblas_diagonal_iiT3_T4_lilT5_lili.has_indirect_call, 0
	.section	.AMDGPU.csdata,"",@progbits
; Kernel info:
; codeLenInByte = 20172
; TotalNumSgprs: 35
; NumVgprs: 80
; ScratchSize: 0
; MemoryBound: 0
; FloatMode: 240
; IeeeMode: 1
; LDSByteSize: 3136 bytes/workgroup (compile time only)
; SGPRBlocks: 12
; VGPRBlocks: 19
; NumSGPRsForWavesPerEU: 102
; NumVGPRsForWavesPerEU: 80
; Occupancy: 3
; WaveLimiterHint : 0
; COMPUTE_PGM_RSRC2:SCRATCH_EN: 0
; COMPUTE_PGM_RSRC2:USER_SGPR: 6
; COMPUTE_PGM_RSRC2:TRAP_HANDLER: 0
; COMPUTE_PGM_RSRC2:TGID_X_EN: 1
; COMPUTE_PGM_RSRC2:TGID_Y_EN: 0
; COMPUTE_PGM_RSRC2:TGID_Z_EN: 1
; COMPUTE_PGM_RSRC2:TIDIG_COMP_CNT: 0
	.section	.text._ZL38rocblas_trsm_small_left_device_sharedBILi28ELi28ELb1EffPKfPfEv13rocblas_fill_18rocblas_operation_17rocblas_diagonal_iiT3_T4_lilT5_lili,"axG",@progbits,_ZL38rocblas_trsm_small_left_device_sharedBILi28ELi28ELb1EffPKfPfEv13rocblas_fill_18rocblas_operation_17rocblas_diagonal_iiT3_T4_lilT5_lili,comdat
	.globl	_ZL38rocblas_trsm_small_left_device_sharedBILi28ELi28ELb1EffPKfPfEv13rocblas_fill_18rocblas_operation_17rocblas_diagonal_iiT3_T4_lilT5_lili ; -- Begin function _ZL38rocblas_trsm_small_left_device_sharedBILi28ELi28ELb1EffPKfPfEv13rocblas_fill_18rocblas_operation_17rocblas_diagonal_iiT3_T4_lilT5_lili
	.p2align	8
	.type	_ZL38rocblas_trsm_small_left_device_sharedBILi28ELi28ELb1EffPKfPfEv13rocblas_fill_18rocblas_operation_17rocblas_diagonal_iiT3_T4_lilT5_lili,@function
_ZL38rocblas_trsm_small_left_device_sharedBILi28ELi28ELb1EffPKfPfEv13rocblas_fill_18rocblas_operation_17rocblas_diagonal_iiT3_T4_lilT5_lili: ; @_ZL38rocblas_trsm_small_left_device_sharedBILi28ELi28ELb1EffPKfPfEv13rocblas_fill_18rocblas_operation_17rocblas_diagonal_iiT3_T4_lilT5_lili
; %bb.0:
	s_load_dwordx4 s[8:11], s[4:5], 0x4
	s_load_dword s17, s[4:5], 0x14
	s_load_dwordx4 s[0:3], s[4:5], 0x30
	s_load_dwordx2 s[12:13], s[4:5], 0x40
	s_waitcnt lgkmcnt(0)
	s_min_i32 s16, s10, 28
	v_cmp_gt_i32_e32 vcc, s16, v0
	s_and_saveexec_b64 s[14:15], vcc
	s_cbranch_execz .LBB33_6
; %bb.1:
	s_load_dword s18, s[4:5], 0x28
	s_load_dwordx4 s[20:23], s[4:5], 0x18
	s_mul_i32 s1, s1, s7
	s_mul_hi_u32 s19, s0, s7
	s_add_i32 s1, s19, s1
	s_mul_i32 s0, s0, s7
	s_waitcnt lgkmcnt(0)
	s_ashr_i32 s19, s18, 31
	s_lshl_b64 s[0:1], s[0:1], 2
	s_add_u32 s20, s20, s0
	s_addc_u32 s21, s21, s1
	s_lshl_b64 s[0:1], s[22:23], 2
	s_add_u32 s0, s20, s0
	s_addc_u32 s1, s21, s1
	v_lshlrev_b32_e32 v3, 2, v0
	v_mov_b32_e32 v2, s1
	v_add_co_u32_e32 v1, vcc, s0, v3
	s_lshl_b64 s[0:1], s[18:19], 2
	v_addc_co_u32_e32 v2, vcc, 0, v2, vcc
	v_mov_b32_e32 v4, s1
	v_mov_b32_e32 v5, v3
	s_mov_b32 s1, s16
.LBB33_2:                               ; =>This Inner Loop Header: Depth=1
	global_load_dword v6, v[1:2], off
	v_add_co_u32_e32 v1, vcc, s0, v1
	s_add_i32 s1, s1, -1
	v_addc_co_u32_e32 v2, vcc, v2, v4, vcc
	s_cmp_eq_u32 s1, 0
	s_waitcnt vmcnt(0)
	ds_write_b32 v5, v6
	v_add_u32_e32 v5, 0x70, v5
	s_cbranch_scc0 .LBB33_2
; %bb.3:
	v_mul_u32_u24_e32 v1, 0x70, v0
	s_cmpk_lg_i32 s9, 0x84
	v_mov_b32_e32 v2, 1.0
	v_add_u32_e32 v1, v3, v1
	s_cbranch_scc0 .LBB33_5
; %bb.4:
	ds_read_b32 v2, v1
	s_waitcnt lgkmcnt(0)
	v_div_scale_f32 v3, s[0:1], v2, v2, 1.0
	v_div_scale_f32 v4, vcc, 1.0, v2, 1.0
	v_rcp_f32_e32 v5, v3
	v_fma_f32 v6, -v3, v5, 1.0
	v_fmac_f32_e32 v5, v6, v5
	v_mul_f32_e32 v6, v4, v5
	v_fma_f32 v7, -v3, v6, v4
	v_fmac_f32_e32 v6, v7, v5
	v_fma_f32 v3, -v3, v6, v4
	v_div_fmas_f32 v3, v3, v5, v6
	v_div_fixup_f32 v2, v3, v2, 1.0
.LBB33_5:
	ds_write_b32 v1, v2
.LBB33_6:
	s_or_b64 exec, exec, s[14:15]
	s_load_dword s0, s[4:5], 0x60
	s_load_dwordx2 s[14:15], s[4:5], 0x50
	s_load_dword s9, s[4:5], 0x48
	s_waitcnt lgkmcnt(0)
	s_mul_i32 s1, s15, s7
	s_mul_hi_u32 s5, s14, s7
	s_mul_i32 s4, s14, s7
	s_add_i32 s5, s5, s1
	s_lshl_b64 s[4:5], s[4:5], 2
	s_add_u32 s1, s2, s4
	s_addc_u32 s4, s3, s5
	s_lshl_b64 s[2:3], s[12:13], 2
	s_add_u32 s2, s1, s2
	s_mul_i32 s1, s6, 0xffffffe4
	s_addc_u32 s3, s4, s3
	s_add_i32 s0, s0, -1
	s_add_i32 s1, s11, s1
	s_cmp_ge_u32 s6, s0
	s_mul_i32 s6, s6, 28
	s_cselect_b32 s4, s1, 28
	s_mul_hi_i32 s1, s9, s6
	s_mul_i32 s0, s9, s6
	s_lshl_b64 s[0:1], s[0:1], 2
	s_add_u32 s6, s2, s0
	s_addc_u32 s7, s3, s1
	s_cmp_gt_i32 s10, 0
	v_cmp_gt_i32_e64 s[0:1], s4, v0
	s_cselect_b64 s[2:3], -1, 0
	s_and_b64 s[12:13], s[0:1], s[2:3]
	s_and_saveexec_b64 s[4:5], s[12:13]
	s_cbranch_execz .LBB33_9
; %bb.7:
	v_mad_i64_i32 v[1:2], s[12:13], s9, v0, 0
	v_mov_b32_e32 v3, s7
	s_mov_b32 s11, s16
	v_lshlrev_b64 v[1:2], 2, v[1:2]
	v_add_co_u32_e32 v1, vcc, s6, v1
	v_addc_co_u32_e32 v2, vcc, v3, v2, vcc
	v_mov_b32_e32 v3, 0xc40
	v_lshl_add_u32 v3, v0, 2, v3
.LBB33_8:                               ; =>This Inner Loop Header: Depth=1
	global_load_dword v4, v[1:2], off
	s_add_i32 s11, s11, -1
	v_add_co_u32_e32 v1, vcc, 4, v1
	v_addc_co_u32_e32 v2, vcc, 0, v2, vcc
	s_cmp_lg_u32 s11, 0
	s_waitcnt vmcnt(0)
	v_mul_f32_e32 v4, s17, v4
	ds_write_b32 v3, v4
	v_add_u32_e32 v3, 0x70, v3
	s_cbranch_scc1 .LBB33_8
.LBB33_9:
	s_or_b64 exec, exec, s[4:5]
	v_mov_b32_e32 v1, 0xc40
	s_cmpk_eq_i32 s8, 0x6f
	v_lshl_add_u32 v33, v0, 2, v1
	s_mov_b64 s[4:5], -1
	s_waitcnt lgkmcnt(0)
	; wave barrier
	s_cbranch_scc1 .LBB33_86
; %bb.10:
	s_add_i32 s8, s16, -1
	s_cmp_gt_i32 s10, 27
	s_cbranch_scc0 .LBB33_66
; %bb.11:
	v_add_u32_e32 v1, 0x800, v33
	v_add_u32_e32 v4, 0x600, v33
	ds_read2_b32 v[2:3], v1 offset0:160 offset1:188
	ds_read2_b32 v[6:7], v1 offset0:104 offset1:132
	;; [unrolled: 1-line block ×5, first 2 shown]
	v_add_u32_e32 v1, 0x400, v33
	ds_read2_b32 v[12:13], v1 offset0:192 offset1:220
	ds_read2_b32 v[14:15], v1 offset0:136 offset1:164
	ds_read2_b32 v[16:17], v1 offset0:80 offset1:108
	ds_read2_b32 v[18:19], v1 offset0:24 offset1:52
	ds_read2_b32 v[20:21], v33 offset0:224 offset1:252
	v_mov_b32_e32 v1, 0
	ds_read2_b32 v[22:23], v33 offset0:168 offset1:196
	ds_read2_b32 v[24:25], v33 offset0:112 offset1:140
	;; [unrolled: 1-line block ×3, first 2 shown]
	ds_read2_b32 v[28:29], v33 offset1:28
	ds_read_b32 v1, v1 offset:3132
	s_waitcnt lgkmcnt(14)
	v_mov_b32_e32 v4, v2
	s_waitcnt lgkmcnt(13)
	v_mov_b32_e32 v5, v7
	;; [unrolled: 2-line block ×13, first 2 shown]
	s_waitcnt lgkmcnt(0)
	v_mul_f32_e32 v1, v31, v1
	s_movk_i32 s11, 0xbcc
	s_mov_b64 s[4:5], 0
	v_mov_b32_e32 v2, v30
	ds_write_b32 v33, v1 offset:3024
.LBB33_12:                              ; =>This Inner Loop Header: Depth=1
	s_set_gpr_idx_on s4, gpr_idx(SRC0)
	v_mov_b32_e32 v29, v1
	s_set_gpr_idx_off
	v_mov_b32_e32 v30, s11
	ds_read_b32 v30, v30
	s_add_i32 s11, s11, -4
	s_add_u32 s4, s4, 1
	s_addc_u32 s5, s5, 0
	s_cmp_lg_u32 s4, 1
	s_waitcnt lgkmcnt(0)
	v_fma_f32 v2, -v29, v30, v2
	s_cbranch_scc1 .LBB33_12
; %bb.13:
	v_mov_b32_e32 v29, 0
	ds_read_b32 v29, v29 offset:3016
	s_movk_i32 s11, 0xb5c
	s_mov_b64 s[4:5], 0
	s_waitcnt lgkmcnt(0)
	v_mul_f32_e32 v2, v2, v29
	ds_write_b32 v33, v2 offset:2912
.LBB33_14:                              ; =>This Inner Loop Header: Depth=1
	s_set_gpr_idx_on s4, gpr_idx(SRC0)
	v_mov_b32_e32 v29, v1
	s_set_gpr_idx_off
	v_mov_b32_e32 v30, s11
	ds_read_b32 v30, v30
	s_add_i32 s11, s11, -4
	s_add_u32 s4, s4, 1
	s_addc_u32 s5, s5, 0
	s_cmp_lg_u32 s4, 2
	s_waitcnt lgkmcnt(0)
	v_fma_f32 v3, -v29, v30, v3
	s_cbranch_scc1 .LBB33_14
; %bb.15:
	v_mov_b32_e32 v29, 0
	ds_read_b32 v29, v29 offset:2900
	s_movk_i32 s11, 0xaec
	s_mov_b64 s[4:5], 0
	s_waitcnt lgkmcnt(0)
	v_mul_f32_e32 v3, v3, v29
	;; [unrolled: 21-line block ×26, first 2 shown]
	ds_write_b32 v33, v27 offset:112
.LBB33_64:                              ; =>This Inner Loop Header: Depth=1
	s_set_gpr_idx_on s4, gpr_idx(SRC0)
	v_mov_b32_e32 v29, v1
	s_set_gpr_idx_off
	v_mov_b32_e32 v30, s11
	ds_read_b32 v30, v30
	s_add_i32 s11, s11, -4
	s_add_u32 s4, s4, 1
	s_addc_u32 s5, s5, 0
	s_cmp_lg_u32 s4, 27
	s_waitcnt lgkmcnt(0)
	v_fma_f32 v28, -v29, v30, v28
	s_cbranch_scc1 .LBB33_64
; %bb.65:
	v_mov_b32_e32 v1, 0
	ds_read_b32 v1, v1
	s_mov_b32 s4, -1
	s_waitcnt lgkmcnt(0)
	v_mul_f32_e32 v1, v28, v1
	ds_write_b32 v33, v1
	s_cmp_gt_i32 s4, -1
	s_cbranch_scc1 .LBB33_67
	s_branch .LBB33_85
.LBB33_66:
	s_mov_b32 s4, s8
	s_cmp_gt_i32 s4, -1
	s_cbranch_scc0 .LBB33_85
.LBB33_67:
	s_cmp_lt_u32 s4, 23
	s_cbranch_scc1 .LBB33_72
; %bb.68:
	s_mul_i32 s5, s4, 0x70
	v_add_u32_e32 v3, s5, v33
	v_add_u32_e32 v1, 0xffffff90, v3
	v_add_u32_e32 v2, 0xffffff20, v3
	v_add_u32_e32 v4, 0xfffffeb0, v3
	v_add_u32_e32 v9, 0xfffffe40, v3
	v_add_u32_e32 v10, 0xfffffdd0, v3
	v_add_u32_e32 v12, 0xfffffd60, v3
	v_add_u32_e32 v13, 0xfffffcf0, v3
	ds_read_b32 v5, v3
	ds_read_b32 v6, v1
	ds_read_b32 v7, v2
	ds_read_b32 v8, v4
	ds_read_b32 v9, v9
	ds_read_b32 v11, v10
	ds_read_b32 v12, v12
	ds_read_b32 v14, v13
	v_add_u32_e32 v1, 0xfffffc80, v3
	v_add_u32_e32 v2, 0xfffffc10, v3
	v_add_u32_e32 v4, 0xfffffba0, v3
	v_add_u32_e32 v10, 0xfffffb30, v3
	v_add_u32_e32 v13, 0xfffffac0, v3
	v_add_u32_e32 v17, 0xfffffa50, v3
	v_add_u32_e32 v19, 0xfffff9e0, v3
	v_add_u32_e32 v22, 0xfffff970, v3
	ds_read_b32 v15, v1
	ds_read_b32 v16, v2
	ds_read_b32 v18, v4
	ds_read_b32 v20, v10
	ds_read_b32 v21, v13
	ds_read_b32 v24, v17
	ds_read_b32 v25, v19
	ds_read_b32 v23, v22
	;; [unrolled: 16-line block ×3, first 2 shown]
	s_cmp_le_i32 s8, s4
	s_cbranch_scc1 .LBB33_71
; %bb.69:
	s_mul_i32 s11, s16, 0x70
	v_lshl_add_u32 v26, v0, 2, s11
	s_lshl_b32 s11, s16, 2
	s_add_i32 s11, s5, s11
	v_add_u32_e32 v26, 0xbd0, v26
	s_addk_i32 s11, 0xf5ec
	s_mov_b32 s12, s8
.LBB33_70:                              ; =>This Inner Loop Header: Depth=1
	v_mov_b32_e32 v36, s11
	v_add_u32_e32 v40, 0x800, v36
	v_add_u32_e32 v42, 0x600, v36
	;; [unrolled: 1-line block ×3, first 2 shown]
	ds_read_b32 v52, v26
	ds_read2_b32 v[27:28], v36 offset0:224 offset1:252
	ds_read2_b32 v[29:30], v36 offset0:168 offset1:196
	ds_read2_b32 v[31:32], v36 offset0:112 offset1:140
	ds_read2_b32 v[34:35], v36 offset0:56 offset1:84
	ds_read2_b32 v[36:37], v36 offset1:28
	ds_read2_b32 v[38:39], v40 offset0:104 offset1:132
	ds_read2_b32 v[40:41], v40 offset0:48 offset1:76
	ds_read2_b32 v[42:43], v42 offset0:120 offset1:148
	ds_read2_b32 v[44:45], v50 offset0:192 offset1:220
	ds_read2_b32 v[46:47], v50 offset0:136 offset1:164
	ds_read2_b32 v[48:49], v50 offset0:80 offset1:108
	ds_read2_b32 v[50:51], v50 offset0:24 offset1:52
	s_add_i32 s12, s12, -1
	s_add_i32 s11, s11, -4
	v_add_u32_e32 v26, 0xffffff90, v26
	s_cmp_gt_i32 s12, s4
	s_waitcnt lgkmcnt(11)
	v_fma_f32 v25, -v52, v28, v25
	v_fma_f32 v23, -v52, v27, v23
	s_waitcnt lgkmcnt(10)
	v_fma_f32 v22, -v52, v30, v22
	v_fma_f32 v19, -v52, v29, v19
	s_waitcnt lgkmcnt(9)
	v_fma_f32 v17, -v52, v32, v17
	v_fma_f32 v13, -v52, v31, v13
	s_waitcnt lgkmcnt(8)
	v_fma_f32 v10, -v52, v35, v10
	v_fma_f32 v4, -v52, v34, v4
	s_waitcnt lgkmcnt(7)
	v_fma_f32 v2, -v52, v37, v2
	v_fma_f32 v1, -v52, v36, v1
	s_waitcnt lgkmcnt(6)
	v_fma_f32 v5, -v52, v39, v5
	v_fma_f32 v6, -v52, v38, v6
	s_waitcnt lgkmcnt(5)
	v_fma_f32 v7, -v52, v41, v7
	v_fma_f32 v8, -v52, v40, v8
	s_waitcnt lgkmcnt(4)
	v_fma_f32 v9, -v52, v43, v9
	v_fma_f32 v11, -v52, v42, v11
	s_waitcnt lgkmcnt(3)
	v_fma_f32 v12, -v52, v45, v12
	v_fma_f32 v14, -v52, v44, v14
	s_waitcnt lgkmcnt(2)
	v_fma_f32 v15, -v52, v47, v15
	v_fma_f32 v16, -v52, v46, v16
	s_waitcnt lgkmcnt(1)
	v_fma_f32 v18, -v52, v49, v18
	v_fma_f32 v20, -v52, v48, v20
	s_waitcnt lgkmcnt(0)
	v_fma_f32 v21, -v52, v51, v21
	v_fma_f32 v24, -v52, v50, v24
	s_cbranch_scc1 .LBB33_70
.LBB33_71:
	s_mul_i32 s11, s4, 0x74
	v_mov_b32_e32 v26, s11
	s_add_i32 s11, s5, 0xffffff90
	s_lshl_b32 s5, s4, 2
	s_add_i32 s5, s11, s5
	s_add_i32 s12, s5, -4
	ds_read_b32 v30, v26
	v_mov_b32_e32 v26, s12
	s_add_i32 s12, s5, 0xffffff90
	v_mov_b32_e32 v28, s12
	s_add_i32 s12, s5, 0xffffff88
	v_mov_b32_e32 v29, s12
	ds_read2_b32 v[26:27], v26 offset1:1
	ds_read_b32 v31, v28
	ds_read2_b32 v[28:29], v29 offset1:1
	s_waitcnt lgkmcnt(3)
	v_mul_f32_e32 v5, v5, v30
	ds_write_b32 v3, v5
	s_waitcnt lgkmcnt(3)
	v_fma_f32 v3, -v5, v27, v6
	v_mul_f32_e32 v6, v3, v26
	s_waitcnt lgkmcnt(2)
	v_fma_f32 v7, -v5, v31, v7
	v_add_u32_e32 v3, s11, v33
	s_waitcnt lgkmcnt(1)
	v_fma_f32 v7, -v6, v29, v7
	v_mul_f32_e32 v7, v7, v28
	v_add_u32_e32 v26, 0xffffff90, v3
	s_add_i32 s11, s5, 0xffffff1c
	ds_write_b32 v26, v7
	v_mov_b32_e32 v26, s11
	ds_read2_b32 v[26:27], v26 offset1:1
	s_add_i32 s11, s5, 0xffffff14
	v_mov_b32_e32 v28, s11
	s_add_i32 s11, s5, 0xfffffeb0
	v_mov_b32_e32 v30, s11
	s_add_i32 s11, s5, 0xfffffea8
	ds_write_b32 v3, v6
	v_mov_b32_e32 v31, s11
	ds_read2_b32 v[28:29], v28 offset1:1
	ds_read_b32 v32, v30
	ds_read2_b32 v[30:31], v31 offset1:1
	s_waitcnt lgkmcnt(4)
	v_fma_f32 v8, -v5, v27, v8
	v_fma_f32 v8, -v6, v26, v8
	s_waitcnt lgkmcnt(2)
	v_fma_f32 v8, -v7, v29, v8
	v_mul_f32_e32 v8, v8, v28
	v_add_u32_e32 v26, 0xffffff20, v3
	s_add_i32 s11, s5, 0xfffffea0
	ds_write_b32 v26, v8
	s_waitcnt lgkmcnt(2)
	v_fma_f32 v9, -v5, v32, v9
	v_mov_b32_e32 v26, s11
	s_add_i32 s11, s5, 0xfffffe3c
	s_waitcnt lgkmcnt(1)
	v_fma_f32 v9, -v6, v31, v9
	v_mov_b32_e32 v28, s11
	s_add_i32 s11, s5, 0xfffffe34
	v_fma_f32 v9, -v7, v30, v9
	v_mov_b32_e32 v30, s11
	s_add_i32 s11, s5, 0xfffffe2c
	ds_read2_b32 v[26:27], v26 offset1:1
	v_mov_b32_e32 v32, s11
	ds_read2_b32 v[28:29], v28 offset1:1
	ds_read2_b32 v[30:31], v30 offset1:1
	;; [unrolled: 1-line block ×3, first 2 shown]
	s_add_i32 s11, s5, 0xfffffdd0
	s_sub_i32 s4, s4, 24
	s_waitcnt lgkmcnt(2)
	v_fma_f32 v11, -v5, v29, v11
	v_fma_f32 v11, -v6, v28, v11
	;; [unrolled: 1-line block ×3, first 2 shown]
	s_waitcnt lgkmcnt(1)
	v_fma_f32 v11, -v7, v31, v11
	v_mul_f32_e32 v9, v9, v26
	v_fma_f32 v11, -v8, v30, v11
	v_add_u32_e32 v26, 0xfffffeb0, v3
	s_waitcnt lgkmcnt(0)
	v_fma_f32 v11, -v9, v35, v11
	ds_write_b32 v26, v9
	v_mul_f32_e32 v11, v11, v34
	v_add_u32_e32 v26, 0xfffffe40, v3
	ds_write_b32 v26, v11
	v_mov_b32_e32 v26, s11
	s_add_i32 s11, s5, 0xfffffdc8
	v_mov_b32_e32 v27, s11
	ds_read_b32 v32, v26
	ds_read2_b32 v[26:27], v27 offset1:1
	s_add_i32 s11, s5, 0xfffffdc0
	v_mov_b32_e32 v28, s11
	s_add_i32 s11, s5, 0xfffffdb8
	v_mov_b32_e32 v30, s11
	ds_read2_b32 v[28:29], v28 offset1:1
	ds_read2_b32 v[30:31], v30 offset1:1
	s_waitcnt lgkmcnt(3)
	v_fma_f32 v12, -v5, v32, v12
	s_waitcnt lgkmcnt(2)
	v_fma_f32 v12, -v6, v27, v12
	v_fma_f32 v12, -v7, v26, v12
	s_waitcnt lgkmcnt(1)
	v_fma_f32 v12, -v8, v29, v12
	;; [unrolled: 3-line block ×3, first 2 shown]
	v_mul_f32_e32 v12, v12, v30
	v_add_u32_e32 v26, 0xfffffdd0, v3
	s_add_i32 s11, s5, 0xfffffd5c
	ds_write_b32 v26, v12
	v_mov_b32_e32 v26, s11
	ds_read2_b32 v[26:27], v26 offset1:1
	s_add_i32 s11, s5, 0xfffffd54
	v_mov_b32_e32 v28, s11
	s_add_i32 s11, s5, 0xfffffd4c
	v_mov_b32_e32 v30, s11
	;; [unrolled: 2-line block ×3, first 2 shown]
	ds_read2_b32 v[28:29], v28 offset1:1
	ds_read2_b32 v[30:31], v30 offset1:1
	;; [unrolled: 1-line block ×3, first 2 shown]
	s_waitcnt lgkmcnt(3)
	v_fma_f32 v14, -v5, v27, v14
	v_fma_f32 v14, -v6, v26, v14
	s_waitcnt lgkmcnt(2)
	v_fma_f32 v14, -v7, v29, v14
	v_fma_f32 v14, -v8, v28, v14
	;; [unrolled: 3-line block ×3, first 2 shown]
	s_waitcnt lgkmcnt(0)
	v_fma_f32 v14, -v12, v35, v14
	v_mul_f32_e32 v14, v14, v34
	v_add_u32_e32 v26, 0xfffffd60, v3
	s_add_i32 s11, s5, 0xfffffcf0
	ds_write_b32 v26, v14
	v_mov_b32_e32 v26, s11
	s_add_i32 s11, s5, 0xfffffce8
	v_mov_b32_e32 v27, s11
	ds_read_b32 v32, v26
	ds_read2_b32 v[26:27], v27 offset1:1
	s_add_i32 s11, s5, 0xfffffce0
	v_mov_b32_e32 v28, s11
	s_add_i32 s11, s5, 0xfffffcd8
	v_mov_b32_e32 v30, s11
	ds_read2_b32 v[28:29], v28 offset1:1
	ds_read2_b32 v[30:31], v30 offset1:1
	s_waitcnt lgkmcnt(3)
	v_fma_f32 v15, -v5, v32, v15
	s_waitcnt lgkmcnt(2)
	v_fma_f32 v15, -v6, v27, v15
	s_add_i32 s11, s5, 0xfffffcd0
	v_fma_f32 v15, -v7, v26, v15
	v_mov_b32_e32 v26, s11
	ds_read2_b32 v[26:27], v26 offset1:1
	s_waitcnt lgkmcnt(2)
	v_fma_f32 v15, -v8, v29, v15
	v_fma_f32 v15, -v9, v28, v15
	s_waitcnt lgkmcnt(1)
	v_fma_f32 v15, -v11, v31, v15
	v_fma_f32 v15, -v12, v30, v15
	s_waitcnt lgkmcnt(0)
	v_fma_f32 v15, -v14, v27, v15
	v_mul_f32_e32 v15, v15, v26
	v_add_u32_e32 v26, 0xfffffcf0, v3
	s_add_i32 s11, s5, 0xfffffc7c
	ds_write_b32 v26, v15
	v_mov_b32_e32 v26, s11
	ds_read2_b32 v[26:27], v26 offset1:1
	s_add_i32 s11, s5, 0xfffffc74
	v_mov_b32_e32 v28, s11
	s_add_i32 s11, s5, 0xfffffc6c
	v_mov_b32_e32 v30, s11
	;; [unrolled: 2-line block ×3, first 2 shown]
	ds_read2_b32 v[28:29], v28 offset1:1
	ds_read2_b32 v[30:31], v30 offset1:1
	;; [unrolled: 1-line block ×3, first 2 shown]
	s_waitcnt lgkmcnt(3)
	v_fma_f32 v16, -v5, v27, v16
	v_fma_f32 v16, -v6, v26, v16
	s_add_i32 s11, s5, 0xfffffc5c
	s_waitcnt lgkmcnt(2)
	v_fma_f32 v16, -v7, v29, v16
	v_mov_b32_e32 v26, s11
	v_fma_f32 v16, -v8, v28, v16
	ds_read2_b32 v[26:27], v26 offset1:1
	s_waitcnt lgkmcnt(2)
	v_fma_f32 v16, -v9, v31, v16
	v_fma_f32 v16, -v11, v30, v16
	s_waitcnt lgkmcnt(1)
	v_fma_f32 v16, -v12, v35, v16
	s_add_i32 s11, s5, 0xfffffc10
	v_fma_f32 v16, -v14, v34, v16
	v_mov_b32_e32 v28, s11
	ds_read_b32 v28, v28
	s_waitcnt lgkmcnt(1)
	v_fma_f32 v16, -v15, v27, v16
	v_mul_f32_e32 v16, v16, v26
	v_add_u32_e32 v26, 0xfffffc80, v3
	s_add_i32 s11, s5, 0xfffffc08
	ds_write_b32 v26, v16
	v_mov_b32_e32 v26, s11
	ds_read2_b32 v[26:27], v26 offset1:1
	s_add_i32 s11, s5, 0xfffffc00
	s_waitcnt lgkmcnt(2)
	v_fma_f32 v18, -v5, v28, v18
	v_mov_b32_e32 v28, s11
	s_add_i32 s11, s5, 0xfffffbf8
	v_mov_b32_e32 v30, s11
	s_add_i32 s11, s5, 0xfffffbf0
	v_mov_b32_e32 v32, s11
	ds_read2_b32 v[28:29], v28 offset1:1
	ds_read2_b32 v[30:31], v30 offset1:1
	;; [unrolled: 1-line block ×3, first 2 shown]
	s_waitcnt lgkmcnt(3)
	v_fma_f32 v18, -v6, v27, v18
	v_fma_f32 v18, -v7, v26, v18
	s_add_i32 s11, s5, 0xfffffbe8
	s_waitcnt lgkmcnt(2)
	v_fma_f32 v18, -v8, v29, v18
	v_mov_b32_e32 v26, s11
	v_fma_f32 v18, -v9, v28, v18
	ds_read2_b32 v[26:27], v26 offset1:1
	s_waitcnt lgkmcnt(2)
	v_fma_f32 v18, -v11, v31, v18
	v_fma_f32 v18, -v12, v30, v18
	s_waitcnt lgkmcnt(1)
	v_fma_f32 v18, -v14, v35, v18
	v_fma_f32 v18, -v15, v34, v18
	s_waitcnt lgkmcnt(0)
	v_fma_f32 v18, -v16, v27, v18
	v_mul_f32_e32 v18, v18, v26
	v_add_u32_e32 v26, 0xfffffc10, v3
	s_add_i32 s11, s5, 0xfffffb9c
	ds_write_b32 v26, v18
	v_mov_b32_e32 v26, s11
	ds_read2_b32 v[26:27], v26 offset1:1
	s_add_i32 s11, s5, 0xfffffb94
	v_mov_b32_e32 v28, s11
	s_add_i32 s11, s5, 0xfffffb8c
	v_mov_b32_e32 v30, s11
	;; [unrolled: 2-line block ×3, first 2 shown]
	ds_read2_b32 v[28:29], v28 offset1:1
	ds_read2_b32 v[30:31], v30 offset1:1
	;; [unrolled: 1-line block ×3, first 2 shown]
	s_waitcnt lgkmcnt(3)
	v_fma_f32 v20, -v5, v27, v20
	v_fma_f32 v20, -v6, v26, v20
	s_add_i32 s11, s5, 0xfffffb7c
	s_waitcnt lgkmcnt(2)
	v_fma_f32 v20, -v7, v29, v20
	v_mov_b32_e32 v26, s11
	v_fma_f32 v20, -v8, v28, v20
	ds_read2_b32 v[26:27], v26 offset1:1
	s_waitcnt lgkmcnt(2)
	v_fma_f32 v20, -v9, v31, v20
	v_fma_f32 v20, -v11, v30, v20
	s_waitcnt lgkmcnt(1)
	v_fma_f32 v20, -v12, v35, v20
	v_fma_f32 v20, -v14, v34, v20
	s_add_i32 s11, s5, 0xfffffb74
	s_waitcnt lgkmcnt(0)
	v_fma_f32 v20, -v15, v27, v20
	v_mov_b32_e32 v27, s11
	s_add_i32 s11, s5, 0xfffffb30
	ds_read2_b32 v[27:28], v27 offset1:1
	v_fma_f32 v20, -v16, v26, v20
	v_mov_b32_e32 v26, s11
	ds_read_b32 v26, v26
	s_add_i32 s11, s5, 0xfffffb28
	s_waitcnt lgkmcnt(1)
	v_fma_f32 v20, -v18, v28, v20
	v_mul_f32_e32 v20, v20, v27
	v_add_u32_e32 v27, 0xfffffba0, v3
	s_waitcnt lgkmcnt(0)
	v_fma_f32 v21, -v5, v26, v21
	v_mov_b32_e32 v26, s11
	ds_write_b32 v27, v20
	ds_read2_b32 v[26:27], v26 offset1:1
	s_add_i32 s11, s5, 0xfffffb20
	v_mov_b32_e32 v28, s11
	s_add_i32 s11, s5, 0xfffffb18
	v_mov_b32_e32 v30, s11
	;; [unrolled: 2-line block ×3, first 2 shown]
	ds_read2_b32 v[28:29], v28 offset1:1
	ds_read2_b32 v[30:31], v30 offset1:1
	;; [unrolled: 1-line block ×3, first 2 shown]
	s_waitcnt lgkmcnt(3)
	v_fma_f32 v21, -v6, v27, v21
	v_fma_f32 v21, -v7, v26, v21
	s_add_i32 s11, s5, 0xfffffb08
	s_waitcnt lgkmcnt(2)
	v_fma_f32 v21, -v8, v29, v21
	v_mov_b32_e32 v26, s11
	v_fma_f32 v21, -v9, v28, v21
	ds_read2_b32 v[26:27], v26 offset1:1
	s_add_i32 s11, s5, 0xfffffb00
	s_waitcnt lgkmcnt(2)
	v_fma_f32 v21, -v11, v31, v21
	v_mov_b32_e32 v28, s11
	v_fma_f32 v21, -v12, v30, v21
	ds_read2_b32 v[28:29], v28 offset1:1
	s_waitcnt lgkmcnt(2)
	v_fma_f32 v21, -v14, v35, v21
	v_fma_f32 v21, -v15, v34, v21
	s_waitcnt lgkmcnt(1)
	v_fma_f32 v21, -v16, v27, v21
	v_fma_f32 v21, -v18, v26, v21
	s_waitcnt lgkmcnt(0)
	v_fma_f32 v21, -v20, v29, v21
	v_mul_f32_e32 v21, v21, v28
	v_add_u32_e32 v26, 0xfffffb30, v3
	s_add_i32 s11, s5, 0xfffffabc
	ds_write_b32 v26, v21
	v_mov_b32_e32 v26, s11
	ds_read2_b32 v[26:27], v26 offset1:1
	s_add_i32 s11, s5, 0xfffffab4
	v_mov_b32_e32 v28, s11
	s_add_i32 s11, s5, 0xfffffaac
	v_mov_b32_e32 v30, s11
	;; [unrolled: 2-line block ×3, first 2 shown]
	ds_read2_b32 v[28:29], v28 offset1:1
	ds_read2_b32 v[30:31], v30 offset1:1
	ds_read2_b32 v[34:35], v32 offset1:1
	s_waitcnt lgkmcnt(3)
	v_fma_f32 v24, -v5, v27, v24
	v_fma_f32 v24, -v6, v26, v24
	s_add_i32 s11, s5, 0xfffffa9c
	s_waitcnt lgkmcnt(2)
	v_fma_f32 v24, -v7, v29, v24
	v_mov_b32_e32 v26, s11
	v_fma_f32 v24, -v8, v28, v24
	ds_read2_b32 v[26:27], v26 offset1:1
	s_add_i32 s11, s5, 0xfffffa94
	s_waitcnt lgkmcnt(2)
	v_fma_f32 v24, -v9, v31, v24
	v_mov_b32_e32 v28, s11
	v_fma_f32 v24, -v11, v30, v24
	ds_read2_b32 v[28:29], v28 offset1:1
	s_waitcnt lgkmcnt(2)
	v_fma_f32 v24, -v12, v35, v24
	v_fma_f32 v24, -v14, v34, v24
	s_waitcnt lgkmcnt(1)
	v_fma_f32 v24, -v15, v27, v24
	v_fma_f32 v24, -v16, v26, v24
	s_add_i32 s11, s5, 0xfffffa8c
	s_waitcnt lgkmcnt(0)
	v_fma_f32 v24, -v18, v29, v24
	v_mov_b32_e32 v26, s11
	s_add_i32 s11, s5, 0xfffffa50
	ds_read2_b32 v[26:27], v26 offset1:1
	v_fma_f32 v24, -v20, v28, v24
	v_mov_b32_e32 v28, s11
	ds_read_b32 v28, v28
	s_add_i32 s11, s5, 0xfffffa48
	s_waitcnt lgkmcnt(1)
	v_fma_f32 v24, -v21, v27, v24
	v_mul_f32_e32 v24, v24, v26
	v_add_u32_e32 v26, 0xfffffac0, v3
	s_waitcnt lgkmcnt(0)
	v_fma_f32 v34, -v5, v28, v25
	v_mov_b32_e32 v25, s11
	ds_write_b32 v26, v24
	ds_read2_b32 v[25:26], v25 offset1:1
	s_add_i32 s11, s5, 0xfffffa40
	v_mov_b32_e32 v27, s11
	s_add_i32 s11, s5, 0xfffffa38
	v_mov_b32_e32 v29, s11
	;; [unrolled: 2-line block ×3, first 2 shown]
	ds_read2_b32 v[27:28], v27 offset1:1
	ds_read2_b32 v[29:30], v29 offset1:1
	;; [unrolled: 1-line block ×3, first 2 shown]
	s_waitcnt lgkmcnt(3)
	v_fma_f32 v26, -v6, v26, v34
	v_fma_f32 v25, -v7, v25, v26
	s_waitcnt lgkmcnt(2)
	v_fma_f32 v25, -v8, v28, v25
	v_fma_f32 v25, -v9, v27, v25
	;; [unrolled: 3-line block ×3, first 2 shown]
	s_waitcnt lgkmcnt(0)
	v_fma_f32 v25, -v14, v32, v25
	s_add_i32 s11, s5, 0xfffffa28
	v_fma_f32 v31, -v15, v31, v25
	v_mov_b32_e32 v25, s11
	s_add_i32 s11, s5, 0xfffffa20
	v_mov_b32_e32 v27, s11
	ds_read2_b32 v[25:26], v25 offset1:1
	ds_read2_b32 v[27:28], v27 offset1:1
	s_add_i32 s11, s5, 0xfffffa18
	v_mov_b32_e32 v29, s11
	ds_read2_b32 v[29:30], v29 offset1:1
	s_waitcnt lgkmcnt(2)
	v_fma_f32 v26, -v16, v26, v31
	v_fma_f32 v25, -v18, v25, v26
	s_waitcnt lgkmcnt(1)
	v_fma_f32 v25, -v20, v28, v25
	v_fma_f32 v25, -v21, v27, v25
	s_waitcnt lgkmcnt(0)
	v_fma_f32 v25, -v24, v30, v25
	v_mul_f32_e32 v25, v25, v29
	v_add_u32_e32 v26, 0xfffffa50, v3
	s_add_i32 s11, s5, 0xfffff9dc
	ds_write_b32 v26, v25
	v_mov_b32_e32 v26, s11
	ds_read2_b32 v[26:27], v26 offset1:1
	s_add_i32 s11, s5, 0xfffff9d4
	v_mov_b32_e32 v28, s11
	s_add_i32 s11, s5, 0xfffff9cc
	v_mov_b32_e32 v30, s11
	;; [unrolled: 2-line block ×3, first 2 shown]
	ds_read2_b32 v[28:29], v28 offset1:1
	ds_read2_b32 v[30:31], v30 offset1:1
	;; [unrolled: 1-line block ×3, first 2 shown]
	s_waitcnt lgkmcnt(3)
	v_fma_f32 v23, -v5, v27, v23
	v_fma_f32 v23, -v6, v26, v23
	s_add_i32 s11, s5, 0xfffff9bc
	s_waitcnt lgkmcnt(2)
	v_fma_f32 v23, -v7, v29, v23
	v_mov_b32_e32 v26, s11
	s_add_i32 s11, s5, 0xfffff9b4
	v_fma_f32 v23, -v8, v28, v23
	v_mov_b32_e32 v28, s11
	s_waitcnt lgkmcnt(1)
	v_fma_f32 v23, -v9, v31, v23
	ds_read2_b32 v[26:27], v26 offset1:1
	ds_read2_b32 v[28:29], v28 offset1:1
	v_fma_f32 v23, -v11, v30, v23
	s_waitcnt lgkmcnt(2)
	v_fma_f32 v23, -v12, v35, v23
	s_add_i32 s11, s5, 0xfffff9ac
	v_fma_f32 v23, -v14, v34, v23
	v_mov_b32_e32 v30, s11
	ds_read2_b32 v[30:31], v30 offset1:1
	s_waitcnt lgkmcnt(2)
	v_fma_f32 v23, -v15, v27, v23
	s_add_i32 s11, s5, 0xfffff9a4
	v_fma_f32 v23, -v16, v26, v23
	v_mov_b32_e32 v26, s11
	ds_read2_b32 v[26:27], v26 offset1:1
	s_waitcnt lgkmcnt(2)
	v_fma_f32 v23, -v18, v29, v23
	s_add_i32 s11, s5, 0xfffff970
	v_fma_f32 v23, -v20, v28, v23
	v_mov_b32_e32 v28, s11
	ds_read_b32 v28, v28
	s_waitcnt lgkmcnt(2)
	v_fma_f32 v23, -v21, v31, v23
	v_fma_f32 v23, -v24, v30, v23
	s_waitcnt lgkmcnt(1)
	v_fma_f32 v23, -v25, v27, v23
	v_mul_f32_e32 v23, v23, v26
	v_add_u32_e32 v26, 0xfffff9e0, v3
	s_add_i32 s11, s5, 0xfffff968
	ds_write_b32 v26, v23
	v_mov_b32_e32 v26, s11
	ds_read2_b32 v[26:27], v26 offset1:1
	s_add_i32 s11, s5, 0xfffff960
	s_waitcnt lgkmcnt(2)
	v_fma_f32 v22, -v5, v28, v22
	v_mov_b32_e32 v28, s11
	s_add_i32 s11, s5, 0xfffff958
	v_mov_b32_e32 v30, s11
	s_add_i32 s11, s5, 0xfffff950
	v_mov_b32_e32 v32, s11
	ds_read2_b32 v[28:29], v28 offset1:1
	ds_read2_b32 v[30:31], v30 offset1:1
	;; [unrolled: 1-line block ×3, first 2 shown]
	s_waitcnt lgkmcnt(3)
	v_fma_f32 v22, -v6, v27, v22
	v_fma_f32 v22, -v7, v26, v22
	s_add_i32 s11, s5, 0xfffff948
	s_waitcnt lgkmcnt(2)
	v_fma_f32 v22, -v8, v29, v22
	v_mov_b32_e32 v26, s11
	v_fma_f32 v22, -v9, v28, v22
	ds_read2_b32 v[26:27], v26 offset1:1
	s_waitcnt lgkmcnt(2)
	v_fma_f32 v22, -v11, v31, v22
	s_add_i32 s11, s5, 0xfffff940
	v_fma_f32 v22, -v12, v30, v22
	v_mov_b32_e32 v28, s11
	s_add_i32 s11, s5, 0xfffff938
	s_waitcnt lgkmcnt(1)
	v_fma_f32 v22, -v14, v35, v22
	v_mov_b32_e32 v30, s11
	v_fma_f32 v22, -v15, v34, v22
	ds_read2_b32 v[28:29], v28 offset1:1
	ds_read2_b32 v[30:31], v30 offset1:1
	s_waitcnt lgkmcnt(2)
	v_fma_f32 v22, -v16, v27, v22
	s_add_i32 s11, s5, 0xfffff930
	v_fma_f32 v22, -v18, v26, v22
	v_mov_b32_e32 v26, s11
	ds_read2_b32 v[26:27], v26 offset1:1
	s_waitcnt lgkmcnt(2)
	v_fma_f32 v22, -v20, v29, v22
	v_fma_f32 v22, -v21, v28, v22
	s_waitcnt lgkmcnt(1)
	v_fma_f32 v22, -v24, v31, v22
	v_fma_f32 v22, -v25, v30, v22
	s_waitcnt lgkmcnt(0)
	v_fma_f32 v22, -v23, v27, v22
	v_mul_f32_e32 v22, v22, v26
	v_add_u32_e32 v26, 0xfffff970, v3
	s_add_i32 s11, s5, 0xfffff8fc
	ds_write_b32 v26, v22
	v_mov_b32_e32 v26, s11
	ds_read2_b32 v[26:27], v26 offset1:1
	s_add_i32 s11, s5, 0xfffff8f4
	v_mov_b32_e32 v28, s11
	s_add_i32 s11, s5, 0xfffff8ec
	v_mov_b32_e32 v30, s11
	;; [unrolled: 2-line block ×3, first 2 shown]
	ds_read2_b32 v[28:29], v28 offset1:1
	ds_read2_b32 v[30:31], v30 offset1:1
	;; [unrolled: 1-line block ×3, first 2 shown]
	s_waitcnt lgkmcnt(3)
	v_fma_f32 v19, -v5, v27, v19
	v_fma_f32 v19, -v6, v26, v19
	s_add_i32 s11, s5, 0xfffff8dc
	s_waitcnt lgkmcnt(2)
	v_fma_f32 v19, -v7, v29, v19
	v_mov_b32_e32 v26, s11
	v_fma_f32 v19, -v8, v28, v19
	ds_read2_b32 v[26:27], v26 offset1:1
	s_waitcnt lgkmcnt(2)
	v_fma_f32 v19, -v9, v31, v19
	s_add_i32 s11, s5, 0xfffff8d4
	v_fma_f32 v19, -v11, v30, v19
	v_mov_b32_e32 v28, s11
	s_add_i32 s11, s5, 0xfffff8cc
	s_waitcnt lgkmcnt(1)
	v_fma_f32 v19, -v12, v35, v19
	v_mov_b32_e32 v30, s11
	s_add_i32 s11, s5, 0xfffff8c4
	v_fma_f32 v19, -v14, v34, v19
	v_mov_b32_e32 v32, s11
	ds_read2_b32 v[28:29], v28 offset1:1
	ds_read2_b32 v[30:31], v30 offset1:1
	;; [unrolled: 1-line block ×3, first 2 shown]
	s_waitcnt lgkmcnt(3)
	v_fma_f32 v19, -v15, v27, v19
	v_fma_f32 v19, -v16, v26, v19
	s_add_i32 s11, s5, 0xfffff8bc
	s_waitcnt lgkmcnt(2)
	v_fma_f32 v19, -v18, v29, v19
	v_mov_b32_e32 v26, s11
	v_fma_f32 v19, -v20, v28, v19
	ds_read2_b32 v[26:27], v26 offset1:1
	s_waitcnt lgkmcnt(2)
	v_fma_f32 v19, -v21, v31, v19
	v_fma_f32 v19, -v24, v30, v19
	s_waitcnt lgkmcnt(1)
	v_fma_f32 v19, -v25, v35, v19
	s_add_i32 s11, s5, 0xfffff890
	v_fma_f32 v19, -v23, v34, v19
	v_mov_b32_e32 v28, s11
	ds_read_b32 v28, v28
	s_waitcnt lgkmcnt(1)
	v_fma_f32 v19, -v22, v27, v19
	v_mul_f32_e32 v19, v19, v26
	v_add_u32_e32 v26, 0xfffff900, v3
	s_add_i32 s11, s5, 0xfffff888
	ds_write_b32 v26, v19
	v_mov_b32_e32 v26, s11
	ds_read2_b32 v[26:27], v26 offset1:1
	s_add_i32 s11, s5, 0xfffff880
	s_waitcnt lgkmcnt(2)
	v_fma_f32 v17, -v5, v28, v17
	v_mov_b32_e32 v28, s11
	s_add_i32 s11, s5, 0xfffff878
	v_mov_b32_e32 v30, s11
	s_add_i32 s11, s5, 0xfffff870
	v_mov_b32_e32 v32, s11
	ds_read2_b32 v[28:29], v28 offset1:1
	ds_read2_b32 v[30:31], v30 offset1:1
	;; [unrolled: 1-line block ×3, first 2 shown]
	s_waitcnt lgkmcnt(3)
	v_fma_f32 v17, -v6, v27, v17
	v_fma_f32 v17, -v7, v26, v17
	s_add_i32 s11, s5, 0xfffff868
	s_waitcnt lgkmcnt(2)
	v_fma_f32 v17, -v8, v29, v17
	v_mov_b32_e32 v26, s11
	v_fma_f32 v17, -v9, v28, v17
	ds_read2_b32 v[26:27], v26 offset1:1
	s_waitcnt lgkmcnt(2)
	v_fma_f32 v17, -v11, v31, v17
	s_add_i32 s11, s5, 0xfffff860
	v_fma_f32 v17, -v12, v30, v17
	v_mov_b32_e32 v28, s11
	s_add_i32 s11, s5, 0xfffff858
	s_waitcnt lgkmcnt(1)
	v_fma_f32 v17, -v14, v35, v17
	v_mov_b32_e32 v30, s11
	s_add_i32 s11, s5, 0xfffff850
	v_fma_f32 v17, -v15, v34, v17
	v_mov_b32_e32 v32, s11
	ds_read2_b32 v[28:29], v28 offset1:1
	ds_read2_b32 v[30:31], v30 offset1:1
	;; [unrolled: 1-line block ×3, first 2 shown]
	s_waitcnt lgkmcnt(3)
	v_fma_f32 v17, -v16, v27, v17
	v_fma_f32 v17, -v18, v26, v17
	s_add_i32 s11, s5, 0xfffff848
	s_waitcnt lgkmcnt(2)
	v_fma_f32 v17, -v20, v29, v17
	v_mov_b32_e32 v26, s11
	v_fma_f32 v17, -v21, v28, v17
	ds_read2_b32 v[26:27], v26 offset1:1
	s_waitcnt lgkmcnt(2)
	v_fma_f32 v17, -v24, v31, v17
	v_fma_f32 v17, -v25, v30, v17
	s_waitcnt lgkmcnt(1)
	v_fma_f32 v17, -v23, v35, v17
	v_fma_f32 v17, -v22, v34, v17
	s_waitcnt lgkmcnt(0)
	v_fma_f32 v17, -v19, v27, v17
	v_mul_f32_e32 v17, v17, v26
	v_add_u32_e32 v26, 0xfffff890, v3
	s_add_i32 s11, s5, 0xfffff81c
	ds_write_b32 v26, v17
	v_mov_b32_e32 v26, s11
	ds_read2_b32 v[26:27], v26 offset1:1
	s_add_i32 s11, s5, 0xfffff814
	v_mov_b32_e32 v28, s11
	s_add_i32 s11, s5, 0xfffff80c
	v_mov_b32_e32 v30, s11
	;; [unrolled: 2-line block ×3, first 2 shown]
	ds_read2_b32 v[28:29], v28 offset1:1
	ds_read2_b32 v[30:31], v30 offset1:1
	;; [unrolled: 1-line block ×3, first 2 shown]
	s_waitcnt lgkmcnt(3)
	v_fma_f32 v13, -v5, v27, v13
	v_fma_f32 v13, -v6, v26, v13
	s_add_i32 s11, s5, 0xfffff7fc
	s_waitcnt lgkmcnt(2)
	v_fma_f32 v13, -v7, v29, v13
	v_mov_b32_e32 v26, s11
	v_fma_f32 v13, -v8, v28, v13
	ds_read2_b32 v[26:27], v26 offset1:1
	s_waitcnt lgkmcnt(2)
	v_fma_f32 v13, -v9, v31, v13
	s_add_i32 s11, s5, 0xfffff7f4
	v_fma_f32 v13, -v11, v30, v13
	v_mov_b32_e32 v28, s11
	s_add_i32 s11, s5, 0xfffff7ec
	s_waitcnt lgkmcnt(1)
	v_fma_f32 v13, -v12, v35, v13
	v_mov_b32_e32 v30, s11
	s_add_i32 s11, s5, 0xfffff7e4
	v_fma_f32 v13, -v14, v34, v13
	v_mov_b32_e32 v32, s11
	ds_read2_b32 v[28:29], v28 offset1:1
	ds_read2_b32 v[30:31], v30 offset1:1
	;; [unrolled: 1-line block ×3, first 2 shown]
	s_waitcnt lgkmcnt(3)
	v_fma_f32 v13, -v15, v27, v13
	v_fma_f32 v13, -v16, v26, v13
	s_add_i32 s11, s5, 0xfffff7dc
	s_waitcnt lgkmcnt(2)
	v_fma_f32 v13, -v18, v29, v13
	v_mov_b32_e32 v26, s11
	v_fma_f32 v13, -v20, v28, v13
	ds_read2_b32 v[26:27], v26 offset1:1
	s_waitcnt lgkmcnt(2)
	v_fma_f32 v13, -v21, v31, v13
	v_fma_f32 v13, -v24, v30, v13
	s_waitcnt lgkmcnt(1)
	v_fma_f32 v13, -v25, v35, v13
	v_fma_f32 v13, -v23, v34, v13
	s_add_i32 s11, s5, 0xfffff7d4
	s_waitcnt lgkmcnt(0)
	v_fma_f32 v13, -v22, v27, v13
	v_mov_b32_e32 v27, s11
	s_add_i32 s11, s5, 0xfffff7b0
	ds_read2_b32 v[27:28], v27 offset1:1
	v_fma_f32 v13, -v19, v26, v13
	v_mov_b32_e32 v26, s11
	ds_read_b32 v26, v26
	s_add_i32 s11, s5, 0xfffff7a8
	s_waitcnt lgkmcnt(1)
	v_fma_f32 v13, -v17, v28, v13
	v_mul_f32_e32 v13, v13, v27
	v_add_u32_e32 v27, 0xfffff820, v3
	s_waitcnt lgkmcnt(0)
	v_fma_f32 v10, -v5, v26, v10
	v_mov_b32_e32 v26, s11
	ds_write_b32 v27, v13
	ds_read2_b32 v[26:27], v26 offset1:1
	s_add_i32 s11, s5, 0xfffff7a0
	v_mov_b32_e32 v28, s11
	s_add_i32 s11, s5, 0xfffff798
	v_mov_b32_e32 v30, s11
	;; [unrolled: 2-line block ×3, first 2 shown]
	ds_read2_b32 v[28:29], v28 offset1:1
	ds_read2_b32 v[30:31], v30 offset1:1
	;; [unrolled: 1-line block ×3, first 2 shown]
	s_waitcnt lgkmcnt(3)
	v_fma_f32 v10, -v6, v27, v10
	v_fma_f32 v10, -v7, v26, v10
	s_add_i32 s11, s5, 0xfffff788
	s_waitcnt lgkmcnt(2)
	v_fma_f32 v10, -v8, v29, v10
	v_mov_b32_e32 v26, s11
	v_fma_f32 v10, -v9, v28, v10
	ds_read2_b32 v[26:27], v26 offset1:1
	s_waitcnt lgkmcnt(2)
	v_fma_f32 v10, -v11, v31, v10
	s_add_i32 s11, s5, 0xfffff780
	v_fma_f32 v10, -v12, v30, v10
	v_mov_b32_e32 v28, s11
	s_add_i32 s11, s5, 0xfffff778
	s_waitcnt lgkmcnt(1)
	v_fma_f32 v10, -v14, v35, v10
	v_mov_b32_e32 v30, s11
	s_add_i32 s11, s5, 0xfffff770
	v_fma_f32 v10, -v15, v34, v10
	v_mov_b32_e32 v32, s11
	ds_read2_b32 v[28:29], v28 offset1:1
	ds_read2_b32 v[30:31], v30 offset1:1
	;; [unrolled: 1-line block ×3, first 2 shown]
	s_waitcnt lgkmcnt(3)
	v_fma_f32 v10, -v16, v27, v10
	v_fma_f32 v10, -v18, v26, v10
	s_add_i32 s11, s5, 0xfffff768
	s_waitcnt lgkmcnt(2)
	v_fma_f32 v10, -v20, v29, v10
	v_mov_b32_e32 v26, s11
	v_fma_f32 v10, -v21, v28, v10
	ds_read2_b32 v[26:27], v26 offset1:1
	s_add_i32 s11, s5, 0xfffff760
	s_waitcnt lgkmcnt(2)
	v_fma_f32 v10, -v24, v31, v10
	v_mov_b32_e32 v28, s11
	v_fma_f32 v10, -v25, v30, v10
	ds_read2_b32 v[28:29], v28 offset1:1
	s_waitcnt lgkmcnt(2)
	v_fma_f32 v10, -v23, v35, v10
	v_fma_f32 v10, -v22, v34, v10
	s_waitcnt lgkmcnt(1)
	v_fma_f32 v10, -v19, v27, v10
	v_fma_f32 v10, -v17, v26, v10
	s_waitcnt lgkmcnt(0)
	v_fma_f32 v10, -v13, v29, v10
	v_mul_f32_e32 v10, v10, v28
	v_add_u32_e32 v26, 0xfffff7b0, v3
	s_add_i32 s11, s5, 0xfffff73c
	ds_write_b32 v26, v10
	v_mov_b32_e32 v26, s11
	ds_read2_b32 v[26:27], v26 offset1:1
	s_add_i32 s11, s5, 0xfffff734
	v_mov_b32_e32 v28, s11
	s_add_i32 s11, s5, 0xfffff72c
	v_mov_b32_e32 v30, s11
	;; [unrolled: 2-line block ×3, first 2 shown]
	ds_read2_b32 v[28:29], v28 offset1:1
	ds_read2_b32 v[30:31], v30 offset1:1
	;; [unrolled: 1-line block ×3, first 2 shown]
	s_waitcnt lgkmcnt(3)
	v_fma_f32 v4, -v5, v27, v4
	v_fma_f32 v4, -v6, v26, v4
	s_add_i32 s11, s5, 0xfffff71c
	s_waitcnt lgkmcnt(2)
	v_fma_f32 v4, -v7, v29, v4
	v_mov_b32_e32 v26, s11
	v_fma_f32 v4, -v8, v28, v4
	ds_read2_b32 v[26:27], v26 offset1:1
	s_waitcnt lgkmcnt(2)
	v_fma_f32 v4, -v9, v31, v4
	s_add_i32 s11, s5, 0xfffff714
	v_fma_f32 v4, -v11, v30, v4
	v_mov_b32_e32 v28, s11
	s_add_i32 s11, s5, 0xfffff70c
	s_waitcnt lgkmcnt(1)
	v_fma_f32 v4, -v12, v35, v4
	v_mov_b32_e32 v30, s11
	s_add_i32 s11, s5, 0xfffff704
	v_fma_f32 v4, -v14, v34, v4
	v_mov_b32_e32 v32, s11
	ds_read2_b32 v[28:29], v28 offset1:1
	ds_read2_b32 v[30:31], v30 offset1:1
	;; [unrolled: 1-line block ×3, first 2 shown]
	s_waitcnt lgkmcnt(3)
	v_fma_f32 v4, -v15, v27, v4
	v_fma_f32 v4, -v16, v26, v4
	s_add_i32 s11, s5, 0xfffff6fc
	s_waitcnt lgkmcnt(2)
	v_fma_f32 v4, -v18, v29, v4
	v_mov_b32_e32 v26, s11
	v_fma_f32 v4, -v20, v28, v4
	ds_read2_b32 v[26:27], v26 offset1:1
	s_waitcnt lgkmcnt(2)
	v_fma_f32 v4, -v21, v31, v4
	v_fma_f32 v4, -v24, v30, v4
	s_add_i32 s11, s5, 0xfffff6f4
	s_waitcnt lgkmcnt(1)
	v_fma_f32 v4, -v25, v35, v4
	v_mov_b32_e32 v28, s11
	v_fma_f32 v4, -v23, v34, v4
	ds_read2_b32 v[28:29], v28 offset1:1
	s_waitcnt lgkmcnt(1)
	v_fma_f32 v4, -v22, v27, v4
	s_add_i32 s11, s5, 0xfffff6ec
	v_fma_f32 v4, -v19, v26, v4
	v_mov_b32_e32 v26, s11
	ds_read2_b32 v[26:27], v26 offset1:1
	s_waitcnt lgkmcnt(1)
	v_fma_f32 v4, -v17, v29, v4
	v_fma_f32 v4, -v13, v28, v4
	s_add_i32 s11, s5, 0xfffff6d0
	v_mov_b32_e32 v28, s11
	s_waitcnt lgkmcnt(0)
	v_fma_f32 v4, -v10, v27, v4
	v_mul_f32_e32 v32, v4, v26
	v_add_u32_e32 v4, 0xfffff740, v3
	s_add_i32 s11, s5, 0xfffff6c8
	ds_read_b32 v28, v28
	ds_write_b32 v4, v32
	v_mov_b32_e32 v4, s11
	ds_read2_b32 v[26:27], v4 offset1:1
	s_add_i32 s11, s5, 0xfffff6c0
	v_mov_b32_e32 v4, s11
	s_add_i32 s11, s5, 0xfffff6b8
	v_mov_b32_e32 v30, s11
	;; [unrolled: 2-line block ×3, first 2 shown]
	s_waitcnt lgkmcnt(2)
	v_fma_f32 v2, -v5, v28, v2
	ds_read2_b32 v[28:29], v4 offset1:1
	ds_read2_b32 v[30:31], v30 offset1:1
	;; [unrolled: 1-line block ×3, first 2 shown]
	s_waitcnt lgkmcnt(3)
	v_fma_f32 v2, -v6, v27, v2
	v_fma_f32 v2, -v7, v26, v2
	s_waitcnt lgkmcnt(2)
	v_fma_f32 v2, -v8, v29, v2
	s_add_i32 s11, s5, 0xfffff6a8
	v_fma_f32 v2, -v9, v28, v2
	v_mov_b32_e32 v4, s11
	s_waitcnt lgkmcnt(1)
	v_fma_f32 v2, -v11, v31, v2
	ds_read2_b32 v[26:27], v4 offset1:1
	s_add_i32 s11, s5, 0xfffff6a0
	v_fma_f32 v2, -v12, v30, v2
	v_mov_b32_e32 v4, s11
	s_add_i32 s11, s5, 0xfffff698
	s_waitcnt lgkmcnt(1)
	v_fma_f32 v2, -v14, v35, v2
	v_mov_b32_e32 v30, s11
	s_add_i32 s11, s5, 0xfffff690
	v_fma_f32 v2, -v15, v34, v2
	v_mov_b32_e32 v34, s11
	ds_read2_b32 v[28:29], v4 offset1:1
	ds_read2_b32 v[30:31], v30 offset1:1
	;; [unrolled: 1-line block ×3, first 2 shown]
	s_waitcnt lgkmcnt(3)
	v_fma_f32 v2, -v16, v27, v2
	v_fma_f32 v2, -v18, v26, v2
	s_add_i32 s11, s5, 0xfffff688
	s_waitcnt lgkmcnt(2)
	v_fma_f32 v2, -v20, v29, v2
	v_mov_b32_e32 v4, s11
	s_add_i32 s11, s5, 0xfffff680
	v_fma_f32 v2, -v21, v28, v2
	v_mov_b32_e32 v28, s11
	s_waitcnt lgkmcnt(1)
	v_fma_f32 v2, -v24, v31, v2
	ds_read2_b32 v[26:27], v4 offset1:1
	ds_read2_b32 v[28:29], v28 offset1:1
	v_fma_f32 v2, -v25, v30, v2
	s_add_i32 s11, s5, 0xfffff678
	s_waitcnt lgkmcnt(2)
	v_fma_f32 v2, -v23, v35, v2
	v_mov_b32_e32 v4, s11
	v_fma_f32 v2, -v22, v34, v2
	ds_read2_b32 v[30:31], v4 offset1:1
	s_waitcnt lgkmcnt(2)
	v_fma_f32 v2, -v19, v27, v2
	v_fma_f32 v2, -v17, v26, v2
	s_waitcnt lgkmcnt(1)
	v_fma_f32 v2, -v13, v29, v2
	v_fma_f32 v2, -v10, v28, v2
	s_waitcnt lgkmcnt(0)
	v_fma_f32 v2, -v32, v31, v2
	v_mul_f32_e32 v36, v2, v30
	v_add_u32_e32 v2, 0xfffff6d0, v3
	s_add_i32 s11, s5, 0xfffff65c
	ds_write_b32 v2, v36
	v_mov_b32_e32 v2, s11
	ds_read2_b32 v[26:27], v2 offset1:1
	s_add_i32 s11, s5, 0xfffff654
	v_mov_b32_e32 v2, s11
	s_add_i32 s11, s5, 0xfffff64c
	v_mov_b32_e32 v4, s11
	;; [unrolled: 2-line block ×3, first 2 shown]
	ds_read2_b32 v[28:29], v2 offset1:1
	ds_read2_b32 v[30:31], v4 offset1:1
	;; [unrolled: 1-line block ×3, first 2 shown]
	s_waitcnt lgkmcnt(3)
	v_fma_f32 v1, -v5, v27, v1
	v_fma_f32 v1, -v6, v26, v1
	s_waitcnt lgkmcnt(2)
	v_fma_f32 v1, -v7, v29, v1
	v_fma_f32 v1, -v8, v28, v1
	;; [unrolled: 3-line block ×3, first 2 shown]
	s_waitcnt lgkmcnt(0)
	v_fma_f32 v1, -v12, v35, v1
	s_add_i32 s11, s5, 0xfffff63c
	v_fma_f32 v11, -v14, v34, v1
	v_mov_b32_e32 v1, s11
	ds_read2_b32 v[1:2], v1 offset1:1
	s_add_i32 s11, s5, 0xfffff634
	v_mov_b32_e32 v4, s11
	s_add_i32 s11, s5, 0xfffff62c
	v_mov_b32_e32 v6, s11
	;; [unrolled: 2-line block ×3, first 2 shown]
	ds_read2_b32 v[4:5], v4 offset1:1
	ds_read2_b32 v[6:7], v6 offset1:1
	;; [unrolled: 1-line block ×3, first 2 shown]
	s_waitcnt lgkmcnt(3)
	v_fma_f32 v2, -v15, v2, v11
	v_fma_f32 v1, -v16, v1, v2
	s_waitcnt lgkmcnt(2)
	v_fma_f32 v1, -v18, v5, v1
	v_fma_f32 v1, -v20, v4, v1
	;; [unrolled: 3-line block ×3, first 2 shown]
	s_waitcnt lgkmcnt(0)
	v_fma_f32 v1, -v25, v9, v1
	s_add_i32 s11, s5, 0xfffff61c
	v_fma_f32 v8, -v23, v8, v1
	v_mov_b32_e32 v1, s11
	ds_read2_b32 v[1:2], v1 offset1:1
	s_add_i32 s11, s5, 0xfffff614
	v_mov_b32_e32 v4, s11
	s_add_i32 s11, s5, 0xfffff60c
	v_mov_b32_e32 v6, s11
	ds_read2_b32 v[4:5], v4 offset1:1
	ds_read2_b32 v[6:7], v6 offset1:1
	s_waitcnt lgkmcnt(2)
	v_fma_f32 v2, -v22, v2, v8
	s_addk_i32 s5, 0xf604
	v_fma_f32 v8, -v19, v1, v2
	v_mov_b32_e32 v1, s5
	ds_read2_b32 v[1:2], v1 offset1:1
	s_waitcnt lgkmcnt(2)
	v_fma_f32 v5, -v17, v5, v8
	v_fma_f32 v4, -v13, v4, v5
	s_waitcnt lgkmcnt(1)
	v_fma_f32 v4, -v10, v7, v4
	v_fma_f32 v4, -v32, v6, v4
	s_waitcnt lgkmcnt(0)
	v_fma_f32 v2, -v36, v2, v4
	v_mul_f32_e32 v1, v2, v1
	v_add_u32_e32 v2, 0xfffff660, v3
	ds_write_b32 v2, v1
.LBB33_72:
	s_cmp_lt_i32 s4, 0
	s_cbranch_scc1 .LBB33_85
; %bb.73:
	s_bitcmp1_b32 s4, 0
	s_cselect_b64 s[12:13], -1, 0
	s_and_b64 vcc, exec, s[12:13]
	s_mov_b32 s5, s4
	s_cbranch_vccnz .LBB33_78
; %bb.74:
	s_mul_i32 s5, s4, 0x70
	v_add_u32_e32 v1, s5, v33
	ds_read_b32 v2, v1
	s_cmp_le_i32 s8, s4
	s_cbranch_scc1 .LBB33_77
; %bb.75:
	s_lshl_b32 s11, s16, 2
	s_add_i32 s5, s5, s11
	s_mul_i32 s11, s16, 0x70
	v_lshl_add_u32 v3, v0, 2, s11
	s_add_i32 s5, s5, -4
	v_add_u32_e32 v3, 0xbd0, v3
	s_mov_b32 s11, s8
.LBB33_76:                              ; =>This Inner Loop Header: Depth=1
	v_mov_b32_e32 v5, s5
	ds_read_b32 v4, v3
	ds_read_b32 v5, v5
	s_add_i32 s11, s11, -1
	s_add_i32 s5, s5, -4
	v_add_u32_e32 v3, 0xffffff90, v3
	s_cmp_gt_i32 s11, s4
	s_waitcnt lgkmcnt(0)
	v_fma_f32 v2, -v4, v5, v2
	s_cbranch_scc1 .LBB33_76
.LBB33_77:
	s_mul_i32 s5, s4, 0x74
	v_mov_b32_e32 v3, s5
	ds_read_b32 v3, v3
	s_add_i32 s5, s4, -1
	s_waitcnt lgkmcnt(0)
	v_mul_f32_e32 v2, v2, v3
	ds_write_b32 v1, v2
.LBB33_78:
	s_cmp_eq_u32 s4, 0
	s_cbranch_scc1 .LBB33_85
; %bb.79:
	s_mul_i32 s4, s5, 0x70
	s_lshl_b32 s11, s16, 2
	s_mul_i32 s12, s16, 0x70
	s_add_i32 s11, s4, s11
	v_lshl_add_u32 v1, v0, 2, s12
	s_add_i32 s4, s11, -4
	v_add_u32_e32 v1, 0xbd0, v1
	s_addk_i32 s11, 0xff8c
	s_branch .LBB33_81
.LBB33_80:                              ;   in Loop: Header=BB33_81 Depth=1
	s_addk_i32 s12, 0xff8c
	v_mov_b32_e32 v3, s12
	ds_read_b32 v3, v3
	s_add_i32 s12, s5, -2
	s_addk_i32 s4, 0xff20
	s_addk_i32 s11, 0xff20
	s_cmp_lt_i32 s5, 2
	s_waitcnt lgkmcnt(0)
	v_mul_f32_e32 v3, v5, v3
	s_mov_b32 s5, s12
	ds_write_b32 v2, v3
	s_cbranch_scc1 .LBB33_85
.LBB33_81:                              ; =>This Loop Header: Depth=1
                                        ;     Child Loop BB33_82 Depth 2
                                        ;     Child Loop BB33_84 Depth 2
	s_mul_i32 s13, s5, 0x70
	v_add_u32_e32 v3, s13, v33
	ds_read_b32 v4, v3
	s_cmp_le_i32 s8, s5
	v_mov_b32_e32 v2, v1
	s_mov_b32 s12, s4
	s_mov_b32 s14, s8
	s_cbranch_scc1 .LBB33_83
.LBB33_82:                              ;   Parent Loop BB33_81 Depth=1
                                        ; =>  This Inner Loop Header: Depth=2
	v_mov_b32_e32 v6, s12
	ds_read_b32 v5, v2
	ds_read_b32 v6, v6
	s_add_i32 s14, s14, -1
	s_add_i32 s12, s12, -4
	v_add_u32_e32 v2, 0xffffff90, v2
	s_cmp_gt_i32 s14, s5
	s_waitcnt lgkmcnt(0)
	v_fma_f32 v4, -v5, v6, v4
	s_cbranch_scc1 .LBB33_82
.LBB33_83:                              ;   in Loop: Header=BB33_81 Depth=1
	s_mul_i32 s12, s5, 0x74
	v_mov_b32_e32 v2, s12
	ds_read_b32 v6, v2
	s_addk_i32 s13, 0xff90
	v_add_u32_e32 v2, s13, v33
	ds_read_b32 v5, v2
	s_cmp_le_i32 s16, s5
	s_waitcnt lgkmcnt(1)
	v_mul_f32_e32 v4, v4, v6
	ds_write_b32 v3, v4
	v_mov_b32_e32 v3, v1
	s_mov_b32 s13, s11
	s_mov_b32 s14, s16
	s_cbranch_scc1 .LBB33_80
.LBB33_84:                              ;   Parent Loop BB33_81 Depth=1
                                        ; =>  This Inner Loop Header: Depth=2
	v_mov_b32_e32 v6, s13
	ds_read_b32 v4, v3
	ds_read_b32 v6, v6
	s_add_i32 s14, s14, -1
	s_add_i32 s13, s13, -4
	v_add_u32_e32 v3, 0xffffff90, v3
	s_cmp_gt_i32 s14, s5
	s_waitcnt lgkmcnt(0)
	v_fma_f32 v5, -v4, v6, v5
	s_cbranch_scc1 .LBB33_84
	s_branch .LBB33_80
.LBB33_85:
	s_mov_b64 s[4:5], 0
.LBB33_86:
	s_and_b64 vcc, exec, s[4:5]
	s_cbranch_vccz .LBB33_100
; %bb.87:
	s_cmp_gt_i32 s10, 27
	s_cselect_b64 s[4:5], -1, 0
	s_and_b64 vcc, exec, s[4:5]
	s_cbranch_vccz .LBB33_89
; %bb.88:
	v_add_u32_e32 v68, 0x400, v33
	v_add_u32_e32 v69, 0x600, v33
	v_add_u32_e32 v24, 0x800, v33
	v_mov_b32_e32 v25, 0
	ds_read2_b32 v[5:6], v33 offset1:28
	ds_read2_b32 v[8:9], v33 offset0:56 offset1:84
	ds_read2_b32 v[12:13], v33 offset0:112 offset1:140
	;; [unrolled: 1-line block ×13, first 2 shown]
	ds_read_b128 v[1:4], v25
	ds_read2_b32 v[34:35], v25 offset0:203 offset1:204
	s_movk_i32 s11, 0x200
	s_movk_i32 s10, 0x400
	;; [unrolled: 1-line block ×3, first 2 shown]
	s_waitcnt lgkmcnt(1)
	v_mul_f32_e32 v38, v5, v1
	v_fma_f32 v5, -v38, v2, v6
	ds_read2_b32 v[1:2], v25 offset0:29 offset1:30
	s_waitcnt lgkmcnt(0)
	v_mul_f32_e32 v26, v5, v1
	v_fma_f32 v1, -v38, v3, v8
	ds_read2_b64 v[5:8], v25 offset0:29 offset1:30
	v_fma_f32 v1, -v26, v2, v1
	ds_write2_b32 v33, v38, v26 offset1:28
	s_waitcnt lgkmcnt(1)
	v_mul_f32_e32 v27, v1, v5
	v_fma_f32 v1, -v38, v4, v9
	ds_read2_b32 v[4:5], v25 offset0:31 offset1:32
	ds_read2_b32 v[9:10], v25 offset0:87 offset1:88
	s_waitcnt lgkmcnt(1)
	v_fma_f32 v1, -v26, v4, v1
	v_fma_f32 v1, -v27, v6, v1
	s_waitcnt lgkmcnt(0)
	v_mul_f32_e32 v28, v1, v9
	ds_read_b128 v[1:4], v25 offset:16
	ds_write2_b32 v33, v27, v28 offset0:56 offset1:84
	s_waitcnt lgkmcnt(1)
	v_fma_f32 v1, -v38, v1, v12
	v_fma_f32 v1, -v26, v5, v1
	;; [unrolled: 1-line block ×4, first 2 shown]
	ds_read_b128 v[9:12], v25 offset:464
	v_fma_f32 v5, -v38, v2, v13
	ds_read2_b32 v[13:14], v25 offset0:145 offset1:146
	s_waitcnt lgkmcnt(1)
	v_mul_f32_e32 v29, v1, v9
	ds_read2_b32 v[1:2], v25 offset0:33 offset1:34
	s_waitcnt lgkmcnt(0)
	v_fma_f32 v1, -v26, v1, v5
	v_fma_f32 v1, -v27, v8, v1
	ds_read2_b32 v[8:9], v25 offset0:89 offset1:90
	s_waitcnt lgkmcnt(0)
	v_fma_f32 v1, -v28, v8, v1
	ds_read2_b64 v[5:8], v25 offset0:31 offset1:32
	v_fma_f32 v1, -v29, v10, v1
	v_mul_f32_e32 v30, v1, v13
	v_fma_f32 v1, -v38, v3, v16
	v_fma_f32 v1, -v26, v2, v1
	s_waitcnt lgkmcnt(0)
	v_fma_f32 v1, -v27, v5, v1
	v_fma_f32 v1, -v28, v9, v1
	;; [unrolled: 1-line block ×4, first 2 shown]
	ds_read2_b64 v[13:16], v25 offset0:87 offset1:88
	ds_read2_b32 v[9:10], v25 offset0:91 offset1:92
	ds_write2_b32 v33, v29, v30 offset0:112 offset1:140
	s_waitcnt lgkmcnt(2)
	v_mul_f32_e32 v31, v1, v13
	v_fma_f32 v1, -v38, v4, v17
	ds_read2_b32 v[4:5], v25 offset0:35 offset1:36
	s_waitcnt lgkmcnt(0)
	v_fma_f32 v1, -v26, v4, v1
	v_fma_f32 v1, -v27, v6, v1
	;; [unrolled: 1-line block ×4, first 2 shown]
	ds_read2_b32 v[12:13], v25 offset0:147 offset1:148
	s_waitcnt lgkmcnt(0)
	v_fma_f32 v1, -v30, v12, v1
	v_fma_f32 v1, -v31, v14, v1
	v_mul_f32_e32 v32, v1, v34
	ds_read_b128 v[1:4], v25 offset:32
	ds_write2_b32 v33, v31, v32 offset0:168 offset1:196
	s_waitcnt lgkmcnt(1)
	v_fma_f32 v1, -v38, v1, v18
	v_fma_f32 v1, -v26, v5, v1
	;; [unrolled: 1-line block ×4, first 2 shown]
	ds_read_b128 v[9:12], v25 offset:480
	v_fma_f32 v5, -v38, v2, v19
	s_waitcnt lgkmcnt(0)
	v_fma_f32 v1, -v29, v9, v1
	v_fma_f32 v1, -v30, v13, v1
	;; [unrolled: 1-line block ×4, first 2 shown]
	ds_read_b128 v[34:37], v25 offset:928
	ds_read2_b32 v[13:14], v25 offset0:149 offset1:150
	s_waitcnt lgkmcnt(1)
	v_mul_f32_e32 v34, v1, v34
	ds_read2_b32 v[1:2], v25 offset0:37 offset1:38
	s_waitcnt lgkmcnt(0)
	v_fma_f32 v1, -v26, v1, v5
	v_fma_f32 v1, -v27, v8, v1
	ds_read2_b32 v[8:9], v25 offset0:93 offset1:94
	v_mov_b32_e32 v5, 0x414
	ds_read2_b32 v[18:19], v5 offset1:1
	s_waitcnt lgkmcnt(1)
	v_fma_f32 v1, -v28, v8, v1
	v_fma_f32 v1, -v29, v10, v1
	;; [unrolled: 1-line block ×4, first 2 shown]
	ds_read2_b32 v[16:17], v25 offset0:205 offset1:206
	ds_read2_b64 v[5:8], v25 offset0:33 offset1:34
	s_waitcnt lgkmcnt(1)
	v_fma_f32 v1, -v32, v16, v1
	v_fma_f32 v1, -v34, v35, v1
	v_mul_f32_e32 v35, v1, v18
	v_fma_f32 v1, -v38, v3, v42
	v_fma_f32 v1, -v26, v2, v1
	s_waitcnt lgkmcnt(0)
	v_fma_f32 v1, -v27, v5, v1
	v_fma_f32 v1, -v28, v9, v1
	;; [unrolled: 1-line block ×4, first 2 shown]
	ds_read2_b64 v[13:16], v25 offset0:89 offset1:90
	ds_read2_b64 v[39:42], v25 offset0:145 offset1:146
	ds_read2_b32 v[9:10], v25 offset0:95 offset1:96
	v_mov_b32_e32 v2, 0x41c
	ds_write2_b32 v33, v34, v35 offset0:224 offset1:252
	s_waitcnt lgkmcnt(3)
	v_fma_f32 v1, -v31, v13, v1
	v_fma_f32 v1, -v32, v17, v1
	;; [unrolled: 1-line block ×4, first 2 shown]
	s_waitcnt lgkmcnt(2)
	v_mul_f32_e32 v36, v1, v39
	v_fma_f32 v1, -v38, v4, v43
	ds_read2_b32 v[4:5], v25 offset0:39 offset1:40
	ds_read2_b32 v[17:18], v25 offset0:207 offset1:208
	ds_read2_b32 v[46:47], v2 offset1:1
	v_mov_b32_e32 v2, 0x4fc
	s_waitcnt lgkmcnt(2)
	v_fma_f32 v1, -v26, v4, v1
	v_fma_f32 v1, -v27, v6, v1
	;; [unrolled: 1-line block ×4, first 2 shown]
	ds_read2_b32 v[12:13], v25 offset0:151 offset1:152
	s_waitcnt lgkmcnt(0)
	v_fma_f32 v1, -v30, v12, v1
	v_fma_f32 v1, -v31, v14, v1
	;; [unrolled: 1-line block ×6, first 2 shown]
	ds_read2_b32 v[39:40], v2 offset1:1
	ds_read_b128 v[43:46], v25 offset:944
	s_waitcnt lgkmcnt(1)
	v_mul_f32_e32 v37, v1, v39
	ds_read_b128 v[1:4], v25 offset:48
	ds_write2_b32 v68, v36, v37 offset0:24 offset1:52
	s_waitcnt lgkmcnt(1)
	v_fma_f32 v1, -v38, v1, v50
	v_fma_f32 v1, -v26, v5, v1
	v_fma_f32 v1, -v27, v7, v1
	v_fma_f32 v1, -v28, v10, v1
	ds_read_b128 v[9:12], v25 offset:496
	v_fma_f32 v5, -v38, v2, v51
	s_waitcnt lgkmcnt(0)
	v_fma_f32 v1, -v29, v9, v1
	v_fma_f32 v1, -v30, v13, v1
	;; [unrolled: 1-line block ×6, first 2 shown]
	ds_read_b128 v[47:50], v25 offset:1392
	v_fma_f32 v1, -v36, v41, v1
	v_fma_f32 v1, -v37, v40, v1
	ds_read2_b32 v[13:14], v25 offset0:153 offset1:154
	s_waitcnt lgkmcnt(1)
	v_mul_f32_e32 v39, v1, v47
	ds_read2_b32 v[1:2], v25 offset0:41 offset1:42
	s_waitcnt lgkmcnt(0)
	v_fma_f32 v1, -v26, v1, v5
	v_fma_f32 v1, -v27, v8, v1
	ds_read2_b32 v[8:9], v25 offset0:97 offset1:98
	v_mov_b32_e32 v5, 0x424
	ds_read2_b32 v[18:19], v5 offset1:1
	v_mov_b32_e32 v5, 0x504
	ds_read2_b32 v[51:52], v5 offset1:1
	s_waitcnt lgkmcnt(2)
	v_fma_f32 v1, -v28, v8, v1
	v_fma_f32 v1, -v29, v10, v1
	;; [unrolled: 1-line block ×4, first 2 shown]
	ds_read2_b32 v[16:17], v25 offset0:209 offset1:210
	v_mov_b32_e32 v5, 0x5e4
	s_waitcnt lgkmcnt(0)
	v_fma_f32 v1, -v32, v16, v1
	v_fma_f32 v1, -v34, v44, v1
	;; [unrolled: 1-line block ×6, first 2 shown]
	ds_read2_b32 v[47:48], v5 offset1:1
	ds_read2_b64 v[41:44], v25 offset0:147 offset1:148
	ds_read2_b64 v[5:8], v25 offset0:35 offset1:36
	s_waitcnt lgkmcnt(2)
	v_mul_f32_e32 v40, v1, v47
	v_fma_f32 v1, -v38, v3, v54
	v_fma_f32 v1, -v26, v2, v1
	s_waitcnt lgkmcnt(0)
	v_fma_f32 v1, -v27, v5, v1
	v_fma_f32 v1, -v28, v9, v1
	;; [unrolled: 1-line block ×4, first 2 shown]
	ds_read2_b64 v[13:16], v25 offset0:91 offset1:92
	ds_read2_b32 v[9:10], v25 offset0:99 offset1:100
	v_mov_b32_e32 v2, 0x42c
	ds_write2_b32 v68, v39, v40 offset0:80 offset1:108
	s_waitcnt lgkmcnt(2)
	v_fma_f32 v1, -v31, v13, v1
	v_fma_f32 v1, -v32, v17, v1
	v_fma_f32 v1, -v34, v45, v1
	v_fma_f32 v1, -v35, v19, v1
	v_fma_f32 v1, -v36, v41, v1
	v_fma_f32 v1, -v37, v52, v1
	ds_read2_b64 v[51:54], v25 offset0:203 offset1:204
	v_fma_f32 v1, -v39, v49, v1
	v_fma_f32 v1, -v40, v48, v1
	ds_read2_b32 v[48:49], v2 offset1:1
	v_mov_b32_e32 v2, 0x50c
	s_waitcnt lgkmcnt(1)
	v_mul_f32_e32 v41, v1, v51
	v_fma_f32 v1, -v38, v4, v55
	ds_read2_b32 v[4:5], v25 offset0:43 offset1:44
	ds_read2_b32 v[55:56], v2 offset1:1
	ds_read2_b32 v[17:18], v25 offset0:211 offset1:212
	v_mov_b32_e32 v2, 0x5ec
	ds_read2_b32 v[60:61], v2 offset1:1
	s_waitcnt lgkmcnt(3)
	v_fma_f32 v1, -v26, v4, v1
	v_fma_f32 v1, -v27, v6, v1
	;; [unrolled: 1-line block ×4, first 2 shown]
	ds_read2_b32 v[12:13], v25 offset0:155 offset1:156
	v_mov_b32_e32 v2, 0x6cc
	ds_read2_b32 v[62:63], v2 offset1:1
	s_waitcnt lgkmcnt(1)
	v_fma_f32 v1, -v30, v12, v1
	v_fma_f32 v1, -v31, v14, v1
	;; [unrolled: 1-line block ×10, first 2 shown]
	s_waitcnt lgkmcnt(0)
	v_mul_f32_e32 v42, v1, v62
	ds_read_b128 v[1:4], v25 offset:64
	ds_read_b128 v[45:48], v25 offset:960
	ds_write2_b32 v68, v41, v42 offset0:136 offset1:164
	s_waitcnt lgkmcnt(2)
	v_fma_f32 v1, -v38, v1, v58
	v_fma_f32 v1, -v26, v5, v1
	;; [unrolled: 1-line block ×4, first 2 shown]
	ds_read_b128 v[9:12], v25 offset:512
	v_fma_f32 v5, -v38, v2, v59
	s_waitcnt lgkmcnt(0)
	v_fma_f32 v1, -v29, v9, v1
	v_fma_f32 v1, -v30, v13, v1
	;; [unrolled: 1-line block ×6, first 2 shown]
	ds_read_b128 v[49:52], v25 offset:1408
	v_fma_f32 v1, -v36, v43, v1
	v_fma_f32 v1, -v37, v56, v1
	ds_read_b128 v[55:58], v25 offset:1856
	ds_read2_b32 v[13:14], v25 offset0:157 offset1:158
	s_waitcnt lgkmcnt(2)
	v_fma_f32 v1, -v39, v49, v1
	v_fma_f32 v1, -v40, v61, v1
	;; [unrolled: 1-line block ×4, first 2 shown]
	s_waitcnt lgkmcnt(1)
	v_mul_f32_e32 v43, v1, v55
	ds_read2_b32 v[1:2], v25 offset0:45 offset1:46
	s_waitcnt lgkmcnt(0)
	v_fma_f32 v1, -v26, v1, v5
	v_fma_f32 v1, -v27, v8, v1
	ds_read2_b32 v[8:9], v25 offset0:101 offset1:102
	v_mov_b32_e32 v5, 0x434
	ds_read2_b32 v[18:19], v5 offset1:1
	v_mov_b32_e32 v5, 0x514
	s_waitcnt lgkmcnt(1)
	v_fma_f32 v1, -v28, v8, v1
	v_fma_f32 v1, -v29, v10, v1
	;; [unrolled: 1-line block ×4, first 2 shown]
	ds_read2_b32 v[16:17], v25 offset0:213 offset1:214
	s_waitcnt lgkmcnt(0)
	v_fma_f32 v1, -v32, v16, v1
	v_fma_f32 v1, -v34, v46, v1
	;; [unrolled: 1-line block ×4, first 2 shown]
	ds_read2_b32 v[44:45], v5 offset1:1
	v_mov_b32_e32 v5, 0x5f4
	s_waitcnt lgkmcnt(0)
	v_fma_f32 v1, -v37, v44, v1
	v_fma_f32 v1, -v39, v50, v1
	ds_read2_b32 v[49:50], v5 offset1:1
	v_mov_b32_e32 v5, 0x6d4
	ds_read2_b32 v[62:63], v5 offset1:1
	v_mov_b32_e32 v5, 0x7b4
	ds_read2_b32 v[64:65], v5 offset1:1
	s_waitcnt lgkmcnt(2)
	v_fma_f32 v1, -v40, v49, v1
	v_fma_f32 v1, -v41, v54, v1
	s_waitcnt lgkmcnt(1)
	v_fma_f32 v1, -v42, v62, v1
	v_fma_f32 v1, -v43, v56, v1
	ds_read2_b64 v[53:56], v25 offset0:149 offset1:150
	ds_read2_b64 v[5:8], v25 offset0:37 offset1:38
	;; [unrolled: 1-line block ×3, first 2 shown]
	s_waitcnt lgkmcnt(3)
	v_mul_f32_e32 v44, v1, v64
	v_fma_f32 v1, -v38, v3, v66
	v_fma_f32 v1, -v26, v2, v1
	s_waitcnt lgkmcnt(1)
	v_fma_f32 v1, -v27, v5, v1
	v_fma_f32 v1, -v28, v9, v1
	v_fma_f32 v1, -v29, v11, v1
	v_fma_f32 v1, -v30, v14, v1
	ds_read2_b64 v[13:16], v25 offset0:93 offset1:94
	v_mov_b32_e32 v2, 0x828
	ds_read2_b32 v[9:10], v25 offset0:215 offset1:216
	v_fma_f32 v3, -v38, v4, v67
	ds_write2_b32 v68, v43, v44 offset0:192 offset1:220
	s_waitcnt lgkmcnt(2)
	v_fma_f32 v1, -v31, v13, v1
	v_fma_f32 v1, -v32, v17, v1
	v_fma_f32 v1, -v34, v47, v1
	v_fma_f32 v1, -v35, v19, v1
	v_fma_f32 v1, -v36, v53, v1
	v_fma_f32 v1, -v37, v45, v1
	v_fma_f32 v1, -v39, v51, v1
	v_fma_f32 v1, -v40, v50, v1
	v_fma_f32 v1, -v41, v59, v1
	v_fma_f32 v1, -v42, v63, v1
	v_fma_f32 v1, -v43, v57, v1
	v_fma_f32 v1, -v44, v65, v1
	ds_read2_b64 v[63:66], v2 offset1:1
	s_waitcnt lgkmcnt(0)
	v_mul_f32_e32 v45, v1, v63
	ds_read2_b32 v[1:2], v25 offset0:47 offset1:48
	s_waitcnt lgkmcnt(0)
	v_fma_f32 v1, -v26, v1, v3
	ds_read2_b32 v[3:4], v25 offset0:103 offset1:104
	v_fma_f32 v1, -v27, v6, v1
	ds_read2_b32 v[5:6], v25 offset0:159 offset1:160
	s_waitcnt lgkmcnt(1)
	v_fma_f32 v1, -v28, v3, v1
	v_fma_f32 v1, -v29, v12, v1
	s_waitcnt lgkmcnt(0)
	v_fma_f32 v1, -v30, v5, v1
	v_fma_f32 v1, -v31, v14, v1
	v_mov_b32_e32 v3, 0x43c
	v_fma_f32 v1, -v32, v9, v1
	ds_read2_b32 v[11:12], v3 offset1:1
	v_fma_f32 v1, -v34, v48, v1
	ds_read_b128 v[47:50], v25 offset:80
	v_mov_b32_e32 v3, 0x51c
	ds_read2_b32 v[13:14], v3 offset1:1
	s_waitcnt lgkmcnt(2)
	v_fma_f32 v1, -v35, v11, v1
	v_fma_f32 v1, -v36, v54, v1
	v_mov_b32_e32 v3, 0x5fc
	ds_read2_b32 v[17:18], v3 offset1:1
	s_waitcnt lgkmcnt(1)
	v_fma_f32 v1, -v37, v13, v1
	v_fma_f32 v1, -v39, v52, v1
	ds_read_b128 v[51:54], v25 offset:528
	v_mov_b32_e32 v3, 0x6dc
	ds_read2_b32 v[70:71], v3 offset1:1
	v_mov_b32_e32 v3, 0x7bc
	ds_read2_b32 v[74:75], v3 offset1:1
	s_waitcnt lgkmcnt(3)
	v_fma_f32 v1, -v40, v17, v1
	v_fma_f32 v1, -v41, v60, v1
	s_waitcnt lgkmcnt(1)
	v_fma_f32 v1, -v42, v70, v1
	v_fma_f32 v1, -v43, v58, v1
	ds_read_b128 v[57:60], v25 offset:976
	s_waitcnt lgkmcnt(1)
	v_fma_f32 v1, -v44, v74, v1
	v_mov_b32_e32 v3, 0x89c
	v_fma_f32 v1, -v45, v64, v1
	ds_read2_b32 v[63:64], v3 offset1:1
	v_fma_f32 v3, -v38, v48, v79
	s_waitcnt lgkmcnt(0)
	v_mul_f32_e32 v46, v1, v63
	v_fma_f32 v1, -v38, v47, v78
	v_fma_f32 v1, -v26, v2, v1
	;; [unrolled: 1-line block ×7, first 2 shown]
	ds_write2_b32 v69, v45, v46 offset0:120 offset1:148
	v_fma_f32 v1, -v32, v10, v1
	ds_read_b128 v[67:70], v25 offset:1424
	v_fma_f32 v1, -v34, v57, v1
	v_fma_f32 v1, -v35, v12, v1
	;; [unrolled: 1-line block ×4, first 2 shown]
	s_waitcnt lgkmcnt(0)
	v_fma_f32 v1, -v39, v67, v1
	v_fma_f32 v1, -v40, v18, v1
	;; [unrolled: 1-line block ×4, first 2 shown]
	ds_read_b128 v[71:74], v25 offset:1872
	ds_read2_b32 v[5:6], v25 offset0:161 offset1:162
	s_waitcnt lgkmcnt(1)
	v_fma_f32 v1, -v43, v71, v1
	v_fma_f32 v1, -v44, v75, v1
	ds_read_b128 v[75:78], v25 offset:2320
	v_fma_f32 v1, -v45, v65, v1
	v_fma_f32 v1, -v46, v64, v1
	s_waitcnt lgkmcnt(0)
	v_mul_f32_e32 v47, v1, v75
	ds_read2_b32 v[1:2], v25 offset0:49 offset1:50
	s_waitcnt lgkmcnt(0)
	v_fma_f32 v1, -v26, v1, v3
	ds_read2_b32 v[3:4], v25 offset0:105 offset1:106
	v_fma_f32 v1, -v27, v8, v1
	ds_read2_b32 v[7:8], v25 offset0:217 offset1:218
	s_waitcnt lgkmcnt(1)
	v_fma_f32 v1, -v28, v3, v1
	v_mov_b32_e32 v3, 0x444
	v_fma_f32 v1, -v29, v52, v1
	ds_read2_b32 v[9:10], v3 offset1:1
	v_fma_f32 v1, -v30, v5, v1
	v_fma_f32 v1, -v31, v16, v1
	ds_read2_b64 v[16:19], v25 offset0:39 offset1:40
	v_mov_b32_e32 v3, 0x524
	ds_read2_b32 v[51:52], v3 offset1:1
	s_waitcnt lgkmcnt(3)
	v_fma_f32 v1, -v32, v7, v1
	v_fma_f32 v1, -v34, v58, v1
	s_waitcnt lgkmcnt(2)
	v_fma_f32 v1, -v35, v9, v1
	v_mov_b32_e32 v3, 0x604
	v_fma_f32 v1, -v36, v56, v1
	ds_read2_b32 v[55:56], v3 offset1:1
	s_waitcnt lgkmcnt(1)
	v_fma_f32 v1, -v37, v51, v1
	v_mov_b32_e32 v3, 0x6e4
	v_fma_f32 v1, -v39, v68, v1
	ds_read2_b32 v[57:58], v3 offset1:1
	;; [unrolled: 5-line block ×5, first 2 shown]
	s_waitcnt lgkmcnt(1)
	v_fma_f32 v1, -v46, v63, v1
	v_fma_f32 v1, -v47, v76, v1
	s_waitcnt lgkmcnt(0)
	v_mul_f32_e32 v48, v1, v65
	v_fma_f32 v1, -v38, v49, v80
	v_fma_f32 v1, -v26, v2, v1
	;; [unrolled: 1-line block ×3, first 2 shown]
	ds_read2_b64 v[13:16], v25 offset0:95 offset1:96
	v_fma_f32 v1, -v28, v4, v1
	v_fma_f32 v1, -v29, v53, v1
	;; [unrolled: 1-line block ×3, first 2 shown]
	v_mov_b32_e32 v2, 0x838
	s_waitcnt lgkmcnt(0)
	v_fma_f32 v1, -v31, v13, v1
	v_fma_f32 v1, -v32, v8, v1
	;; [unrolled: 1-line block ×4, first 2 shown]
	ds_read2_b64 v[10:13], v25 offset0:151 offset1:152
	ds_write2_b32 v24, v47, v48 offset0:48 offset1:76
	s_waitcnt lgkmcnt(1)
	v_fma_f32 v1, -v36, v10, v1
	ds_read2_b64 v[7:10], v25 offset0:207 offset1:208
	v_fma_f32 v1, -v37, v52, v1
	v_fma_f32 v1, -v39, v69, v1
	;; [unrolled: 1-line block ×3, first 2 shown]
	ds_read2_b32 v[55:56], v25 offset0:51 offset1:52
	s_waitcnt lgkmcnt(1)
	v_fma_f32 v1, -v41, v7, v1
	ds_read2_b64 v[4:7], v2 offset1:1
	v_fma_f32 v1, -v42, v58, v1
	v_fma_f32 v1, -v43, v73, v1
	;; [unrolled: 1-line block ×3, first 2 shown]
	ds_read2_b32 v[57:58], v25 offset0:107 offset1:108
	s_waitcnt lgkmcnt(1)
	v_fma_f32 v1, -v45, v4, v1
	v_fma_f32 v1, -v46, v64, v1
	;; [unrolled: 1-line block ×4, first 2 shown]
	v_mov_b32_e32 v1, 0x9f8
	ds_read2_b64 v[1:4], v1 offset1:1
	ds_read2_b32 v[61:62], v25 offset0:163 offset1:164
	ds_read2_b32 v[63:64], v25 offset0:219 offset1:220
	s_waitcnt lgkmcnt(2)
	v_mul_f32_e32 v49, v49, v1
	v_fma_f32 v1, -v38, v50, v81
	v_fma_f32 v1, -v26, v55, v1
	;; [unrolled: 1-line block ×5, first 2 shown]
	s_waitcnt lgkmcnt(1)
	v_fma_f32 v1, -v30, v61, v1
	v_fma_f32 v1, -v31, v14, v1
	v_mov_b32_e32 v14, 0x44c
	ds_read2_b32 v[65:66], v14 offset1:1
	s_waitcnt lgkmcnt(1)
	v_fma_f32 v1, -v32, v63, v1
	v_fma_f32 v1, -v34, v60, v1
	ds_read_b128 v[50:53], v25 offset:96
	s_waitcnt lgkmcnt(1)
	v_fma_f32 v1, -v35, v65, v1
	v_fma_f32 v1, -v36, v11, v1
	v_mov_b32_e32 v11, 0x52c
	ds_read2_b32 v[67:68], v11 offset1:1
	v_mov_b32_e32 v11, 0x60c
	s_waitcnt lgkmcnt(0)
	v_fma_f32 v1, -v37, v67, v1
	v_fma_f32 v1, -v39, v70, v1
	ds_read2_b32 v[69:70], v11 offset1:1
	s_waitcnt lgkmcnt(0)
	v_fma_f32 v1, -v40, v69, v1
	v_fma_f32 v1, -v41, v8, v1
	v_mov_b32_e32 v8, 0x6ec
	ds_read2_b32 v[71:72], v8 offset1:1
	v_mov_b32_e32 v8, 0x7cc
	s_waitcnt lgkmcnt(0)
	v_fma_f32 v1, -v42, v71, v1
	v_fma_f32 v1, -v43, v74, v1
	ds_read2_b32 v[73:74], v8 offset1:1
	;; [unrolled: 10-line block ×3, first 2 shown]
	s_waitcnt lgkmcnt(0)
	v_fma_f32 v1, -v48, v77, v1
	v_fma_f32 v1, -v49, v2, v1
	v_mov_b32_e32 v2, 0xa6c
	ds_read2_b32 v[79:80], v2 offset1:1
	s_waitcnt lgkmcnt(0)
	v_mul_f32_e32 v2, v1, v79
	v_fma_f32 v1, -v38, v50, v22
	v_fma_f32 v1, -v26, v56, v1
	ds_read_b128 v[54:57], v25 offset:544
	v_fma_f32 v1, -v27, v18, v1
	v_fma_f32 v1, -v28, v58, v1
	ds_read_b128 v[58:61], v25 offset:992
	ds_write2_b32 v24, v49, v2 offset0:104 offset1:132
	s_waitcnt lgkmcnt(2)
	v_fma_f32 v1, -v29, v54, v1
	v_fma_f32 v1, -v30, v62, v1
	v_fma_f32 v1, -v31, v15, v1
	v_fma_f32 v1, -v32, v64, v1
	ds_read_b128 v[62:65], v25 offset:1440
	s_waitcnt lgkmcnt(2)
	v_fma_f32 v1, -v34, v58, v1
	v_fma_f32 v1, -v35, v66, v1
	v_fma_f32 v1, -v36, v12, v1
	v_fma_f32 v1, -v37, v68, v1
	ds_read_b128 v[66:69], v25 offset:1888
	;; [unrolled: 6-line block ×4, first 2 shown]
	s_waitcnt lgkmcnt(1)
	v_fma_f32 v1, -v47, v70, v1
	ds_read2_b32 v[5:6], v25 offset0:53 offset1:54
	ds_read2_b32 v[8:9], v25 offset0:109 offset1:110
	;; [unrolled: 1-line block ×3, first 2 shown]
	v_fma_f32 v1, -v48, v78, v1
	v_fma_f32 v1, -v49, v3, v1
	;; [unrolled: 1-line block ×3, first 2 shown]
	s_waitcnt lgkmcnt(3)
	v_mul_f32_e32 v58, v1, v74
	v_fma_f32 v1, -v38, v51, v23
	s_waitcnt lgkmcnt(2)
	v_fma_f32 v1, -v26, v5, v1
	v_fma_f32 v1, -v27, v19, v1
	s_waitcnt lgkmcnt(1)
	v_fma_f32 v1, -v28, v8, v1
	v_fma_f32 v1, -v29, v55, v1
	ds_read2_b32 v[14:15], v25 offset0:221 offset1:222
	s_waitcnt lgkmcnt(1)
	v_fma_f32 v1, -v30, v11, v1
	v_mov_b32_e32 v3, 0x454
	v_fma_f32 v1, -v31, v16, v1
	ds_read2_b32 v[16:17], v3 offset1:1
	s_waitcnt lgkmcnt(1)
	v_fma_f32 v1, -v32, v14, v1
	v_fma_f32 v1, -v34, v59, v1
	v_mov_b32_e32 v3, 0x534
	s_waitcnt lgkmcnt(0)
	v_fma_f32 v1, -v35, v16, v1
	v_fma_f32 v1, -v36, v13, v1
	ds_read2_b32 v[13:14], v3 offset1:1
	v_mov_b32_e32 v3, 0x614
	ds_read2_b32 v[18:19], v3 offset1:1
	v_mov_b32_e32 v3, 0x6f4
	s_waitcnt lgkmcnt(1)
	v_fma_f32 v1, -v37, v13, v1
	v_fma_f32 v1, -v39, v63, v1
	s_waitcnt lgkmcnt(0)
	v_fma_f32 v1, -v40, v18, v1
	v_fma_f32 v1, -v41, v10, v1
	ds_read2_b32 v[10:11], v3 offset1:1
	v_mov_b32_e32 v3, 0x7d4
	ds_read2_b32 v[22:23], v3 offset1:1
	v_mov_b32_e32 v3, 0x8b4
	s_waitcnt lgkmcnt(1)
	v_fma_f32 v1, -v42, v10, v1
	v_fma_f32 v1, -v43, v67, v1
	;; [unrolled: 10-line block ×3, first 2 shown]
	s_waitcnt lgkmcnt(0)
	v_fma_f32 v1, -v48, v50, v1
	v_fma_f32 v1, -v49, v4, v1
	ds_read2_b32 v[3:4], v3 offset1:1
	s_waitcnt lgkmcnt(0)
	v_fma_f32 v1, -v2, v3, v1
	v_mov_b32_e32 v3, 0xb54
	ds_read2_b32 v[54:55], v3 offset1:1
	v_fma_f32 v1, -v58, v75, v1
	s_waitcnt lgkmcnt(0)
	v_mul_f32_e32 v16, v1, v54
	v_fma_f32 v1, -v38, v52, v20
	v_fma_f32 v1, -v26, v6, v1
	ds_read_b64 v[5:6], v25 offset:328
	ds_write2_b32 v24, v58, v16 offset0:160 offset1:188
	s_waitcnt lgkmcnt(1)
	v_fma_f32 v1, -v27, v5, v1
	v_fma_f32 v1, -v28, v9, v1
	ds_read_b64 v[9:10], v25 offset:776
	v_fma_f32 v1, -v29, v56, v1
	v_fma_f32 v1, -v30, v12, v1
	ds_read_b64 v[12:13], v25 offset:1224
	ds_read_b32 v5, v25 offset:220
	s_waitcnt lgkmcnt(2)
	v_fma_f32 v1, -v31, v9, v1
	v_fma_f32 v1, -v32, v15, v1
	;; [unrolled: 1-line block ×4, first 2 shown]
	s_waitcnt lgkmcnt(1)
	v_fma_f32 v1, -v36, v12, v1
	v_fma_f32 v1, -v37, v14, v1
	ds_read_b64 v[14:15], v25 offset:1672
	v_fma_f32 v1, -v39, v64, v1
	v_fma_f32 v1, -v40, v19, v1
	s_waitcnt lgkmcnt(0)
	v_fma_f32 v1, -v41, v14, v1
	v_fma_f32 v1, -v42, v11, v1
	ds_read_b64 v[11:12], v25 offset:2120
	v_fma_f32 v1, -v43, v68, v1
	v_fma_f32 v1, -v44, v23, v1
	;; [unrolled: 6-line block ×4, first 2 shown]
	v_add_u32_e64 v7, s10, 0
	s_waitcnt lgkmcnt(0)
	v_mul_f32_e32 v1, v1, v3
	v_fma_f32 v3, -v38, v53, v21
	v_fma_f32 v3, -v26, v5, v3
	;; [unrolled: 1-line block ×3, first 2 shown]
	ds_read2_b32 v[5:6], v25 offset0:111 offset1:167
	s_waitcnt lgkmcnt(0)
	v_fma_f32 v3, -v28, v5, v3
	v_fma_f32 v3, -v29, v57, v3
	v_add_u32_e64 v5, s11, 0
	v_fma_f32 v3, -v30, v6, v3
	ds_read2_b32 v[5:6], v5 offset0:95 offset1:151
	v_fma_f32 v3, -v31, v10, v3
	s_waitcnt lgkmcnt(0)
	v_fma_f32 v3, -v32, v5, v3
	v_fma_f32 v3, -v34, v61, v3
	;; [unrolled: 1-line block ×3, first 2 shown]
	ds_read2_b32 v[5:6], v7 offset0:79 offset1:135
	v_fma_f32 v3, -v36, v13, v3
	s_waitcnt lgkmcnt(0)
	v_fma_f32 v3, -v37, v5, v3
	v_fma_f32 v3, -v39, v65, v3
	;; [unrolled: 1-line block ×3, first 2 shown]
	ds_read2_b32 v[5:6], v7 offset0:191 offset1:247
	v_fma_f32 v3, -v41, v15, v3
	v_add_u32_e64 v7, s8, 0
	s_mov_b32 s8, 28
	s_waitcnt lgkmcnt(0)
	v_fma_f32 v3, -v42, v5, v3
	v_fma_f32 v3, -v43, v69, v3
	;; [unrolled: 1-line block ×3, first 2 shown]
	ds_read2_b32 v[5:6], v7 offset0:47 offset1:103
	v_fma_f32 v3, -v45, v12, v3
	s_waitcnt lgkmcnt(0)
	v_fma_f32 v3, -v46, v5, v3
	v_fma_f32 v3, -v47, v73, v3
	v_fma_f32 v3, -v48, v6, v3
	ds_read2_b32 v[5:6], v7 offset0:159 offset1:215
	v_fma_f32 v3, -v49, v8, v3
	s_waitcnt lgkmcnt(0)
	v_fma_f32 v2, -v2, v5, v3
	ds_read_b32 v3, v25 offset:3132
	v_fma_f32 v2, -v58, v77, v2
	v_fma_f32 v2, -v16, v6, v2
	;; [unrolled: 1-line block ×3, first 2 shown]
	s_waitcnt lgkmcnt(0)
	v_mul_f32_e32 v2, v2, v3
	ds_write2_b32 v24, v1, v2 offset0:216 offset1:244
	s_cmp_lt_i32 s8, s16
	s_cbranch_scc1 .LBB33_90
	s_branch .LBB33_100
.LBB33_89:
	s_mov_b32 s8, 0
	s_cmp_lt_i32 s8, s16
	s_cbranch_scc0 .LBB33_100
.LBB33_90:
	s_add_i32 s10, s8, 23
	s_cmp_ge_u32 s10, s16
	s_cbranch_scc1 .LBB33_95
; %bb.91:
	s_mul_i32 s11, s8, 0x70
	v_add_u32_e32 v50, s11, v33
	ds_read2_b32 v[23:24], v50 offset1:28
	ds_read2_b32 v[21:22], v50 offset0:56 offset1:84
	ds_read2_b32 v[15:16], v50 offset0:112 offset1:140
	;; [unrolled: 1-line block ×4, first 2 shown]
	v_add_u32_e32 v1, 0x400, v50
	ds_read2_b32 v[9:10], v1 offset0:24 offset1:52
	ds_read2_b32 v[7:8], v1 offset0:80 offset1:108
	;; [unrolled: 1-line block ×4, first 2 shown]
	v_add_u32_e32 v1, 0x600, v50
	v_add_u32_e32 v17, 0x800, v50
	ds_read2_b32 v[1:2], v1 offset0:120 offset1:148
	ds_read2_b32 v[19:20], v17 offset0:48 offset1:76
	;; [unrolled: 1-line block ×3, first 2 shown]
	s_andn2_b64 vcc, exec, s[4:5]
	s_lshl_b32 s4, s8, 2
	s_cbranch_vccnz .LBB33_94
; %bb.92:
	v_mov_b32_e32 v25, 0xc40
	v_lshl_add_u32 v25, v0, 2, v25
	s_mov_b32 s5, s4
	s_mov_b32 s12, s8
.LBB33_93:                              ; =>This Inner Loop Header: Depth=1
	v_mov_b32_e32 v31, s5
	ds_read_b32 v30, v25
	ds_read_b128 v[26:29], v31
	ds_read_b128 v[34:37], v31 offset:16
	ds_read_b128 v[38:41], v31 offset:32
	;; [unrolled: 1-line block ×5, first 2 shown]
	s_add_i32 s12, s12, -1
	s_addk_i32 s5, 0x70
	v_add_u32_e32 v25, 0x70, v25
	s_cmp_lg_u32 s12, 0
	s_waitcnt lgkmcnt(5)
	v_fma_f32 v23, -v30, v26, v23
	v_fma_f32 v24, -v30, v27, v24
	v_fma_f32 v21, -v30, v28, v21
	v_fma_f32 v22, -v30, v29, v22
	s_waitcnt lgkmcnt(4)
	v_fma_f32 v15, -v30, v34, v15
	v_fma_f32 v16, -v30, v35, v16
	v_fma_f32 v13, -v30, v36, v13
	v_fma_f32 v14, -v30, v37, v14
	;; [unrolled: 5-line block ×6, first 2 shown]
	s_cbranch_scc1 .LBB33_93
.LBB33_94:
	s_add_i32 s5, s4, s11
	v_mov_b32_e32 v84, s5
	ds_read_b128 v[25:28], v84
	ds_read_b128 v[41:44], v84 offset:16
	s_add_i32 s12, s11, 0x70
	s_add_i32 s13, s11, 0xe0
	;; [unrolled: 1-line block ×3, first 2 shown]
	s_waitcnt lgkmcnt(1)
	v_mul_f32_e32 v51, v23, v25
	v_fma_f32 v25, -v51, v26, v24
	ds_read2_b32 v[23:24], v84 offset0:29 offset1:30
	ds_read2_b64 v[56:59], v84 offset0:145 offset1:146
	v_fma_f32 v21, -v51, v27, v21
	s_waitcnt lgkmcnt(2)
	v_fma_f32 v15, -v51, v41, v15
	v_fma_f32 v13, -v51, v43, v13
	s_waitcnt lgkmcnt(1)
	v_mul_f32_e32 v31, v25, v23
	v_add_u32_e32 v23, s12, v33
	ds_write_b32 v23, v31
	v_fma_f32 v21, -v31, v24, v21
	ds_read2_b64 v[23:26], v84 offset0:29 offset1:30
	s_add_i32 s12, s4, s12
	v_mov_b32_e32 v40, s12
	ds_read2_b64 v[46:49], v84 offset0:87 offset1:88
	s_add_i32 s12, s4, s13
	s_waitcnt lgkmcnt(1)
	v_mul_f32_e32 v35, v21, v23
	v_add_u32_e32 v21, s13, v33
	ds_write_b32 v21, v35
	v_fma_f32 v23, -v51, v28, v22
	ds_read2_b32 v[21:22], v40 offset0:3 offset1:4
	s_add_i32 s13, s11, 0x150
	v_mov_b32_e32 v85, s12
	ds_write_b32 v50, v51
	ds_read_b128 v[52:55], v84 offset:928
	s_waitcnt lgkmcnt(2)
	v_fma_f32 v21, -v31, v21, v23
	v_fma_f32 v21, -v35, v24, v21
	ds_read2_b32 v[23:24], v84 offset0:87 offset1:88
	v_fma_f32 v15, -v31, v22, v15
	v_fma_f32 v15, -v35, v25, v15
	s_waitcnt lgkmcnt(0)
	v_mul_f32_e32 v38, v21, v23
	v_add_u32_e32 v21, s13, v33
	ds_write_b32 v21, v38
	v_fma_f32 v15, -v38, v24, v15
	ds_read_b128 v[21:24], v84 offset:464
	s_add_i32 s13, s4, s13
	v_mov_b32_e32 v45, s13
	ds_read2_b32 v[28:29], v45 offset0:5 offset1:6
	s_add_i32 s13, s4, s14
	s_waitcnt lgkmcnt(1)
	v_mul_f32_e32 v41, v15, v21
	v_add_u32_e32 v15, s14, v33
	ds_write_b32 v15, v41
	v_fma_f32 v21, -v51, v42, v16
	ds_read2_b32 v[15:16], v40 offset0:5 offset1:6
	s_add_i32 s14, s11, 0x230
	s_add_i32 s12, s4, s14
	v_mov_b32_e32 v86, s13
	s_waitcnt lgkmcnt(0)
	v_fma_f32 v15, -v31, v15, v21
	v_fma_f32 v15, -v35, v26, v15
	;; [unrolled: 1-line block ×4, first 2 shown]
	ds_read2_b32 v[21:22], v84 offset0:145 offset1:146
	ds_read2_b64 v[25:28], v85 offset0:3 offset1:4
	v_fma_f32 v13, -v31, v16, v13
	s_waitcnt lgkmcnt(1)
	v_mul_f32_e32 v36, v15, v21
	s_waitcnt lgkmcnt(0)
	v_fma_f32 v13, -v35, v25, v13
	v_fma_f32 v13, -v38, v29, v13
	;; [unrolled: 1-line block ×4, first 2 shown]
	ds_read2_b32 v[21:22], v40 offset0:7 offset1:8
	v_add_u32_e32 v15, s14, v33
	s_add_i32 s14, s11, 0x2a0
	v_mul_f32_e32 v42, v13, v46
	v_add_u32_e32 v13, s14, v33
	ds_write_b32 v15, v36
	ds_write_b32 v13, v42
	v_fma_f32 v13, -v51, v44, v14
	v_mov_b32_e32 v46, s12
	ds_read2_b32 v[29:30], v46 offset0:7 offset1:8
	s_waitcnt lgkmcnt(3)
	v_fma_f32 v13, -v31, v21, v13
	v_fma_f32 v13, -v35, v26, v13
	ds_read2_b32 v[25:26], v45 offset0:7 offset1:8
	ds_read2_b32 v[43:44], v84 offset0:203 offset1:204
	s_add_i32 s12, s4, s14
	s_add_i32 s14, s11, 0x310
	;; [unrolled: 1-line block ×3, first 2 shown]
	s_waitcnt lgkmcnt(1)
	v_fma_f32 v13, -v38, v25, v13
	v_fma_f32 v13, -v41, v24, v13
	;; [unrolled: 1-line block ×4, first 2 shown]
	s_waitcnt lgkmcnt(0)
	v_mul_f32_e32 v21, v13, v43
	v_add_u32_e32 v13, s14, v33
	ds_write_b32 v13, v21
	ds_read_b128 v[13:16], v84 offset:32
	s_add_i32 s14, s11, 0x380
	v_mov_b32_e32 v87, s12
	s_waitcnt lgkmcnt(0)
	v_fma_f32 v11, -v51, v13, v11
	v_fma_f32 v11, -v31, v22, v11
	;; [unrolled: 1-line block ×4, first 2 shown]
	ds_read_b128 v[23:26], v86 offset:32
	v_fma_f32 v13, -v51, v14, v12
	v_fma_f32 v9, -v51, v15, v9
	s_waitcnt lgkmcnt(0)
	v_fma_f32 v11, -v41, v23, v11
	v_fma_f32 v11, -v36, v30, v11
	;; [unrolled: 1-line block ×4, first 2 shown]
	v_mul_f32_e32 v22, v11, v52
	v_add_u32_e32 v11, s14, v33
	ds_write_b32 v11, v22
	ds_read2_b32 v[11:12], v40 offset0:9 offset1:10
	ds_read2_b32 v[29:30], v46 offset0:9 offset1:10
	s_waitcnt lgkmcnt(1)
	v_fma_f32 v11, -v31, v11, v13
	v_fma_f32 v11, -v35, v28, v11
	ds_read2_b32 v[27:28], v45 offset0:9 offset1:10
	v_fma_f32 v9, -v31, v12, v9
	s_waitcnt lgkmcnt(0)
	v_fma_f32 v11, -v38, v27, v11
	v_fma_f32 v11, -v41, v24, v11
	v_mov_b32_e32 v24, s13
	ds_read2_b32 v[43:44], v24 offset0:9 offset1:10
	s_add_i32 s13, s4, s14
	s_add_i32 s14, s5, 0x414
	v_mov_b32_e32 v13, s14
	ds_read2_b32 v[47:48], v13 offset1:1
	v_fma_f32 v11, -v36, v29, v11
	v_fma_f32 v11, -v42, v49, v11
	s_waitcnt lgkmcnt(1)
	v_fma_f32 v11, -v21, v43, v11
	v_fma_f32 v11, -v22, v53, v11
	s_add_i32 s14, s11, 0x3f0
	s_waitcnt lgkmcnt(0)
	v_mul_f32_e32 v23, v11, v47
	v_add_u32_e32 v11, s14, v33
	ds_write_b32 v11, v23
	ds_read2_b64 v[11:14], v85 offset0:5 offset1:6
	s_add_i32 s12, s4, s14
	s_add_i32 s14, s11, 0x460
	v_mov_b32_e32 v88, s13
	s_waitcnt lgkmcnt(0)
	v_fma_f32 v9, -v35, v11, v9
	v_fma_f32 v9, -v38, v28, v9
	;; [unrolled: 1-line block ×4, first 2 shown]
	ds_read2_b64 v[27:30], v87 offset0:5 offset1:6
	s_waitcnt lgkmcnt(0)
	v_fma_f32 v9, -v42, v27, v9
	v_fma_f32 v9, -v21, v44, v9
	;; [unrolled: 1-line block ×4, first 2 shown]
	v_mul_f32_e32 v25, v9, v56
	v_add_u32_e32 v9, s14, v33
	ds_write_b32 v9, v25
	v_fma_f32 v9, -v51, v16, v10
	ds_read2_b32 v[15:16], v40 offset0:11 offset1:12
	ds_read2_b32 v[43:44], v45 offset0:11 offset1:12
	;; [unrolled: 1-line block ×3, first 2 shown]
	s_waitcnt lgkmcnt(2)
	v_fma_f32 v9, -v31, v15, v9
	v_fma_f32 v9, -v35, v12, v9
	s_waitcnt lgkmcnt(1)
	v_fma_f32 v9, -v38, v43, v9
	v_fma_f32 v9, -v41, v26, v9
	;; [unrolled: 3-line block ×3, first 2 shown]
	ds_read2_b32 v[27:28], v24 offset0:11 offset1:12
	v_mov_b32_e32 v26, s12
	s_add_i32 s12, s4, s14
	v_mov_b32_e32 v89, s12
	ds_read2_b64 v[72:75], v89 offset0:9 offset1:10
	s_waitcnt lgkmcnt(1)
	v_fma_f32 v9, -v21, v27, v9
	v_fma_f32 v9, -v22, v55, v9
	ds_read2_b32 v[55:56], v26 offset0:11 offset1:12
	s_add_i32 s14, s5, 0x4fc
	v_mov_b32_e32 v10, s14
	ds_read2_b32 v[63:64], v10 offset1:1
	s_add_i32 s14, s11, 0x4d0
	s_waitcnt lgkmcnt(1)
	v_fma_f32 v9, -v23, v55, v9
	v_fma_f32 v9, -v25, v57, v9
	ds_read_b128 v[52:55], v86 offset:48
	s_waitcnt lgkmcnt(1)
	v_mul_f32_e32 v27, v9, v63
	v_add_u32_e32 v9, s14, v33
	ds_write_b32 v9, v27
	ds_read_b128 v[9:12], v84 offset:48
	ds_read_b128 v[60:63], v88 offset:48
	s_add_i32 s13, s4, s14
	s_add_i32 s14, s11, 0x540
	s_addk_i32 s5, 0x5e4
	s_waitcnt lgkmcnt(1)
	v_fma_f32 v7, -v51, v9, v7
	v_fma_f32 v7, -v31, v16, v7
	;; [unrolled: 1-line block ×8, first 2 shown]
	s_waitcnt lgkmcnt(0)
	v_fma_f32 v7, -v22, v60, v7
	v_fma_f32 v7, -v23, v56, v7
	;; [unrolled: 1-line block ×4, first 2 shown]
	ds_read_b128 v[64:67], v84 offset:1392
	v_fma_f32 v9, -v51, v10, v8
	ds_read2_b32 v[15:16], v46 offset0:13 offset1:14
	ds_read2_b32 v[43:44], v24 offset0:13 offset1:14
	;; [unrolled: 1-line block ×3, first 2 shown]
	s_waitcnt lgkmcnt(3)
	v_mul_f32_e32 v28, v7, v64
	v_add_u32_e32 v7, s14, v33
	ds_write_b32 v7, v28
	ds_read2_b32 v[7:8], v40 offset0:13 offset1:14
	v_fma_f32 v5, -v51, v11, v5
	s_waitcnt lgkmcnt(0)
	v_fma_f32 v7, -v31, v7, v9
	v_fma_f32 v7, -v35, v14, v7
	ds_read2_b32 v[13:14], v45 offset0:13 offset1:14
	v_mov_b32_e32 v9, s5
	s_add_i32 s5, s11, 0x5b0
	v_fma_f32 v5, -v31, v8, v5
	s_add_i32 s12, s4, s5
	s_waitcnt lgkmcnt(0)
	v_fma_f32 v7, -v38, v13, v7
	v_fma_f32 v7, -v41, v53, v7
	;; [unrolled: 1-line block ×4, first 2 shown]
	v_mov_b32_e32 v30, s13
	ds_read2_b32 v[52:53], v30 offset0:13 offset1:14
	v_fma_f32 v7, -v21, v43, v7
	v_fma_f32 v7, -v22, v61, v7
	;; [unrolled: 1-line block ×4, first 2 shown]
	ds_read2_b32 v[59:60], v9 offset1:1
	s_waitcnt lgkmcnt(1)
	v_fma_f32 v7, -v27, v52, v7
	v_fma_f32 v7, -v28, v65, v7
	s_add_i32 s13, s4, s14
	s_add_i32 s14, s11, 0x620
	s_waitcnt lgkmcnt(0)
	v_mul_f32_e32 v29, v7, v59
	v_add_u32_e32 v7, s5, v33
	ds_write_b32 v7, v29
	ds_read2_b64 v[7:10], v85 offset0:7 offset1:8
	ds_read2_b64 v[56:59], v89 offset0:7 offset1:8
	s_mul_i32 s5, s8, 0x74
	v_mov_b32_e32 v90, s5
	ds_read2_b64 v[68:71], v90 offset0:203 offset1:204
	s_waitcnt lgkmcnt(2)
	v_fma_f32 v5, -v35, v7, v5
	v_fma_f32 v5, -v38, v14, v5
	;; [unrolled: 1-line block ×4, first 2 shown]
	ds_read2_b64 v[13:16], v87 offset0:7 offset1:8
	v_mov_b32_e32 v39, s12
	s_add_i32 s12, s4, s14
	v_mov_b32_e32 v92, s12
	ds_read2_b64 v[76:79], v92 offset0:9 offset1:10
	s_waitcnt lgkmcnt(1)
	v_fma_f32 v5, -v42, v13, v5
	v_fma_f32 v5, -v21, v44, v5
	;; [unrolled: 1-line block ×8, first 2 shown]
	v_mul_f32_e32 v32, v5, v68
	v_add_u32_e32 v5, s14, v33
	ds_write_b32 v5, v32
	v_fma_f32 v5, -v51, v12, v6
	ds_read2_b32 v[11:12], v40 offset0:15 offset1:16
	ds_read2_b32 v[43:44], v45 offset0:15 offset1:16
	ds_read2_b32 v[47:48], v46 offset0:15 offset1:16
	ds_read2_b32 v[52:53], v24 offset0:15 offset1:16
	ds_read2_b32 v[60:61], v30 offset0:15 offset1:16
	s_waitcnt lgkmcnt(4)
	v_fma_f32 v5, -v31, v11, v5
	v_fma_f32 v5, -v35, v8, v5
	s_waitcnt lgkmcnt(3)
	v_fma_f32 v5, -v38, v43, v5
	v_fma_f32 v5, -v41, v55, v5
	ds_read2_b32 v[55:56], v26 offset0:15 offset1:16
	s_waitcnt lgkmcnt(3)
	v_fma_f32 v5, -v36, v47, v5
	s_add_i32 s14, s5, 0x6cc
	v_fma_f32 v5, -v42, v14, v5
	v_mov_b32_e32 v6, s14
	ds_read2_b32 v[65:66], v6 offset1:1
	s_waitcnt lgkmcnt(3)
	v_fma_f32 v5, -v21, v52, v5
	v_fma_f32 v5, -v22, v63, v5
	ds_read2_b32 v[63:64], v39 offset0:15 offset1:16
	s_waitcnt lgkmcnt(2)
	v_fma_f32 v5, -v23, v55, v5
	v_fma_f32 v5, -v25, v57, v5
	;; [unrolled: 1-line block ×4, first 2 shown]
	s_waitcnt lgkmcnt(0)
	v_fma_f32 v5, -v29, v63, v5
	v_fma_f32 v5, -v32, v69, v5
	s_add_i32 s14, s11, 0x690
	v_mul_f32_e32 v37, v5, v65
	v_add_u32_e32 v5, s14, v33
	ds_write_b32 v5, v37
	ds_read_b128 v[5:8], v84 offset:64
	v_mov_b32_e32 v91, s13
	s_add_i32 s13, s4, s14
	s_add_i32 s14, s11, 0x700
	;; [unrolled: 1-line block ×3, first 2 shown]
	s_waitcnt lgkmcnt(0)
	v_fma_f32 v3, -v51, v5, v3
	v_fma_f32 v3, -v31, v12, v3
	ds_read_b128 v[11:14], v86 offset:64
	v_fma_f32 v3, -v35, v9, v3
	v_fma_f32 v3, -v38, v44, v3
	;; [unrolled: 1-line block ×4, first 2 shown]
	s_waitcnt lgkmcnt(0)
	v_fma_f32 v3, -v41, v11, v3
	v_fma_f32 v3, -v36, v48, v3
	;; [unrolled: 1-line block ×4, first 2 shown]
	ds_read_b128 v[52:55], v88 offset:64
	ds_read2_b32 v[47:48], v30 offset0:17 offset1:18
	s_waitcnt lgkmcnt(1)
	v_fma_f32 v3, -v22, v52, v3
	v_fma_f32 v3, -v23, v56, v3
	;; [unrolled: 1-line block ×4, first 2 shown]
	ds_read_b128 v[60:63], v91 offset:64
	s_waitcnt lgkmcnt(0)
	v_fma_f32 v3, -v28, v60, v3
	v_fma_f32 v3, -v29, v64, v3
	;; [unrolled: 1-line block ×4, first 2 shown]
	ds_read_b128 v[64:67], v90 offset:1856
	s_waitcnt lgkmcnt(0)
	v_mul_f32_e32 v43, v3, v64
	v_add_u32_e32 v3, s14, v33
	ds_write_b32 v3, v43
	ds_read2_b32 v[3:4], v40 offset0:17 offset1:18
	s_waitcnt lgkmcnt(0)
	v_fma_f32 v3, -v31, v3, v5
	ds_read2_b32 v[5:6], v45 offset0:17 offset1:18
	v_fma_f32 v3, -v35, v10, v3
	ds_read2_b32 v[9:10], v46 offset0:17 offset1:18
	v_fma_f32 v1, -v31, v4, v1
	s_waitcnt lgkmcnt(1)
	v_fma_f32 v3, -v38, v5, v3
	v_fma_f32 v3, -v41, v12, v3
	ds_read2_b32 v[11:12], v24 offset0:17 offset1:18
	s_waitcnt lgkmcnt(1)
	v_fma_f32 v3, -v36, v9, v3
	v_fma_f32 v3, -v42, v16, v3
	ds_read2_b32 v[15:16], v26 offset0:17 offset1:18
	;; [unrolled: 4-line block ×3, first 2 shown]
	s_waitcnt lgkmcnt(1)
	v_fma_f32 v3, -v23, v15, v3
	v_fma_f32 v3, -v25, v59, v3
	;; [unrolled: 1-line block ×3, first 2 shown]
	v_mov_b32_e32 v47, s13
	ds_read2_b32 v[59:60], v47 offset0:17 offset1:18
	v_fma_f32 v3, -v28, v61, v3
	s_waitcnt lgkmcnt(1)
	v_fma_f32 v3, -v29, v52, v3
	v_fma_f32 v3, -v32, v71, v3
	s_add_i32 s13, s4, s14
	s_add_i32 s14, s5, 0x7b4
	s_waitcnt lgkmcnt(0)
	v_fma_f32 v3, -v37, v59, v3
	v_mov_b32_e32 v5, s14
	v_fma_f32 v3, -v43, v65, v3
	ds_read2_b32 v[64:65], v5 offset1:1
	ds_read2_b64 v[56:59], v85 offset0:9 offset1:10
	ds_read2_b64 v[68:71], v87 offset0:9 offset1:10
	s_add_i32 s14, s11, 0x770
	s_add_i32 s12, s4, s14
	s_waitcnt lgkmcnt(2)
	v_mul_f32_e32 v34, v3, v64
	s_waitcnt lgkmcnt(1)
	v_fma_f32 v1, -v35, v56, v1
	v_fma_f32 v1, -v38, v6, v1
	v_fma_f32 v1, -v41, v13, v1
	v_fma_f32 v1, -v36, v10, v1
	s_waitcnt lgkmcnt(0)
	v_fma_f32 v1, -v42, v68, v1
	v_fma_f32 v1, -v21, v12, v1
	;; [unrolled: 1-line block ×5, first 2 shown]
	v_add_u32_e32 v3, s14, v33
	v_fma_f32 v1, -v27, v48, v1
	s_add_i32 s14, s5, 0x828
	ds_write_b32 v3, v34
	v_fma_f32 v1, -v28, v62, v1
	v_mov_b32_e32 v3, s14
	v_fma_f32 v1, -v29, v53, v1
	ds_read2_b64 v[80:83], v3 offset1:1
	v_fma_f32 v1, -v32, v76, v1
	v_fma_f32 v1, -v37, v60, v1
	;; [unrolled: 1-line block ×4, first 2 shown]
	s_add_i32 s14, s11, 0x7e0
	ds_read2_b32 v[60:61], v30 offset0:19 offset1:20
	s_waitcnt lgkmcnt(1)
	v_mul_f32_e32 v44, v1, v80
	v_add_u32_e32 v1, s14, v33
	ds_write_b32 v1, v44
	v_fma_f32 v3, -v51, v8, v2
	ds_read2_b32 v[1:2], v40 offset0:19 offset1:20
	ds_read2_b32 v[5:6], v46 offset0:19 offset1:20
	;; [unrolled: 1-line block ×3, first 2 shown]
	v_mov_b32_e32 v48, s12
	s_add_i32 s12, s4, s14
	s_waitcnt lgkmcnt(2)
	v_fma_f32 v1, -v31, v1, v3
	ds_read2_b32 v[3:4], v45 offset0:19 offset1:20
	v_fma_f32 v1, -v35, v57, v1
	s_add_i32 s14, s5, 0x89c
	ds_read2_b32 v[64:65], v47 offset0:19 offset1:20
	s_addk_i32 s5, 0x984
	s_waitcnt lgkmcnt(1)
	v_fma_f32 v1, -v38, v3, v1
	v_fma_f32 v1, -v41, v14, v1
	;; [unrolled: 1-line block ×4, first 2 shown]
	v_mov_b32_e32 v3, s14
	ds_read2_b32 v[68:69], v3 offset1:1
	v_fma_f32 v1, -v21, v7, v1
	v_fma_f32 v1, -v22, v55, v1
	ds_read2_b32 v[55:56], v26 offset0:19 offset1:20
	ds_read_b128 v[13:16], v86 offset:80
	s_add_i32 s14, s11, 0x850
	s_addk_i32 s11, 0x930
	s_waitcnt lgkmcnt(1)
	v_fma_f32 v1, -v23, v55, v1
	v_fma_f32 v1, -v25, v73, v1
	;; [unrolled: 1-line block ×4, first 2 shown]
	ds_read2_b32 v[62:63], v39 offset0:19 offset1:20
	ds_read_b128 v[52:55], v84 offset:80
	s_waitcnt lgkmcnt(1)
	v_fma_f32 v1, -v29, v62, v1
	v_fma_f32 v1, -v32, v77, v1
	;; [unrolled: 1-line block ×4, first 2 shown]
	ds_read2_b32 v[66:67], v48 offset0:19 offset1:20
	s_waitcnt lgkmcnt(0)
	v_fma_f32 v1, -v34, v66, v1
	v_fma_f32 v1, -v44, v81, v1
	v_mul_f32_e32 v49, v1, v68
	v_add_u32_e32 v1, s14, v33
	ds_write_b32 v1, v49
	v_fma_f32 v1, -v51, v52, v19
	v_fma_f32 v1, -v31, v2, v1
	;; [unrolled: 1-line block ×5, first 2 shown]
	ds_read_b128 v[10:13], v88 offset:80
	v_fma_f32 v1, -v36, v6, v1
	v_fma_f32 v1, -v42, v70, v1
	;; [unrolled: 1-line block ×3, first 2 shown]
	v_mov_b32_e32 v2, s13
	s_waitcnt lgkmcnt(0)
	v_fma_f32 v1, -v22, v10, v1
	ds_read_b128 v[7:10], v91 offset:80
	v_fma_f32 v1, -v23, v56, v1
	v_fma_f32 v1, -v25, v74, v1
	;; [unrolled: 1-line block ×3, first 2 shown]
	ds_read2_b32 v[60:61], v24 offset0:21 offset1:22
	s_waitcnt lgkmcnt(1)
	v_fma_f32 v1, -v28, v7, v1
	ds_read_b128 v[4:7], v2 offset:80
	v_fma_f32 v1, -v29, v63, v1
	v_fma_f32 v1, -v32, v78, v1
	;; [unrolled: 1-line block ×3, first 2 shown]
	ds_read2_b32 v[56:57], v45 offset0:21 offset1:22
	s_waitcnt lgkmcnt(1)
	v_fma_f32 v1, -v43, v4, v1
	v_fma_f32 v1, -v34, v67, v1
	;; [unrolled: 1-line block ×4, first 2 shown]
	ds_read_b128 v[1:4], v90 offset:2320
	ds_read2_b32 v[68:69], v47 offset0:21 offset1:22
	ds_read2_b32 v[62:63], v26 offset0:21 offset1:22
	;; [unrolled: 1-line block ×4, first 2 shown]
	s_waitcnt lgkmcnt(4)
	v_mul_f32_e32 v19, v19, v1
	v_fma_f32 v1, -v51, v53, v20
	ds_read2_b32 v[52:53], v40 offset0:21 offset1:22
	s_add_i32 s13, s4, s14
	v_mov_b32_e32 v20, s13
	ds_read2_b32 v[72:73], v20 offset0:21 offset1:22
	s_add_i32 s4, s4, s11
	s_waitcnt lgkmcnt(1)
	v_fma_f32 v1, -v31, v52, v1
	v_fma_f32 v1, -v35, v59, v1
	ds_read2_b32 v[58:59], v46 offset0:21 offset1:22
	v_fma_f32 v1, -v38, v56, v1
	v_fma_f32 v1, -v41, v14, v1
	s_waitcnt lgkmcnt(0)
	v_fma_f32 v1, -v36, v58, v1
	v_fma_f32 v1, -v42, v71, v1
	;; [unrolled: 1-line block ×8, first 2 shown]
	ds_read2_b32 v[70:71], v48 offset0:21 offset1:22
	v_fma_f32 v1, -v29, v66, v1
	v_fma_f32 v1, -v32, v79, v1
	;; [unrolled: 1-line block ×4, first 2 shown]
	s_waitcnt lgkmcnt(0)
	v_fma_f32 v1, -v34, v70, v1
	v_fma_f32 v1, -v44, v83, v1
	;; [unrolled: 1-line block ×4, first 2 shown]
	v_mov_b32_e32 v1, s5
	ds_read2_b32 v[1:2], v1 offset1:1
	s_waitcnt lgkmcnt(0)
	v_mul_f32_e32 v14, v5, v1
	v_add_u32_e32 v1, s11, v33
	ds_write_b32 v1, v14
	v_fma_f32 v1, -v51, v54, v17
	v_fma_f32 v1, -v31, v53, v1
	ds_read_b64 v[52:53], v85 offset:88
	v_mov_b32_e32 v5, s12
	s_waitcnt lgkmcnt(0)
	v_fma_f32 v1, -v35, v52, v1
	v_fma_f32 v1, -v38, v57, v1
	ds_read_b64 v[56:57], v87 offset:88
	v_fma_f32 v1, -v41, v15, v1
	v_fma_f32 v1, -v36, v59, v1
	s_waitcnt lgkmcnt(0)
	v_fma_f32 v1, -v42, v56, v1
	v_fma_f32 v1, -v21, v61, v1
	v_fma_f32 v1, -v22, v12, v1
	ds_read_b64 v[11:12], v89 offset:88
	v_fma_f32 v1, -v23, v63, v1
	s_waitcnt lgkmcnt(0)
	v_fma_f32 v1, -v25, v11, v1
	v_fma_f32 v1, -v27, v65, v1
	v_fma_f32 v1, -v28, v9, v1
	ds_read_b64 v[8:9], v92 offset:88
	;; [unrolled: 6-line block ×3, first 2 shown]
	v_fma_f32 v1, -v34, v71, v1
	s_waitcnt lgkmcnt(0)
	v_fma_f32 v1, -v44, v5, v1
	v_fma_f32 v1, -v49, v73, v1
	;; [unrolled: 1-line block ×4, first 2 shown]
	ds_read_b64 v[1:2], v90 offset:2552
	ds_read_b32 v5, v40 offset:92
	s_waitcnt lgkmcnt(1)
	v_mul_f32_e32 v1, v3, v1
	v_add_u32_e32 v3, 0x800, v50
	ds_write2_b32 v3, v19, v1 offset0:48 offset1:104
	v_fma_f32 v3, -v51, v55, v18
	s_waitcnt lgkmcnt(1)
	v_fma_f32 v3, -v31, v5, v3
	ds_read_b32 v5, v45 offset:92
	v_fma_f32 v3, -v35, v53, v3
	s_waitcnt lgkmcnt(0)
	v_fma_f32 v3, -v38, v5, v3
	ds_read_b32 v5, v46 offset:92
	;; [unrolled: 4-line block ×9, first 2 shown]
	v_fma_f32 v3, -v44, v6, v3
	s_waitcnt lgkmcnt(0)
	v_fma_f32 v3, -v49, v5, v3
	v_fma_f32 v3, -v19, v4, v3
	v_mov_b32_e32 v4, s4
	ds_read_b32 v4, v4 offset:92
	s_mul_i32 s4, s10, 0x74
	s_mulk_i32 s10, 0x70
	s_waitcnt lgkmcnt(0)
	v_fma_f32 v3, -v14, v4, v3
	v_fma_f32 v1, -v1, v2, v3
	v_mov_b32_e32 v2, s4
	ds_read_b32 v2, v2
	s_waitcnt lgkmcnt(0)
	v_mul_f32_e32 v1, v1, v2
	v_add_u32_e32 v2, s10, v33
	ds_write_b32 v2, v1
.LBB33_95:
	s_cmp_ge_i32 s8, s16
	s_cbranch_scc1 .LBB33_100
; %bb.96:
	v_mov_b32_e32 v1, 0xc40
	s_lshl_b32 s4, s8, 2
	v_lshl_add_u32 v1, v0, 2, v1
	s_branch .LBB33_98
.LBB33_97:                              ;   in Loop: Header=BB33_98 Depth=1
	s_lshl_b32 s10, s8, 2
	s_add_i32 s5, s10, s5
	v_mov_b32_e32 v4, s5
	ds_read_b32 v4, v4
	s_add_i32 s8, s8, 1
	s_add_i32 s4, s4, 4
	s_cmp_ge_i32 s8, s16
	s_waitcnt lgkmcnt(0)
	v_mul_f32_e32 v3, v3, v4
	ds_write_b32 v2, v3
	s_cbranch_scc1 .LBB33_100
.LBB33_98:                              ; =>This Loop Header: Depth=1
                                        ;     Child Loop BB33_99 Depth 2
	s_mul_i32 s5, s8, 0x70
	v_add_u32_e32 v2, s5, v33
	ds_read_b32 v3, v2
	s_cmp_eq_u32 s8, 0
	v_mov_b32_e32 v4, v1
	s_mov_b32 s10, s4
	s_mov_b32 s11, s8
	s_cbranch_scc1 .LBB33_97
.LBB33_99:                              ;   Parent Loop BB33_98 Depth=1
                                        ; =>  This Inner Loop Header: Depth=2
	v_mov_b32_e32 v6, s10
	ds_read_b32 v5, v4
	ds_read_b32 v6, v6
	s_add_i32 s11, s11, -1
	s_addk_i32 s10, 0x70
	v_add_u32_e32 v4, 0x70, v4
	s_cmp_lg_u32 s11, 0
	s_waitcnt lgkmcnt(0)
	v_fma_f32 v3, -v5, v6, v3
	s_cbranch_scc1 .LBB33_99
	s_branch .LBB33_97
.LBB33_100:
	s_waitcnt lgkmcnt(0)
	; wave barrier
	s_and_saveexec_b64 s[4:5], s[0:1]
	s_cbranch_execz .LBB33_104
; %bb.101:
	s_andn2_b64 vcc, exec, s[2:3]
	s_cbranch_vccnz .LBB33_104
; %bb.102:
	v_mad_i64_i32 v[1:2], s[0:1], s9, v0, 0
	v_mov_b32_e32 v3, s7
	v_lshlrev_b64 v[1:2], 2, v[1:2]
	v_add_co_u32_e32 v1, vcc, s6, v1
	v_addc_co_u32_e32 v2, vcc, v3, v2, vcc
	v_mov_b32_e32 v3, 0xc40
	v_lshl_add_u32 v0, v0, 2, v3
.LBB33_103:                             ; =>This Inner Loop Header: Depth=1
	ds_read_b32 v3, v0
	s_add_i32 s16, s16, -1
	v_add_u32_e32 v0, 0x70, v0
	s_cmp_lg_u32 s16, 0
	s_waitcnt lgkmcnt(0)
	global_store_dword v[1:2], v3, off
	v_add_co_u32_e32 v1, vcc, 4, v1
	v_addc_co_u32_e32 v2, vcc, 0, v2, vcc
	s_cbranch_scc1 .LBB33_103
.LBB33_104:
	s_endpgm
	.section	.rodata,"a",@progbits
	.p2align	6, 0x0
	.amdhsa_kernel _ZL38rocblas_trsm_small_left_device_sharedBILi28ELi28ELb1EffPKfPfEv13rocblas_fill_18rocblas_operation_17rocblas_diagonal_iiT3_T4_lilT5_lili
		.amdhsa_group_segment_fixed_size 6272
		.amdhsa_private_segment_fixed_size 0
		.amdhsa_kernarg_size 352
		.amdhsa_user_sgpr_count 6
		.amdhsa_user_sgpr_private_segment_buffer 1
		.amdhsa_user_sgpr_dispatch_ptr 0
		.amdhsa_user_sgpr_queue_ptr 0
		.amdhsa_user_sgpr_kernarg_segment_ptr 1
		.amdhsa_user_sgpr_dispatch_id 0
		.amdhsa_user_sgpr_flat_scratch_init 0
		.amdhsa_user_sgpr_private_segment_size 0
		.amdhsa_uses_dynamic_stack 0
		.amdhsa_system_sgpr_private_segment_wavefront_offset 0
		.amdhsa_system_sgpr_workgroup_id_x 1
		.amdhsa_system_sgpr_workgroup_id_y 0
		.amdhsa_system_sgpr_workgroup_id_z 1
		.amdhsa_system_sgpr_workgroup_info 0
		.amdhsa_system_vgpr_workitem_id 0
		.amdhsa_next_free_vgpr 93
		.amdhsa_next_free_sgpr 98
		.amdhsa_reserve_vcc 1
		.amdhsa_reserve_flat_scratch 0
		.amdhsa_float_round_mode_32 0
		.amdhsa_float_round_mode_16_64 0
		.amdhsa_float_denorm_mode_32 3
		.amdhsa_float_denorm_mode_16_64 3
		.amdhsa_dx10_clamp 1
		.amdhsa_ieee_mode 1
		.amdhsa_fp16_overflow 0
		.amdhsa_exception_fp_ieee_invalid_op 0
		.amdhsa_exception_fp_denorm_src 0
		.amdhsa_exception_fp_ieee_div_zero 0
		.amdhsa_exception_fp_ieee_overflow 0
		.amdhsa_exception_fp_ieee_underflow 0
		.amdhsa_exception_fp_ieee_inexact 0
		.amdhsa_exception_int_div_zero 0
	.end_amdhsa_kernel
	.section	.text._ZL38rocblas_trsm_small_left_device_sharedBILi28ELi28ELb1EffPKfPfEv13rocblas_fill_18rocblas_operation_17rocblas_diagonal_iiT3_T4_lilT5_lili,"axG",@progbits,_ZL38rocblas_trsm_small_left_device_sharedBILi28ELi28ELb1EffPKfPfEv13rocblas_fill_18rocblas_operation_17rocblas_diagonal_iiT3_T4_lilT5_lili,comdat
.Lfunc_end33:
	.size	_ZL38rocblas_trsm_small_left_device_sharedBILi28ELi28ELb1EffPKfPfEv13rocblas_fill_18rocblas_operation_17rocblas_diagonal_iiT3_T4_lilT5_lili, .Lfunc_end33-_ZL38rocblas_trsm_small_left_device_sharedBILi28ELi28ELb1EffPKfPfEv13rocblas_fill_18rocblas_operation_17rocblas_diagonal_iiT3_T4_lilT5_lili
                                        ; -- End function
	.set _ZL38rocblas_trsm_small_left_device_sharedBILi28ELi28ELb1EffPKfPfEv13rocblas_fill_18rocblas_operation_17rocblas_diagonal_iiT3_T4_lilT5_lili.num_vgpr, 93
	.set _ZL38rocblas_trsm_small_left_device_sharedBILi28ELi28ELb1EffPKfPfEv13rocblas_fill_18rocblas_operation_17rocblas_diagonal_iiT3_T4_lilT5_lili.num_agpr, 0
	.set _ZL38rocblas_trsm_small_left_device_sharedBILi28ELi28ELb1EffPKfPfEv13rocblas_fill_18rocblas_operation_17rocblas_diagonal_iiT3_T4_lilT5_lili.numbered_sgpr, 24
	.set _ZL38rocblas_trsm_small_left_device_sharedBILi28ELi28ELb1EffPKfPfEv13rocblas_fill_18rocblas_operation_17rocblas_diagonal_iiT3_T4_lilT5_lili.num_named_barrier, 0
	.set _ZL38rocblas_trsm_small_left_device_sharedBILi28ELi28ELb1EffPKfPfEv13rocblas_fill_18rocblas_operation_17rocblas_diagonal_iiT3_T4_lilT5_lili.private_seg_size, 0
	.set _ZL38rocblas_trsm_small_left_device_sharedBILi28ELi28ELb1EffPKfPfEv13rocblas_fill_18rocblas_operation_17rocblas_diagonal_iiT3_T4_lilT5_lili.uses_vcc, 1
	.set _ZL38rocblas_trsm_small_left_device_sharedBILi28ELi28ELb1EffPKfPfEv13rocblas_fill_18rocblas_operation_17rocblas_diagonal_iiT3_T4_lilT5_lili.uses_flat_scratch, 0
	.set _ZL38rocblas_trsm_small_left_device_sharedBILi28ELi28ELb1EffPKfPfEv13rocblas_fill_18rocblas_operation_17rocblas_diagonal_iiT3_T4_lilT5_lili.has_dyn_sized_stack, 0
	.set _ZL38rocblas_trsm_small_left_device_sharedBILi28ELi28ELb1EffPKfPfEv13rocblas_fill_18rocblas_operation_17rocblas_diagonal_iiT3_T4_lilT5_lili.has_recursion, 0
	.set _ZL38rocblas_trsm_small_left_device_sharedBILi28ELi28ELb1EffPKfPfEv13rocblas_fill_18rocblas_operation_17rocblas_diagonal_iiT3_T4_lilT5_lili.has_indirect_call, 0
	.section	.AMDGPU.csdata,"",@progbits
; Kernel info:
; codeLenInByte = 21908
; TotalNumSgprs: 28
; NumVgprs: 93
; ScratchSize: 0
; MemoryBound: 0
; FloatMode: 240
; IeeeMode: 1
; LDSByteSize: 6272 bytes/workgroup (compile time only)
; SGPRBlocks: 12
; VGPRBlocks: 23
; NumSGPRsForWavesPerEU: 102
; NumVGPRsForWavesPerEU: 93
; Occupancy: 2
; WaveLimiterHint : 0
; COMPUTE_PGM_RSRC2:SCRATCH_EN: 0
; COMPUTE_PGM_RSRC2:USER_SGPR: 6
; COMPUTE_PGM_RSRC2:TRAP_HANDLER: 0
; COMPUTE_PGM_RSRC2:TGID_X_EN: 1
; COMPUTE_PGM_RSRC2:TGID_Y_EN: 0
; COMPUTE_PGM_RSRC2:TGID_Z_EN: 1
; COMPUTE_PGM_RSRC2:TIDIG_COMP_CNT: 0
	.section	.text._ZL30rocblas_trsm_small_left_deviceILi28ELi28ELb1EffPKfPfEv13rocblas_fill_18rocblas_operation_17rocblas_diagonal_iiT3_T4_lilT5_lili,"axG",@progbits,_ZL30rocblas_trsm_small_left_deviceILi28ELi28ELb1EffPKfPfEv13rocblas_fill_18rocblas_operation_17rocblas_diagonal_iiT3_T4_lilT5_lili,comdat
	.globl	_ZL30rocblas_trsm_small_left_deviceILi28ELi28ELb1EffPKfPfEv13rocblas_fill_18rocblas_operation_17rocblas_diagonal_iiT3_T4_lilT5_lili ; -- Begin function _ZL30rocblas_trsm_small_left_deviceILi28ELi28ELb1EffPKfPfEv13rocblas_fill_18rocblas_operation_17rocblas_diagonal_iiT3_T4_lilT5_lili
	.p2align	8
	.type	_ZL30rocblas_trsm_small_left_deviceILi28ELi28ELb1EffPKfPfEv13rocblas_fill_18rocblas_operation_17rocblas_diagonal_iiT3_T4_lilT5_lili,@function
_ZL30rocblas_trsm_small_left_deviceILi28ELi28ELb1EffPKfPfEv13rocblas_fill_18rocblas_operation_17rocblas_diagonal_iiT3_T4_lilT5_lili: ; @_ZL30rocblas_trsm_small_left_deviceILi28ELi28ELb1EffPKfPfEv13rocblas_fill_18rocblas_operation_17rocblas_diagonal_iiT3_T4_lilT5_lili
; %bb.0:
	s_load_dwordx4 s[0:3], s[4:5], 0x4
	s_load_dword s16, s[4:5], 0x14
	s_load_dwordx4 s[8:11], s[4:5], 0x30
	s_load_dwordx2 s[12:13], s[4:5], 0x40
	s_waitcnt lgkmcnt(0)
	s_min_i32 s17, s2, 28
	v_cmp_gt_i32_e32 vcc, s17, v0
	s_and_saveexec_b64 s[14:15], vcc
	s_cbranch_execz .LBB34_6
; %bb.1:
	s_load_dword s18, s[4:5], 0x28
	s_load_dwordx4 s[20:23], s[4:5], 0x18
	s_mul_i32 s9, s9, s7
	s_mul_hi_u32 s19, s8, s7
	s_add_i32 s9, s19, s9
	s_mul_i32 s8, s8, s7
	s_waitcnt lgkmcnt(0)
	s_ashr_i32 s19, s18, 31
	s_lshl_b64 s[8:9], s[8:9], 2
	s_add_u32 s20, s20, s8
	s_addc_u32 s21, s21, s9
	s_lshl_b64 s[8:9], s[22:23], 2
	s_add_u32 s8, s20, s8
	s_addc_u32 s9, s21, s9
	v_lshlrev_b32_e32 v3, 2, v0
	v_mov_b32_e32 v2, s9
	v_add_co_u32_e32 v1, vcc, s8, v3
	s_lshl_b64 s[8:9], s[18:19], 2
	v_addc_co_u32_e32 v2, vcc, 0, v2, vcc
	v_mov_b32_e32 v4, s9
	v_mov_b32_e32 v5, v3
	s_mov_b32 s9, s17
.LBB34_2:                               ; =>This Inner Loop Header: Depth=1
	global_load_dword v6, v[1:2], off
	v_add_co_u32_e32 v1, vcc, s8, v1
	s_add_i32 s9, s9, -1
	v_addc_co_u32_e32 v2, vcc, v2, v4, vcc
	s_cmp_eq_u32 s9, 0
	s_waitcnt vmcnt(0)
	ds_write_b32 v5, v6
	v_add_u32_e32 v5, 0x70, v5
	s_cbranch_scc0 .LBB34_2
; %bb.3:
	v_mul_u32_u24_e32 v1, 0x70, v0
	s_cmpk_lg_i32 s1, 0x84
	v_mov_b32_e32 v2, 1.0
	v_add_u32_e32 v1, v3, v1
	s_cbranch_scc0 .LBB34_5
; %bb.4:
	ds_read_b32 v2, v1
	s_waitcnt lgkmcnt(0)
	v_div_scale_f32 v3, s[8:9], v2, v2, 1.0
	v_div_scale_f32 v4, vcc, 1.0, v2, 1.0
	v_rcp_f32_e32 v5, v3
	v_fma_f32 v6, -v3, v5, 1.0
	v_fmac_f32_e32 v5, v6, v5
	v_mul_f32_e32 v6, v4, v5
	v_fma_f32 v7, -v3, v6, v4
	v_fmac_f32_e32 v6, v7, v5
	v_fma_f32 v3, -v3, v6, v4
	v_div_fmas_f32 v3, v3, v5, v6
	v_div_fixup_f32 v2, v3, v2, 1.0
.LBB34_5:
	ds_write_b32 v1, v2
.LBB34_6:
	s_or_b64 exec, exec, s[14:15]
	s_load_dword s1, s[4:5], 0x60
	s_mul_i32 s8, s6, 0xffffffe4
	s_add_i32 s3, s3, s8
	s_waitcnt lgkmcnt(0)
	; wave barrier
	s_add_i32 s1, s1, -1
	s_cmp_ge_u32 s6, s1
	s_cselect_b32 s1, s3, 28
	v_cmp_gt_i32_e32 vcc, s1, v0
	s_and_saveexec_b64 s[8:9], vcc
	s_cbranch_execz .LBB34_56
; %bb.7:
	s_load_dwordx2 s[8:9], s[4:5], 0x50
	s_load_dword s1, s[4:5], 0x48
	s_waitcnt lgkmcnt(0)
	s_mul_i32 s3, s9, s7
	s_mul_hi_u32 s5, s8, s7
	s_mul_i32 s4, s8, s7
	v_mad_u64_u32 v[0:1], s[6:7], s6, 28, v[0:1]
	s_add_i32 s5, s5, s3
	s_lshl_b64 s[4:5], s[4:5], 2
	s_add_u32 s3, s10, s4
	s_addc_u32 s6, s11, s5
	v_mad_i64_i32 v[0:1], s[4:5], s1, v0, 0
	s_lshl_b64 s[4:5], s[12:13], 2
	s_add_u32 s1, s3, s4
	v_lshlrev_b64 v[0:1], 2, v[0:1]
	s_addc_u32 s3, s6, s5
	v_mov_b32_e32 v2, s3
	v_add_co_u32_e32 v46, vcc, s1, v0
	v_addc_co_u32_e32 v47, vcc, v2, v1, vcc
	s_cmpk_eq_i32 s0, 0x6f
	s_mov_b64 s[0:1], -1
	s_cbranch_scc1 .LBB34_42
; %bb.8:
	s_add_i32 s3, s17, -1
	s_cmp_gt_i32 s2, 27
	s_mov_b32 s1, 0
	s_cbranch_scc0 .LBB34_18
; %bb.9:
	global_load_dwordx4 v[3:6], v[46:47], off offset:96
	global_load_dwordx4 v[7:10], v[46:47], off offset:80
	;; [unrolled: 1-line block ×6, first 2 shown]
	s_movk_i32 s10, 0xc3c
	s_mov_b64 s[4:5], 0
	s_movk_i32 s11, 0xbcc
	s_waitcnt vmcnt(5)
	v_mul_f32_e32 v0, s16, v6
	global_load_dwordx4 v[27:30], v[46:47], off
	v_mul_f32_e32 v1, s16, v5
	v_mul_f32_e32 v2, s16, v4
	v_mul_f32_e32 v3, s16, v3
	s_waitcnt vmcnt(5)
	v_mul_f32_e32 v4, s16, v10
	v_mul_f32_e32 v5, s16, v9
	v_mul_f32_e32 v6, s16, v8
	v_mul_f32_e32 v7, s16, v7
	s_waitcnt vmcnt(4)
	v_mul_f32_e32 v8, s16, v14
	;; [unrolled: 5-line block ×6, first 2 shown]
	v_mul_f32_e32 v25, s16, v29
	v_mul_f32_e32 v26, s16, v28
	;; [unrolled: 1-line block ×3, first 2 shown]
.LBB34_10:                              ; =>This Loop Header: Depth=1
                                        ;     Child Loop BB34_12 Depth 2
                                        ;     Child Loop BB34_15 Depth 2
	s_cmp_eq_u32 s4, 0
	s_cbranch_scc1 .LBB34_13
; %bb.11:                               ;   in Loop: Header=BB34_10 Depth=1
	s_mov_b64 s[6:7], s[4:5]
	s_sub_i32 s0, 27, s4
	s_mov_b64 s[8:9], 0
	s_mov_b32 s7, s10
.LBB34_12:                              ;   Parent Loop BB34_10 Depth=1
                                        ; =>  This Inner Loop Header: Depth=2
	v_mov_b32_e32 v33, s7
	s_set_gpr_idx_on s8, gpr_idx(SRC0)
	v_mov_b32_e32 v32, v0
	s_set_gpr_idx_off
	ds_read_b32 v33, v33
	s_add_i32 s7, s7, -4
	s_add_u32 s8, s8, 1
	s_addc_u32 s9, s9, 0
	s_set_gpr_idx_on s4, gpr_idx(SRC0)
	v_mov_b32_e32 v34, v0
	s_set_gpr_idx_off
	s_cmp_eq_u32 s4, s8
	s_waitcnt lgkmcnt(0)
	v_fma_f32 v32, -v32, v33, v34
	s_set_gpr_idx_on s4, gpr_idx(DST)
	v_mov_b32_e32 v0, v32
	s_set_gpr_idx_off
	s_cbranch_scc0 .LBB34_12
	s_branch .LBB34_14
.LBB34_13:                              ;   in Loop: Header=BB34_10 Depth=1
	s_mov_b32 s0, 27
	s_mov_b64 s[6:7], 0
.LBB34_14:                              ;   in Loop: Header=BB34_10 Depth=1
	s_mul_i32 s7, s0, 0x74
	v_mov_b32_e32 v32, s7
	ds_read_b32 v32, v32
	s_lshl_b32 s0, s0, 2
	s_set_gpr_idx_on s6, gpr_idx(SRC0)
	v_mov_b32_e32 v33, v0
	s_set_gpr_idx_off
	s_add_u32 s8, s4, 1
	s_mov_b32 s9, s11
	s_waitcnt lgkmcnt(0)
	v_mul_f32_e32 v34, v33, v32
	v_add_co_u32_e32 v32, vcc, s0, v46
	v_addc_co_u32_e32 v33, vcc, 0, v47, vcc
	global_store_dword v[32:33], v34, off
	s_or_b32 s0, s4, 1
	s_set_gpr_idx_on s6, gpr_idx(DST)
	v_mov_b32_e32 v0, v34
	s_set_gpr_idx_off
	s_mov_b64 s[6:7], 0
.LBB34_15:                              ;   Parent Loop BB34_10 Depth=1
                                        ; =>  This Inner Loop Header: Depth=2
	v_mov_b32_e32 v33, s9
	s_set_gpr_idx_on s6, gpr_idx(SRC0)
	v_mov_b32_e32 v32, v0
	s_set_gpr_idx_off
	ds_read_b32 v33, v33
	s_add_i32 s9, s9, -4
	s_add_u32 s6, s6, 1
	s_set_gpr_idx_on s0, gpr_idx(SRC0)
	v_mov_b32_e32 v34, v0
	s_set_gpr_idx_off
	s_addc_u32 s7, s7, 0
	s_waitcnt lgkmcnt(0)
	v_fma_f32 v32, -v32, v33, v34
	s_cmp_lg_u32 s8, s6
	s_set_gpr_idx_on s0, gpr_idx(DST)
	v_mov_b32_e32 v0, v32
	s_set_gpr_idx_off
	s_cbranch_scc1 .LBB34_15
; %bb.16:                               ;   in Loop: Header=BB34_10 Depth=1
	s_sub_i32 s6, 27, s0
	s_mul_i32 s7, s6, 0x70
	s_lshl_b32 s6, s6, 2
	s_add_i32 s6, s7, s6
	v_mov_b32_e32 v33, s6
	ds_read_b32 v33, v33
	s_bfe_i64 s[6:7], s[0:1], 0x200000
	s_lshl_b64 s[6:7], s[6:7], 2
	s_add_u32 s4, s4, 2
	v_mov_b32_e32 v34, s7
	s_waitcnt lgkmcnt(0)
	v_mul_f32_e32 v35, v32, v33
	v_subrev_co_u32_e32 v32, vcc, s6, v46
	s_addc_u32 s5, s5, 0
	s_addk_i32 s10, 0xff20
	s_addk_i32 s11, 0xff20
	v_subb_co_u32_e32 v33, vcc, v47, v34, vcc
	s_cmp_eq_u32 s4, 28
	s_set_gpr_idx_on s0, gpr_idx(DST)
	v_mov_b32_e32 v0, v35
	s_set_gpr_idx_off
	global_store_dword v[32:33], v35, off offset:108
	s_cbranch_scc0 .LBB34_10
; %bb.17:
	s_mov_b32 s0, -1
	s_cmp_gt_i32 s0, -1
	s_cbranch_scc1 .LBB34_19
	s_branch .LBB34_41
.LBB34_18:
	s_mov_b32 s0, s3
	s_cmp_gt_i32 s0, -1
	s_cbranch_scc0 .LBB34_41
.LBB34_19:
	s_cmp_lt_u32 s0, 23
	s_cbranch_scc1 .LBB34_24
; %bb.20:
	s_mov_b32 s5, 0
	s_mov_b32 s1, s5
	s_lshl_b64 s[6:7], s[0:1], 2
	v_mov_b32_e32 v1, s7
	v_add_co_u32_e32 v0, vcc, s6, v46
	v_addc_co_u32_e32 v1, vcc, v47, v1, vcc
	global_load_dwordx4 v[5:8], v[0:1], off offset:-12
	global_load_dwordx4 v[11:14], v[0:1], off offset:-28
	;; [unrolled: 1-line block ×6, first 2 shown]
	s_cmp_le_i32 s3, s0
	s_waitcnt vmcnt(5)
	v_mul_f32_e32 v4, s16, v8
	v_mul_f32_e32 v25, s16, v7
	v_mul_f32_e32 v24, s16, v6
	v_mul_f32_e32 v6, s16, v5
	s_waitcnt vmcnt(4)
	v_mul_f32_e32 v7, s16, v14
	v_mul_f32_e32 v9, s16, v13
	v_mul_f32_e32 v10, s16, v12
	v_mul_f32_e32 v12, s16, v11
	;; [unrolled: 5-line block ×6, first 2 shown]
	s_cbranch_scc1 .LBB34_23
; %bb.21:
	s_mul_i32 s1, s0, 0x70
	s_lshl_b32 s4, s17, 2
	s_add_i32 s1, s1, s4
	s_addk_i32 s1, 0xf5ec
	s_mov_b32 s4, s3
.LBB34_22:                              ; =>This Inner Loop Header: Depth=1
	s_lshl_b64 s[6:7], s[4:5], 2
	v_mov_b32_e32 v27, s7
	v_add_co_u32_e32 v26, vcc, s6, v46
	v_addc_co_u32_e32 v27, vcc, v47, v27, vcc
	global_load_dword v52, v[26:27], off
	v_mov_b32_e32 v34, s1
	v_add_u32_e32 v38, 0x800, v34
	v_add_u32_e32 v40, 0x600, v34
	;; [unrolled: 1-line block ×3, first 2 shown]
	ds_read2_b32 v[26:27], v34 offset0:224 offset1:252
	ds_read2_b32 v[28:29], v34 offset0:168 offset1:196
	;; [unrolled: 1-line block ×4, first 2 shown]
	ds_read2_b32 v[34:35], v34 offset1:28
	ds_read2_b32 v[36:37], v38 offset0:104 offset1:132
	ds_read2_b32 v[38:39], v38 offset0:48 offset1:76
	;; [unrolled: 1-line block ×7, first 2 shown]
	s_add_i32 s4, s4, -1
	s_add_i32 s1, s1, -4
	s_cmp_gt_i32 s4, s0
	s_waitcnt vmcnt(0) lgkmcnt(6)
	v_fma_f32 v4, -v52, v37, v4
	v_fma_f32 v25, -v52, v36, v25
	s_waitcnt lgkmcnt(5)
	v_fma_f32 v24, -v52, v39, v24
	v_fma_f32 v6, -v52, v38, v6
	s_waitcnt lgkmcnt(4)
	;; [unrolled: 3-line block ×6, first 2 shown]
	v_fma_f32 v20, -v52, v51, v20
	v_fma_f32 v22, -v52, v50, v22
	;; [unrolled: 1-line block ×12, first 2 shown]
	s_cbranch_scc1 .LBB34_22
.LBB34_23:
	s_mul_i32 s1, s0, 0x74
	s_add_i32 s4, s0, -1
	v_mov_b32_e32 v26, s1
	s_mul_i32 s1, s4, 0x70
	s_lshl_b32 s5, s4, 2
	s_add_i32 s5, s1, s5
	ds_read_b32 v30, v26
	v_mov_b32_e32 v26, s5
	s_mov_b32 s5, 0
	s_add_i32 s7, s1, 0xffffff90
	s_lshl_b32 s6, s0, 2
	s_lshl_b64 s[8:9], s[4:5], 2
	s_add_i32 s4, s0, -2
	s_add_i32 s10, s7, s6
	v_mov_b32_e32 v28, s10
	s_lshl_b32 s10, s4, 2
	s_add_i32 s7, s7, s10
	v_mov_b32_e32 v29, s7
	ds_read2_b32 v[26:27], v26 offset1:1
	ds_read_b32 v31, v28
	ds_read2_b32 v[28:29], v29 offset1:1
	s_waitcnt lgkmcnt(3)
	v_mul_f32_e32 v4, v4, v30
	global_store_dword v[0:1], v4, off
	s_waitcnt lgkmcnt(2)
	v_fma_f32 v0, -v4, v27, v25
	v_mov_b32_e32 v1, s9
	v_add_co_u32_e32 v25, vcc, s8, v46
	v_mul_f32_e32 v0, v0, v26
	v_addc_co_u32_e32 v26, vcc, v47, v1, vcc
	s_waitcnt lgkmcnt(1)
	v_fma_f32 v1, -v4, v31, v24
	s_lshl_b64 s[8:9], s[4:5], 2
	s_add_i32 s7, s1, 0xffffff20
	global_store_dword v[25:26], v0, off
	s_waitcnt lgkmcnt(0)
	v_fma_f32 v1, -v0, v29, v1
	v_mov_b32_e32 v25, s9
	v_add_co_u32_e32 v24, vcc, s8, v46
	s_add_i32 s8, s7, s6
	v_mul_f32_e32 v1, v1, v28
	v_addc_co_u32_e32 v25, vcc, v47, v25, vcc
	s_add_i32 s4, s0, -3
	s_add_i32 s8, s8, -4
	global_store_dword v[24:25], v1, off
	v_mov_b32_e32 v24, s8
	s_lshl_b32 s8, s4, 2
	s_add_i32 s7, s7, s8
	ds_read2_b32 v[24:25], v24 offset1:1
	v_mov_b32_e32 v26, s7
	s_add_i32 s7, s1, 0xfffffeb0
	s_add_i32 s8, s7, s6
	v_mov_b32_e32 v28, s8
	s_add_i32 s8, s8, -8
	v_mov_b32_e32 v29, s8
	ds_read2_b32 v[26:27], v26 offset1:1
	ds_read_b32 v30, v28
	ds_read2_b32 v[28:29], v29 offset1:1
	s_waitcnt lgkmcnt(3)
	v_fma_f32 v6, -v4, v25, v6
	v_fma_f32 v6, -v0, v24, v6
	s_lshl_b64 s[8:9], s[4:5], 2
	s_add_i32 s4, s0, -4
	s_waitcnt lgkmcnt(2)
	v_fma_f32 v6, -v1, v27, v6
	v_mov_b32_e32 v25, s9
	v_add_co_u32_e32 v24, vcc, s8, v46
	s_lshl_b32 s8, s4, 2
	v_mul_f32_e32 v6, v6, v26
	v_addc_co_u32_e32 v25, vcc, v47, v25, vcc
	s_add_i32 s7, s7, s8
	global_store_dword v[24:25], v6, off
	v_mov_b32_e32 v24, s7
	s_add_i32 s7, s1, 0xfffffe40
	s_waitcnt lgkmcnt(1)
	v_fma_f32 v7, -v4, v30, v7
	s_add_i32 s10, s7, s6
	s_waitcnt lgkmcnt(0)
	v_fma_f32 v7, -v0, v29, v7
	s_lshl_b64 s[8:9], s[4:5], 2
	s_add_i32 s4, s0, -5
	s_add_i32 s11, s10, -4
	;; [unrolled: 1-line block ×3, first 2 shown]
	v_fma_f32 v7, -v1, v28, v7
	v_mov_b32_e32 v28, s10
	s_lshl_b32 s10, s4, 2
	s_add_i32 s7, s7, s10
	ds_read2_b32 v[24:25], v24 offset1:1
	v_mov_b32_e32 v26, s11
	v_mov_b32_e32 v30, s7
	ds_read2_b32 v[26:27], v26 offset1:1
	ds_read2_b32 v[28:29], v28 offset1:1
	;; [unrolled: 1-line block ×3, first 2 shown]
	s_add_i32 s7, s1, 0xfffffdd0
	s_waitcnt lgkmcnt(3)
	v_fma_f32 v7, -v6, v25, v7
	s_waitcnt lgkmcnt(2)
	v_fma_f32 v9, -v4, v27, v9
	v_fma_f32 v9, -v0, v26, v9
	v_mul_f32_e32 v7, v7, v24
	v_mov_b32_e32 v25, s9
	v_add_co_u32_e32 v24, vcc, s8, v46
	s_waitcnt lgkmcnt(1)
	v_fma_f32 v9, -v1, v29, v9
	v_addc_co_u32_e32 v25, vcc, v47, v25, vcc
	v_fma_f32 v9, -v6, v28, v9
	s_lshl_b64 s[8:9], s[4:5], 2
	global_store_dword v[24:25], v7, off
	s_waitcnt lgkmcnt(0)
	v_fma_f32 v9, -v7, v31, v9
	v_mov_b32_e32 v25, s9
	v_add_co_u32_e32 v24, vcc, s8, v46
	s_add_i32 s8, s7, s6
	v_mul_f32_e32 v9, v9, v30
	v_addc_co_u32_e32 v25, vcc, v47, v25, vcc
	s_add_i32 s9, s8, -8
	global_store_dword v[24:25], v9, off
	s_add_i32 s4, s0, -6
	v_mov_b32_e32 v24, s8
	v_mov_b32_e32 v25, s9
	s_add_i32 s8, s8, -16
	ds_read_b32 v30, v24
	ds_read2_b32 v[24:25], v25 offset1:1
	v_mov_b32_e32 v26, s8
	s_lshl_b32 s8, s4, 2
	s_add_i32 s7, s7, s8
	v_mov_b32_e32 v28, s7
	ds_read2_b32 v[26:27], v26 offset1:1
	ds_read2_b32 v[28:29], v28 offset1:1
	s_waitcnt lgkmcnt(3)
	v_fma_f32 v10, -v4, v30, v10
	s_waitcnt lgkmcnt(2)
	v_fma_f32 v10, -v0, v25, v10
	v_fma_f32 v10, -v1, v24, v10
	s_waitcnt lgkmcnt(1)
	v_fma_f32 v10, -v6, v27, v10
	v_fma_f32 v10, -v7, v26, v10
	s_lshl_b64 s[8:9], s[4:5], 2
	s_add_i32 s7, s1, 0xfffffd60
	s_waitcnt lgkmcnt(0)
	v_fma_f32 v10, -v9, v29, v10
	v_mov_b32_e32 v25, s9
	v_add_co_u32_e32 v24, vcc, s8, v46
	s_add_i32 s8, s7, s6
	v_mul_f32_e32 v10, v10, v28
	v_addc_co_u32_e32 v25, vcc, v47, v25, vcc
	s_add_i32 s9, s8, -4
	global_store_dword v[24:25], v10, off
	v_mov_b32_e32 v24, s9
	s_add_i32 s4, s0, -7
	ds_read2_b32 v[24:25], v24 offset1:1
	s_add_i32 s9, s8, -12
	s_sub_i32 s8, s8, 20
	v_mov_b32_e32 v28, s8
	s_lshl_b32 s8, s4, 2
	s_add_i32 s7, s7, s8
	v_mov_b32_e32 v26, s9
	v_mov_b32_e32 v30, s7
	ds_read2_b32 v[26:27], v26 offset1:1
	ds_read2_b32 v[28:29], v28 offset1:1
	;; [unrolled: 1-line block ×3, first 2 shown]
	s_waitcnt lgkmcnt(3)
	v_fma_f32 v12, -v4, v25, v12
	v_fma_f32 v12, -v0, v24, v12
	s_waitcnt lgkmcnt(2)
	v_fma_f32 v12, -v1, v27, v12
	v_fma_f32 v12, -v6, v26, v12
	;; [unrolled: 3-line block ×3, first 2 shown]
	s_lshl_b64 s[8:9], s[4:5], 2
	s_add_i32 s7, s1, 0xfffffcf0
	s_waitcnt lgkmcnt(0)
	v_fma_f32 v12, -v10, v31, v12
	v_mov_b32_e32 v25, s9
	v_add_co_u32_e32 v24, vcc, s8, v46
	s_add_i32 s8, s7, s6
	v_mul_f32_e32 v12, v12, v30
	v_addc_co_u32_e32 v25, vcc, v47, v25, vcc
	s_add_i32 s9, s8, -8
	global_store_dword v[24:25], v12, off
	v_mov_b32_e32 v24, s8
	v_mov_b32_e32 v25, s9
	ds_read_b32 v30, v24
	ds_read2_b32 v[24:25], v25 offset1:1
	s_add_i32 s9, s8, -16
	s_sub_i32 s8, s8, 24
	s_add_i32 s4, s0, -8
	v_mov_b32_e32 v26, s9
	v_mov_b32_e32 v28, s8
	ds_read2_b32 v[26:27], v26 offset1:1
	ds_read2_b32 v[28:29], v28 offset1:1
	s_waitcnt lgkmcnt(3)
	v_fma_f32 v13, -v4, v30, v13
	s_lshl_b32 s8, s4, 2
	s_waitcnt lgkmcnt(2)
	v_fma_f32 v13, -v0, v25, v13
	s_add_i32 s7, s7, s8
	v_fma_f32 v13, -v1, v24, v13
	v_mov_b32_e32 v24, s7
	ds_read2_b32 v[24:25], v24 offset1:1
	s_waitcnt lgkmcnt(2)
	v_fma_f32 v13, -v6, v27, v13
	v_fma_f32 v13, -v7, v26, v13
	s_waitcnt lgkmcnt(1)
	v_fma_f32 v13, -v9, v29, v13
	v_fma_f32 v13, -v10, v28, v13
	s_waitcnt lgkmcnt(0)
	v_fma_f32 v13, -v12, v25, v13
	s_lshl_b64 s[8:9], s[4:5], 2
	s_add_i32 s7, s1, 0xfffffc80
	v_mul_f32_e32 v13, v13, v24
	v_mov_b32_e32 v25, s9
	v_add_co_u32_e32 v24, vcc, s8, v46
	s_add_i32 s8, s7, s6
	v_addc_co_u32_e32 v25, vcc, v47, v25, vcc
	s_add_i32 s9, s8, -4
	global_store_dword v[24:25], v13, off
	v_mov_b32_e32 v24, s9
	ds_read2_b32 v[24:25], v24 offset1:1
	s_add_i32 s9, s8, -12
	v_mov_b32_e32 v26, s9
	s_sub_i32 s9, s8, 20
	s_sub_i32 s8, s8, 28
	v_mov_b32_e32 v28, s9
	v_mov_b32_e32 v30, s8
	s_add_i32 s4, s0, -9
	ds_read2_b32 v[26:27], v26 offset1:1
	ds_read2_b32 v[28:29], v28 offset1:1
	;; [unrolled: 1-line block ×3, first 2 shown]
	s_waitcnt lgkmcnt(3)
	v_fma_f32 v14, -v4, v25, v14
	s_lshl_b32 s8, s4, 2
	v_fma_f32 v14, -v0, v24, v14
	s_add_i32 s7, s7, s8
	s_waitcnt lgkmcnt(2)
	v_fma_f32 v14, -v1, v27, v14
	v_mov_b32_e32 v24, s7
	v_fma_f32 v14, -v6, v26, v14
	ds_read2_b32 v[24:25], v24 offset1:1
	s_waitcnt lgkmcnt(2)
	v_fma_f32 v14, -v7, v29, v14
	v_fma_f32 v14, -v9, v28, v14
	s_waitcnt lgkmcnt(1)
	v_fma_f32 v14, -v10, v31, v14
	v_fma_f32 v14, -v12, v30, v14
	s_lshl_b64 s[8:9], s[4:5], 2
	s_add_i32 s7, s1, 0xfffffc10
	s_waitcnt lgkmcnt(0)
	v_fma_f32 v14, -v13, v25, v14
	v_mov_b32_e32 v25, s9
	s_add_i32 s9, s7, s6
	v_mul_f32_e32 v14, v14, v24
	v_mov_b32_e32 v24, s9
	ds_read_b32 v26, v24
	v_add_co_u32_e32 v24, vcc, s8, v46
	v_addc_co_u32_e32 v25, vcc, v47, v25, vcc
	s_add_i32 s8, s9, -8
	global_store_dword v[24:25], v14, off
	v_mov_b32_e32 v24, s8
	ds_read2_b32 v[24:25], v24 offset1:1
	s_add_i32 s8, s9, -16
	s_waitcnt lgkmcnt(1)
	v_fma_f32 v16, -v4, v26, v16
	v_mov_b32_e32 v26, s8
	s_sub_i32 s8, s9, 24
	v_mov_b32_e32 v28, s8
	s_sub_i32 s8, s9, 32
	v_mov_b32_e32 v30, s8
	s_add_i32 s4, s0, -10
	ds_read2_b32 v[26:27], v26 offset1:1
	ds_read2_b32 v[28:29], v28 offset1:1
	;; [unrolled: 1-line block ×3, first 2 shown]
	s_waitcnt lgkmcnt(3)
	v_fma_f32 v16, -v0, v25, v16
	s_lshl_b32 s8, s4, 2
	v_fma_f32 v16, -v1, v24, v16
	s_add_i32 s7, s7, s8
	s_waitcnt lgkmcnt(2)
	v_fma_f32 v16, -v6, v27, v16
	v_mov_b32_e32 v24, s7
	v_fma_f32 v16, -v7, v26, v16
	ds_read2_b32 v[24:25], v24 offset1:1
	s_waitcnt lgkmcnt(2)
	v_fma_f32 v16, -v9, v29, v16
	v_fma_f32 v16, -v10, v28, v16
	s_waitcnt lgkmcnt(1)
	v_fma_f32 v16, -v12, v31, v16
	v_fma_f32 v16, -v13, v30, v16
	s_waitcnt lgkmcnt(0)
	v_fma_f32 v16, -v14, v25, v16
	s_lshl_b64 s[8:9], s[4:5], 2
	s_add_i32 s7, s1, 0xfffffba0
	v_mul_f32_e32 v16, v16, v24
	v_mov_b32_e32 v25, s9
	v_add_co_u32_e32 v24, vcc, s8, v46
	s_add_i32 s8, s7, s6
	v_addc_co_u32_e32 v25, vcc, v47, v25, vcc
	s_add_i32 s9, s8, -4
	global_store_dword v[24:25], v16, off
	v_mov_b32_e32 v24, s9
	ds_read2_b32 v[24:25], v24 offset1:1
	s_add_i32 s9, s8, -12
	v_mov_b32_e32 v26, s9
	s_sub_i32 s9, s8, 20
	v_mov_b32_e32 v28, s9
	s_sub_i32 s9, s8, 28
	v_mov_b32_e32 v30, s9
	ds_read2_b32 v[26:27], v26 offset1:1
	ds_read2_b32 v[28:29], v28 offset1:1
	;; [unrolled: 1-line block ×3, first 2 shown]
	s_waitcnt lgkmcnt(3)
	v_fma_f32 v18, -v4, v25, v18
	s_add_i32 s4, s0, -11
	v_fma_f32 v18, -v0, v24, v18
	s_sub_i32 s8, s8, 36
	s_waitcnt lgkmcnt(2)
	v_fma_f32 v18, -v1, v27, v18
	v_mov_b32_e32 v24, s8
	s_lshl_b32 s8, s4, 2
	v_fma_f32 v18, -v6, v26, v18
	ds_read2_b32 v[24:25], v24 offset1:1
	s_add_i32 s7, s7, s8
	s_waitcnt lgkmcnt(2)
	v_fma_f32 v18, -v7, v29, v18
	v_mov_b32_e32 v26, s7
	v_fma_f32 v18, -v9, v28, v18
	ds_read2_b32 v[26:27], v26 offset1:1
	s_waitcnt lgkmcnt(2)
	v_fma_f32 v18, -v10, v31, v18
	v_fma_f32 v18, -v12, v30, v18
	s_waitcnt lgkmcnt(1)
	v_fma_f32 v18, -v13, v25, v18
	s_lshl_b64 s[8:9], s[4:5], 2
	s_add_i32 s7, s1, 0xfffffb30
	v_fma_f32 v18, -v14, v24, v18
	v_mov_b32_e32 v25, s9
	s_add_i32 s9, s7, s6
	s_waitcnt lgkmcnt(0)
	v_fma_f32 v18, -v16, v27, v18
	v_mov_b32_e32 v24, s9
	v_mul_f32_e32 v18, v18, v26
	ds_read_b32 v26, v24
	v_add_co_u32_e32 v24, vcc, s8, v46
	v_addc_co_u32_e32 v25, vcc, v47, v25, vcc
	s_add_i32 s8, s9, -8
	global_store_dword v[24:25], v18, off
	v_mov_b32_e32 v24, s8
	ds_read2_b32 v[24:25], v24 offset1:1
	s_add_i32 s8, s9, -16
	s_waitcnt lgkmcnt(1)
	v_fma_f32 v20, -v4, v26, v20
	v_mov_b32_e32 v26, s8
	s_sub_i32 s8, s9, 24
	v_mov_b32_e32 v28, s8
	s_sub_i32 s8, s9, 32
	v_mov_b32_e32 v30, s8
	ds_read2_b32 v[26:27], v26 offset1:1
	ds_read2_b32 v[28:29], v28 offset1:1
	;; [unrolled: 1-line block ×3, first 2 shown]
	s_waitcnt lgkmcnt(3)
	v_fma_f32 v20, -v0, v25, v20
	s_add_i32 s4, s0, -12
	v_fma_f32 v20, -v1, v24, v20
	s_sub_i32 s8, s9, 40
	s_waitcnt lgkmcnt(2)
	v_fma_f32 v20, -v6, v27, v20
	v_mov_b32_e32 v24, s8
	s_lshl_b32 s8, s4, 2
	v_fma_f32 v20, -v7, v26, v20
	ds_read2_b32 v[24:25], v24 offset1:1
	s_add_i32 s7, s7, s8
	s_waitcnt lgkmcnt(2)
	v_fma_f32 v20, -v9, v29, v20
	v_mov_b32_e32 v26, s7
	v_fma_f32 v20, -v10, v28, v20
	ds_read2_b32 v[26:27], v26 offset1:1
	s_waitcnt lgkmcnt(2)
	v_fma_f32 v20, -v12, v31, v20
	v_fma_f32 v20, -v13, v30, v20
	s_waitcnt lgkmcnt(1)
	v_fma_f32 v20, -v14, v25, v20
	v_fma_f32 v20, -v16, v24, v20
	s_lshl_b64 s[8:9], s[4:5], 2
	s_add_i32 s7, s1, 0xfffffac0
	s_waitcnt lgkmcnt(0)
	v_fma_f32 v20, -v18, v27, v20
	v_mov_b32_e32 v25, s9
	v_add_co_u32_e32 v24, vcc, s8, v46
	s_add_i32 s8, s7, s6
	v_mul_f32_e32 v20, v20, v26
	v_addc_co_u32_e32 v25, vcc, v47, v25, vcc
	s_add_i32 s9, s8, -4
	global_store_dword v[24:25], v20, off
	v_mov_b32_e32 v24, s9
	ds_read2_b32 v[24:25], v24 offset1:1
	s_add_i32 s9, s8, -12
	v_mov_b32_e32 v26, s9
	s_sub_i32 s9, s8, 20
	v_mov_b32_e32 v28, s9
	s_sub_i32 s9, s8, 28
	v_mov_b32_e32 v30, s9
	ds_read2_b32 v[26:27], v26 offset1:1
	ds_read2_b32 v[28:29], v28 offset1:1
	;; [unrolled: 1-line block ×3, first 2 shown]
	s_waitcnt lgkmcnt(3)
	v_fma_f32 v22, -v4, v25, v22
	v_fma_f32 v22, -v0, v24, v22
	s_waitcnt lgkmcnt(2)
	v_fma_f32 v22, -v1, v27, v22
	s_sub_i32 s9, s8, 36
	s_sub_i32 s8, s8, 44
	v_fma_f32 v22, -v6, v26, v22
	v_mov_b32_e32 v24, s9
	v_mov_b32_e32 v26, s8
	s_waitcnt lgkmcnt(1)
	v_fma_f32 v22, -v7, v29, v22
	ds_read2_b32 v[24:25], v24 offset1:1
	ds_read2_b32 v[26:27], v26 offset1:1
	s_add_i32 s4, s0, -13
	v_fma_f32 v22, -v9, v28, v22
	s_waitcnt lgkmcnt(2)
	v_fma_f32 v22, -v10, v31, v22
	s_lshl_b32 s8, s4, 2
	v_fma_f32 v22, -v12, v30, v22
	s_add_i32 s7, s7, s8
	v_mov_b32_e32 v28, s7
	s_waitcnt lgkmcnt(1)
	v_fma_f32 v22, -v13, v25, v22
	s_lshl_b64 s[8:9], s[4:5], 2
	s_add_i32 s7, s1, 0xfffffa50
	v_fma_f32 v22, -v14, v24, v22
	v_mov_b32_e32 v25, s9
	s_add_i32 s9, s7, s6
	ds_read2_b32 v[28:29], v28 offset1:1
	s_waitcnt lgkmcnt(1)
	v_fma_f32 v22, -v16, v27, v22
	v_mov_b32_e32 v24, s9
	v_fma_f32 v22, -v18, v26, v22
	ds_read_b32 v26, v24
	s_waitcnt lgkmcnt(1)
	v_fma_f32 v22, -v20, v29, v22
	v_add_co_u32_e32 v24, vcc, s8, v46
	s_add_i32 s8, s9, -8
	v_mul_f32_e32 v22, v22, v28
	v_addc_co_u32_e32 v25, vcc, v47, v25, vcc
	s_waitcnt lgkmcnt(0)
	v_fma_f32 v31, -v4, v26, v23
	v_mov_b32_e32 v23, s8
	global_store_dword v[24:25], v22, off
	ds_read2_b32 v[23:24], v23 offset1:1
	s_add_i32 s8, s9, -16
	v_mov_b32_e32 v25, s8
	s_sub_i32 s8, s9, 24
	v_mov_b32_e32 v27, s8
	s_sub_i32 s8, s9, 32
	v_mov_b32_e32 v29, s8
	ds_read2_b32 v[25:26], v25 offset1:1
	ds_read2_b32 v[27:28], v27 offset1:1
	;; [unrolled: 1-line block ×3, first 2 shown]
	s_waitcnt lgkmcnt(3)
	v_fma_f32 v24, -v0, v24, v31
	v_fma_f32 v23, -v1, v23, v24
	s_waitcnt lgkmcnt(2)
	v_fma_f32 v23, -v6, v26, v23
	v_fma_f32 v23, -v7, v25, v23
	;; [unrolled: 3-line block ×3, first 2 shown]
	s_waitcnt lgkmcnt(0)
	v_fma_f32 v23, -v12, v30, v23
	s_sub_i32 s8, s9, 40
	v_fma_f32 v29, -v13, v29, v23
	v_mov_b32_e32 v23, s8
	s_sub_i32 s8, s9, 48
	s_add_i32 s4, s0, -14
	v_mov_b32_e32 v25, s8
	ds_read2_b32 v[23:24], v23 offset1:1
	ds_read2_b32 v[25:26], v25 offset1:1
	s_lshl_b32 s8, s4, 2
	s_add_i32 s7, s7, s8
	v_mov_b32_e32 v27, s7
	ds_read2_b32 v[27:28], v27 offset1:1
	s_waitcnt lgkmcnt(2)
	v_fma_f32 v24, -v14, v24, v29
	v_fma_f32 v23, -v16, v23, v24
	s_waitcnt lgkmcnt(1)
	v_fma_f32 v23, -v18, v26, v23
	v_fma_f32 v23, -v20, v25, v23
	s_lshl_b64 s[8:9], s[4:5], 2
	s_add_i32 s7, s1, 0xfffff9e0
	s_waitcnt lgkmcnt(0)
	v_fma_f32 v23, -v22, v28, v23
	v_mov_b32_e32 v25, s9
	v_add_co_u32_e32 v24, vcc, s8, v46
	s_add_i32 s8, s7, s6
	v_mul_f32_e32 v23, v23, v27
	v_addc_co_u32_e32 v25, vcc, v47, v25, vcc
	s_add_i32 s9, s8, -4
	global_store_dword v[24:25], v23, off
	v_mov_b32_e32 v24, s9
	ds_read2_b32 v[24:25], v24 offset1:1
	s_add_i32 s9, s8, -12
	v_mov_b32_e32 v26, s9
	s_sub_i32 s9, s8, 20
	v_mov_b32_e32 v28, s9
	s_sub_i32 s9, s8, 28
	v_mov_b32_e32 v30, s9
	ds_read2_b32 v[26:27], v26 offset1:1
	ds_read2_b32 v[28:29], v28 offset1:1
	;; [unrolled: 1-line block ×3, first 2 shown]
	s_waitcnt lgkmcnt(3)
	v_fma_f32 v21, -v4, v25, v21
	v_fma_f32 v21, -v0, v24, v21
	s_sub_i32 s9, s8, 36
	s_waitcnt lgkmcnt(2)
	v_fma_f32 v21, -v1, v27, v21
	v_mov_b32_e32 v24, s9
	v_fma_f32 v21, -v6, v26, v21
	ds_read2_b32 v[24:25], v24 offset1:1
	s_waitcnt lgkmcnt(2)
	v_fma_f32 v21, -v7, v29, v21
	v_fma_f32 v21, -v9, v28, v21
	s_sub_i32 s9, s8, 44
	s_sub_i32 s8, s8, 52
	s_add_i32 s4, s0, -15
	s_waitcnt lgkmcnt(1)
	v_fma_f32 v21, -v10, v31, v21
	v_mov_b32_e32 v26, s9
	v_mov_b32_e32 v28, s8
	v_fma_f32 v21, -v12, v30, v21
	ds_read2_b32 v[26:27], v26 offset1:1
	ds_read2_b32 v[28:29], v28 offset1:1
	s_lshl_b32 s8, s4, 2
	s_waitcnt lgkmcnt(2)
	v_fma_f32 v21, -v13, v25, v21
	s_add_i32 s7, s7, s8
	v_fma_f32 v21, -v14, v24, v21
	v_mov_b32_e32 v24, s7
	ds_read2_b32 v[24:25], v24 offset1:1
	s_waitcnt lgkmcnt(2)
	v_fma_f32 v21, -v16, v27, v21
	v_fma_f32 v21, -v18, v26, v21
	s_waitcnt lgkmcnt(1)
	v_fma_f32 v21, -v20, v29, v21
	v_fma_f32 v21, -v22, v28, v21
	s_lshl_b64 s[8:9], s[4:5], 2
	s_add_i32 s7, s1, 0xfffff970
	s_waitcnt lgkmcnt(0)
	v_fma_f32 v21, -v23, v25, v21
	v_mov_b32_e32 v25, s9
	s_add_i32 s9, s7, s6
	v_mul_f32_e32 v21, v21, v24
	v_mov_b32_e32 v24, s9
	ds_read_b32 v26, v24
	v_add_co_u32_e32 v24, vcc, s8, v46
	v_addc_co_u32_e32 v25, vcc, v47, v25, vcc
	s_add_i32 s8, s9, -8
	global_store_dword v[24:25], v21, off
	v_mov_b32_e32 v24, s8
	ds_read2_b32 v[24:25], v24 offset1:1
	s_add_i32 s8, s9, -16
	s_waitcnt lgkmcnt(1)
	v_fma_f32 v19, -v4, v26, v19
	v_mov_b32_e32 v26, s8
	s_sub_i32 s8, s9, 24
	v_mov_b32_e32 v28, s8
	s_sub_i32 s8, s9, 32
	v_mov_b32_e32 v30, s8
	ds_read2_b32 v[26:27], v26 offset1:1
	ds_read2_b32 v[28:29], v28 offset1:1
	;; [unrolled: 1-line block ×3, first 2 shown]
	s_waitcnt lgkmcnt(3)
	v_fma_f32 v19, -v0, v25, v19
	v_fma_f32 v19, -v1, v24, v19
	s_sub_i32 s8, s9, 40
	s_waitcnt lgkmcnt(2)
	v_fma_f32 v19, -v6, v27, v19
	v_mov_b32_e32 v24, s8
	v_fma_f32 v19, -v7, v26, v19
	ds_read2_b32 v[24:25], v24 offset1:1
	s_waitcnt lgkmcnt(2)
	v_fma_f32 v19, -v9, v29, v19
	s_sub_i32 s8, s9, 48
	v_fma_f32 v19, -v10, v28, v19
	v_mov_b32_e32 v26, s8
	s_sub_i32 s8, s9, 56
	s_add_i32 s4, s0, -16
	s_waitcnt lgkmcnt(1)
	v_fma_f32 v19, -v12, v31, v19
	v_mov_b32_e32 v28, s8
	v_fma_f32 v19, -v13, v30, v19
	ds_read2_b32 v[26:27], v26 offset1:1
	ds_read2_b32 v[28:29], v28 offset1:1
	s_lshl_b32 s8, s4, 2
	s_waitcnt lgkmcnt(2)
	v_fma_f32 v19, -v14, v25, v19
	s_add_i32 s7, s7, s8
	v_fma_f32 v19, -v16, v24, v19
	v_mov_b32_e32 v24, s7
	ds_read2_b32 v[24:25], v24 offset1:1
	s_waitcnt lgkmcnt(2)
	v_fma_f32 v19, -v18, v27, v19
	v_fma_f32 v19, -v20, v26, v19
	s_waitcnt lgkmcnt(1)
	v_fma_f32 v19, -v22, v29, v19
	v_fma_f32 v19, -v23, v28, v19
	s_waitcnt lgkmcnt(0)
	v_fma_f32 v19, -v21, v25, v19
	s_lshl_b64 s[8:9], s[4:5], 2
	s_add_i32 s7, s1, 0xfffff900
	v_mul_f32_e32 v19, v19, v24
	v_mov_b32_e32 v25, s9
	v_add_co_u32_e32 v24, vcc, s8, v46
	s_add_i32 s8, s7, s6
	v_addc_co_u32_e32 v25, vcc, v47, v25, vcc
	s_add_i32 s9, s8, -4
	global_store_dword v[24:25], v19, off
	v_mov_b32_e32 v24, s9
	ds_read2_b32 v[24:25], v24 offset1:1
	s_add_i32 s9, s8, -12
	v_mov_b32_e32 v26, s9
	s_sub_i32 s9, s8, 20
	v_mov_b32_e32 v28, s9
	s_sub_i32 s9, s8, 28
	v_mov_b32_e32 v30, s9
	ds_read2_b32 v[26:27], v26 offset1:1
	ds_read2_b32 v[28:29], v28 offset1:1
	ds_read2_b32 v[30:31], v30 offset1:1
	s_waitcnt lgkmcnt(3)
	v_fma_f32 v17, -v4, v25, v17
	v_fma_f32 v17, -v0, v24, v17
	s_waitcnt lgkmcnt(2)
	v_fma_f32 v17, -v1, v27, v17
	s_sub_i32 s9, s8, 36
	v_fma_f32 v17, -v6, v26, v17
	v_mov_b32_e32 v24, s9
	s_waitcnt lgkmcnt(1)
	v_fma_f32 v17, -v7, v29, v17
	ds_read2_b32 v[24:25], v24 offset1:1
	v_fma_f32 v17, -v9, v28, v17
	s_sub_i32 s9, s8, 44
	s_waitcnt lgkmcnt(1)
	v_fma_f32 v17, -v10, v31, v17
	v_mov_b32_e32 v26, s9
	s_sub_i32 s9, s8, 52
	s_sub_i32 s8, s8, 60
	v_fma_f32 v17, -v12, v30, v17
	v_mov_b32_e32 v28, s9
	v_mov_b32_e32 v30, s8
	s_sub_i32 s4, s0, 17
	ds_read2_b32 v[26:27], v26 offset1:1
	ds_read2_b32 v[28:29], v28 offset1:1
	;; [unrolled: 1-line block ×3, first 2 shown]
	s_waitcnt lgkmcnt(3)
	v_fma_f32 v17, -v13, v25, v17
	s_lshl_b32 s8, s4, 2
	v_fma_f32 v17, -v14, v24, v17
	s_add_i32 s7, s7, s8
	s_waitcnt lgkmcnt(2)
	v_fma_f32 v17, -v16, v27, v17
	v_mov_b32_e32 v24, s7
	v_fma_f32 v17, -v18, v26, v17
	ds_read2_b32 v[24:25], v24 offset1:1
	s_waitcnt lgkmcnt(2)
	v_fma_f32 v17, -v20, v29, v17
	v_fma_f32 v17, -v22, v28, v17
	s_waitcnt lgkmcnt(1)
	v_fma_f32 v17, -v23, v31, v17
	v_fma_f32 v17, -v21, v30, v17
	s_lshl_b64 s[8:9], s[4:5], 2
	s_add_i32 s7, s1, 0xfffff890
	s_waitcnt lgkmcnt(0)
	v_fma_f32 v17, -v19, v25, v17
	v_mov_b32_e32 v25, s9
	s_add_i32 s9, s7, s6
	v_mul_f32_e32 v17, v17, v24
	v_mov_b32_e32 v24, s9
	ds_read_b32 v26, v24
	v_add_co_u32_e32 v24, vcc, s8, v46
	v_addc_co_u32_e32 v25, vcc, v47, v25, vcc
	s_add_i32 s8, s9, -8
	global_store_dword v[24:25], v17, off
	v_mov_b32_e32 v24, s8
	ds_read2_b32 v[24:25], v24 offset1:1
	s_add_i32 s8, s9, -16
	s_waitcnt lgkmcnt(1)
	v_fma_f32 v15, -v4, v26, v15
	v_mov_b32_e32 v26, s8
	s_sub_i32 s8, s9, 24
	v_mov_b32_e32 v28, s8
	s_sub_i32 s8, s9, 32
	v_mov_b32_e32 v30, s8
	ds_read2_b32 v[26:27], v26 offset1:1
	ds_read2_b32 v[28:29], v28 offset1:1
	;; [unrolled: 1-line block ×3, first 2 shown]
	s_waitcnt lgkmcnt(3)
	v_fma_f32 v15, -v0, v25, v15
	v_fma_f32 v15, -v1, v24, v15
	s_waitcnt lgkmcnt(2)
	v_fma_f32 v15, -v6, v27, v15
	s_sub_i32 s8, s9, 40
	v_fma_f32 v15, -v7, v26, v15
	v_mov_b32_e32 v24, s8
	s_waitcnt lgkmcnt(1)
	v_fma_f32 v15, -v9, v29, v15
	ds_read2_b32 v[24:25], v24 offset1:1
	s_sub_i32 s8, s9, 48
	v_fma_f32 v15, -v10, v28, v15
	v_mov_b32_e32 v26, s8
	s_sub_i32 s8, s9, 56
	s_waitcnt lgkmcnt(1)
	v_fma_f32 v15, -v12, v31, v15
	v_mov_b32_e32 v28, s8
	s_sub_i32 s8, s9, 64
	v_fma_f32 v15, -v13, v30, v15
	v_mov_b32_e32 v30, s8
	s_sub_i32 s4, s0, 18
	ds_read2_b32 v[26:27], v26 offset1:1
	ds_read2_b32 v[28:29], v28 offset1:1
	;; [unrolled: 1-line block ×3, first 2 shown]
	s_waitcnt lgkmcnt(3)
	v_fma_f32 v15, -v14, v25, v15
	s_lshl_b32 s8, s4, 2
	v_fma_f32 v15, -v16, v24, v15
	s_add_i32 s7, s7, s8
	s_waitcnt lgkmcnt(2)
	v_fma_f32 v15, -v18, v27, v15
	v_mov_b32_e32 v24, s7
	v_fma_f32 v15, -v20, v26, v15
	ds_read2_b32 v[24:25], v24 offset1:1
	s_waitcnt lgkmcnt(2)
	v_fma_f32 v15, -v22, v29, v15
	v_fma_f32 v15, -v23, v28, v15
	s_waitcnt lgkmcnt(1)
	v_fma_f32 v15, -v21, v31, v15
	v_fma_f32 v15, -v19, v30, v15
	s_waitcnt lgkmcnt(0)
	v_fma_f32 v15, -v17, v25, v15
	s_lshl_b64 s[8:9], s[4:5], 2
	s_add_i32 s7, s1, 0xfffff820
	v_mul_f32_e32 v15, v15, v24
	v_mov_b32_e32 v25, s9
	v_add_co_u32_e32 v24, vcc, s8, v46
	s_add_i32 s8, s7, s6
	v_addc_co_u32_e32 v25, vcc, v47, v25, vcc
	s_add_i32 s9, s8, -4
	global_store_dword v[24:25], v15, off
	v_mov_b32_e32 v24, s9
	ds_read2_b32 v[24:25], v24 offset1:1
	s_add_i32 s9, s8, -12
	v_mov_b32_e32 v26, s9
	s_sub_i32 s9, s8, 20
	v_mov_b32_e32 v28, s9
	s_sub_i32 s9, s8, 28
	v_mov_b32_e32 v30, s9
	ds_read2_b32 v[26:27], v26 offset1:1
	ds_read2_b32 v[28:29], v28 offset1:1
	;; [unrolled: 1-line block ×3, first 2 shown]
	s_waitcnt lgkmcnt(3)
	v_fma_f32 v11, -v4, v25, v11
	v_fma_f32 v11, -v0, v24, v11
	s_waitcnt lgkmcnt(2)
	v_fma_f32 v11, -v1, v27, v11
	s_sub_i32 s9, s8, 36
	v_fma_f32 v11, -v6, v26, v11
	v_mov_b32_e32 v24, s9
	s_waitcnt lgkmcnt(1)
	v_fma_f32 v11, -v7, v29, v11
	ds_read2_b32 v[24:25], v24 offset1:1
	s_sub_i32 s9, s8, 44
	v_fma_f32 v11, -v9, v28, v11
	v_mov_b32_e32 v26, s9
	s_sub_i32 s9, s8, 52
	s_waitcnt lgkmcnt(1)
	v_fma_f32 v11, -v10, v31, v11
	v_mov_b32_e32 v28, s9
	s_sub_i32 s9, s8, 60
	v_fma_f32 v11, -v12, v30, v11
	v_mov_b32_e32 v30, s9
	ds_read2_b32 v[26:27], v26 offset1:1
	ds_read2_b32 v[28:29], v28 offset1:1
	;; [unrolled: 1-line block ×3, first 2 shown]
	s_waitcnt lgkmcnt(3)
	v_fma_f32 v11, -v13, v25, v11
	s_sub_i32 s4, s0, 19
	v_fma_f32 v11, -v14, v24, v11
	s_addk_i32 s8, 0xffbc
	s_waitcnt lgkmcnt(2)
	v_fma_f32 v11, -v16, v27, v11
	v_mov_b32_e32 v24, s8
	s_lshl_b32 s8, s4, 2
	v_fma_f32 v11, -v18, v26, v11
	ds_read2_b32 v[24:25], v24 offset1:1
	s_add_i32 s7, s7, s8
	s_waitcnt lgkmcnt(2)
	v_fma_f32 v11, -v20, v29, v11
	v_mov_b32_e32 v26, s7
	v_fma_f32 v11, -v22, v28, v11
	ds_read2_b32 v[26:27], v26 offset1:1
	s_waitcnt lgkmcnt(2)
	v_fma_f32 v11, -v23, v31, v11
	v_fma_f32 v11, -v21, v30, v11
	s_waitcnt lgkmcnt(1)
	v_fma_f32 v11, -v19, v25, v11
	s_lshl_b64 s[8:9], s[4:5], 2
	s_add_i32 s7, s1, 0xfffff7b0
	v_fma_f32 v11, -v17, v24, v11
	v_mov_b32_e32 v25, s9
	s_add_i32 s9, s7, s6
	s_waitcnt lgkmcnt(0)
	v_fma_f32 v11, -v15, v27, v11
	v_mov_b32_e32 v24, s9
	v_mul_f32_e32 v11, v11, v26
	ds_read_b32 v26, v24
	v_add_co_u32_e32 v24, vcc, s8, v46
	v_addc_co_u32_e32 v25, vcc, v47, v25, vcc
	s_add_i32 s8, s9, -8
	global_store_dword v[24:25], v11, off
	v_mov_b32_e32 v24, s8
	ds_read2_b32 v[24:25], v24 offset1:1
	s_add_i32 s8, s9, -16
	s_waitcnt lgkmcnt(1)
	v_fma_f32 v8, -v4, v26, v8
	v_mov_b32_e32 v26, s8
	s_sub_i32 s8, s9, 24
	v_mov_b32_e32 v28, s8
	s_sub_i32 s8, s9, 32
	v_mov_b32_e32 v30, s8
	ds_read2_b32 v[26:27], v26 offset1:1
	ds_read2_b32 v[28:29], v28 offset1:1
	;; [unrolled: 1-line block ×3, first 2 shown]
	s_waitcnt lgkmcnt(3)
	v_fma_f32 v8, -v0, v25, v8
	v_fma_f32 v8, -v1, v24, v8
	s_waitcnt lgkmcnt(2)
	v_fma_f32 v8, -v6, v27, v8
	s_sub_i32 s8, s9, 40
	v_fma_f32 v8, -v7, v26, v8
	v_mov_b32_e32 v24, s8
	s_waitcnt lgkmcnt(1)
	v_fma_f32 v8, -v9, v29, v8
	ds_read2_b32 v[24:25], v24 offset1:1
	s_sub_i32 s8, s9, 48
	v_fma_f32 v8, -v10, v28, v8
	v_mov_b32_e32 v26, s8
	s_sub_i32 s8, s9, 56
	s_waitcnt lgkmcnt(1)
	v_fma_f32 v8, -v12, v31, v8
	v_mov_b32_e32 v28, s8
	s_sub_i32 s8, s9, 64
	v_fma_f32 v8, -v13, v30, v8
	v_mov_b32_e32 v30, s8
	ds_read2_b32 v[26:27], v26 offset1:1
	ds_read2_b32 v[28:29], v28 offset1:1
	;; [unrolled: 1-line block ×3, first 2 shown]
	s_waitcnt lgkmcnt(3)
	v_fma_f32 v8, -v14, v25, v8
	s_sub_i32 s4, s0, 20
	v_fma_f32 v8, -v16, v24, v8
	s_add_i32 s8, s9, 0xffffffb8
	s_waitcnt lgkmcnt(2)
	v_fma_f32 v8, -v18, v27, v8
	v_mov_b32_e32 v24, s8
	s_lshl_b32 s8, s4, 2
	v_fma_f32 v8, -v20, v26, v8
	ds_read2_b32 v[24:25], v24 offset1:1
	s_add_i32 s7, s7, s8
	s_waitcnt lgkmcnt(2)
	v_fma_f32 v8, -v22, v29, v8
	v_mov_b32_e32 v26, s7
	v_fma_f32 v8, -v23, v28, v8
	ds_read2_b32 v[26:27], v26 offset1:1
	s_waitcnt lgkmcnt(2)
	v_fma_f32 v8, -v21, v31, v8
	v_fma_f32 v8, -v19, v30, v8
	s_waitcnt lgkmcnt(1)
	v_fma_f32 v8, -v17, v25, v8
	v_fma_f32 v8, -v15, v24, v8
	s_lshl_b64 s[8:9], s[4:5], 2
	s_add_i32 s7, s1, 0xfffff740
	s_waitcnt lgkmcnt(0)
	v_fma_f32 v8, -v11, v27, v8
	v_mov_b32_e32 v25, s9
	v_add_co_u32_e32 v24, vcc, s8, v46
	s_add_i32 s8, s7, s6
	v_mul_f32_e32 v8, v8, v26
	v_addc_co_u32_e32 v25, vcc, v47, v25, vcc
	s_add_i32 s9, s8, -4
	global_store_dword v[24:25], v8, off
	v_mov_b32_e32 v24, s9
	ds_read2_b32 v[24:25], v24 offset1:1
	s_add_i32 s9, s8, -12
	v_mov_b32_e32 v26, s9
	s_sub_i32 s9, s8, 20
	v_mov_b32_e32 v28, s9
	s_sub_i32 s9, s8, 28
	v_mov_b32_e32 v30, s9
	ds_read2_b32 v[26:27], v26 offset1:1
	ds_read2_b32 v[28:29], v28 offset1:1
	;; [unrolled: 1-line block ×3, first 2 shown]
	s_waitcnt lgkmcnt(3)
	v_fma_f32 v5, -v4, v25, v5
	v_fma_f32 v5, -v0, v24, v5
	s_waitcnt lgkmcnt(2)
	v_fma_f32 v5, -v1, v27, v5
	s_sub_i32 s9, s8, 36
	v_fma_f32 v5, -v6, v26, v5
	v_mov_b32_e32 v24, s9
	s_waitcnt lgkmcnt(1)
	v_fma_f32 v5, -v7, v29, v5
	ds_read2_b32 v[24:25], v24 offset1:1
	s_sub_i32 s9, s8, 44
	v_fma_f32 v5, -v9, v28, v5
	v_mov_b32_e32 v26, s9
	s_sub_i32 s9, s8, 52
	s_waitcnt lgkmcnt(1)
	v_fma_f32 v5, -v10, v31, v5
	v_mov_b32_e32 v28, s9
	s_sub_i32 s9, s8, 60
	v_fma_f32 v5, -v12, v30, v5
	v_mov_b32_e32 v30, s9
	ds_read2_b32 v[26:27], v26 offset1:1
	ds_read2_b32 v[28:29], v28 offset1:1
	;; [unrolled: 1-line block ×3, first 2 shown]
	s_waitcnt lgkmcnt(3)
	v_fma_f32 v5, -v13, v25, v5
	v_fma_f32 v5, -v14, v24, v5
	s_waitcnt lgkmcnt(2)
	v_fma_f32 v5, -v16, v27, v5
	s_add_i32 s9, s8, 0xffffffbc
	s_addk_i32 s8, 0xffb4
	s_sub_i32 s4, s0, 21
	v_fma_f32 v5, -v18, v26, v5
	v_mov_b32_e32 v24, s9
	v_mov_b32_e32 v26, s8
	s_waitcnt lgkmcnt(1)
	v_fma_f32 v5, -v20, v29, v5
	ds_read2_b32 v[24:25], v24 offset1:1
	ds_read2_b32 v[26:27], v26 offset1:1
	s_lshl_b32 s8, s4, 2
	v_fma_f32 v5, -v22, v28, v5
	s_add_i32 s7, s7, s8
	s_waitcnt lgkmcnt(2)
	v_fma_f32 v5, -v23, v31, v5
	v_mov_b32_e32 v28, s7
	v_fma_f32 v5, -v21, v30, v5
	ds_read2_b32 v[28:29], v28 offset1:1
	s_waitcnt lgkmcnt(2)
	v_fma_f32 v5, -v19, v25, v5
	v_fma_f32 v5, -v17, v24, v5
	s_waitcnt lgkmcnt(1)
	v_fma_f32 v5, -v15, v27, v5
	v_fma_f32 v5, -v11, v26, v5
	s_waitcnt lgkmcnt(0)
	v_fma_f32 v5, -v8, v29, v5
	s_lshl_b64 s[8:9], s[4:5], 2
	s_add_i32 s7, s1, 0xfffff6d0
	v_mul_f32_e32 v32, v5, v28
	v_mov_b32_e32 v5, s9
	s_add_i32 s9, s7, s6
	v_mov_b32_e32 v24, s9
	ds_read_b32 v26, v24
	v_add_co_u32_e32 v24, vcc, s8, v46
	s_add_i32 s8, s9, -8
	v_addc_co_u32_e32 v25, vcc, v47, v5, vcc
	v_mov_b32_e32 v5, s8
	global_store_dword v[24:25], v32, off
	ds_read2_b32 v[24:25], v5 offset1:1
	s_add_i32 s8, s9, -16
	v_mov_b32_e32 v5, s8
	s_sub_i32 s8, s9, 24
	v_mov_b32_e32 v28, s8
	s_sub_i32 s8, s9, 32
	v_mov_b32_e32 v30, s8
	s_waitcnt lgkmcnt(1)
	v_fma_f32 v3, -v4, v26, v3
	ds_read2_b32 v[26:27], v5 offset1:1
	ds_read2_b32 v[28:29], v28 offset1:1
	;; [unrolled: 1-line block ×3, first 2 shown]
	s_waitcnt lgkmcnt(3)
	v_fma_f32 v3, -v0, v25, v3
	v_fma_f32 v3, -v1, v24, v3
	s_waitcnt lgkmcnt(2)
	v_fma_f32 v3, -v6, v27, v3
	s_sub_i32 s8, s9, 40
	v_fma_f32 v3, -v7, v26, v3
	v_mov_b32_e32 v5, s8
	s_waitcnt lgkmcnt(1)
	v_fma_f32 v3, -v9, v29, v3
	ds_read2_b32 v[24:25], v5 offset1:1
	s_sub_i32 s8, s9, 48
	v_fma_f32 v3, -v10, v28, v3
	v_mov_b32_e32 v5, s8
	s_sub_i32 s8, s9, 56
	s_waitcnt lgkmcnt(1)
	v_fma_f32 v3, -v12, v31, v3
	v_mov_b32_e32 v28, s8
	s_sub_i32 s8, s9, 64
	v_fma_f32 v3, -v13, v30, v3
	v_mov_b32_e32 v30, s8
	ds_read2_b32 v[26:27], v5 offset1:1
	ds_read2_b32 v[28:29], v28 offset1:1
	;; [unrolled: 1-line block ×3, first 2 shown]
	s_waitcnt lgkmcnt(3)
	v_fma_f32 v3, -v14, v25, v3
	v_fma_f32 v3, -v16, v24, v3
	s_add_i32 s8, s9, 0xffffffb8
	s_waitcnt lgkmcnt(2)
	v_fma_f32 v3, -v18, v27, v3
	v_mov_b32_e32 v5, s8
	s_add_i32 s8, s9, 0xffffffb0
	s_sub_i32 s4, s0, 22
	v_fma_f32 v3, -v20, v26, v3
	v_mov_b32_e32 v26, s8
	s_waitcnt lgkmcnt(1)
	v_fma_f32 v3, -v22, v29, v3
	ds_read2_b32 v[24:25], v5 offset1:1
	ds_read2_b32 v[26:27], v26 offset1:1
	s_lshl_b32 s8, s4, 2
	v_fma_f32 v3, -v23, v28, v3
	s_add_i32 s7, s7, s8
	s_waitcnt lgkmcnt(2)
	v_fma_f32 v3, -v21, v31, v3
	v_mov_b32_e32 v5, s7
	v_fma_f32 v3, -v19, v30, v3
	ds_read2_b32 v[28:29], v5 offset1:1
	s_waitcnt lgkmcnt(2)
	v_fma_f32 v3, -v17, v25, v3
	v_fma_f32 v3, -v15, v24, v3
	s_waitcnt lgkmcnt(1)
	v_fma_f32 v3, -v11, v27, v3
	v_fma_f32 v3, -v8, v26, v3
	s_addk_i32 s1, 0xf660
	s_waitcnt lgkmcnt(0)
	v_fma_f32 v3, -v32, v29, v3
	s_lshl_b64 s[8:9], s[4:5], 2
	s_add_i32 s6, s1, s6
	v_mul_f32_e32 v33, v3, v28
	v_mov_b32_e32 v3, s9
	v_add_co_u32_e32 v24, vcc, s8, v46
	s_add_i32 s7, s6, -4
	v_addc_co_u32_e32 v25, vcc, v47, v3, vcc
	v_mov_b32_e32 v3, s7
	global_store_dword v[24:25], v33, off
	ds_read2_b32 v[24:25], v3 offset1:1
	s_add_i32 s7, s6, -12
	v_mov_b32_e32 v3, s7
	s_sub_i32 s7, s6, 20
	v_mov_b32_e32 v5, s7
	s_sub_i32 s7, s6, 28
	v_mov_b32_e32 v30, s7
	ds_read2_b32 v[26:27], v3 offset1:1
	ds_read2_b32 v[28:29], v5 offset1:1
	;; [unrolled: 1-line block ×3, first 2 shown]
	s_waitcnt lgkmcnt(3)
	v_fma_f32 v2, -v4, v25, v2
	v_fma_f32 v0, -v0, v24, v2
	s_waitcnt lgkmcnt(2)
	v_fma_f32 v0, -v1, v27, v0
	v_fma_f32 v0, -v6, v26, v0
	;; [unrolled: 3-line block ×3, first 2 shown]
	s_waitcnt lgkmcnt(0)
	v_fma_f32 v0, -v10, v31, v0
	s_sub_i32 s7, s6, 36
	v_fma_f32 v9, -v12, v30, v0
	v_mov_b32_e32 v0, s7
	ds_read2_b32 v[0:1], v0 offset1:1
	s_sub_i32 s7, s6, 44
	v_mov_b32_e32 v2, s7
	s_sub_i32 s7, s6, 52
	v_mov_b32_e32 v4, s7
	;; [unrolled: 2-line block ×3, first 2 shown]
	ds_read2_b32 v[2:3], v2 offset1:1
	ds_read2_b32 v[4:5], v4 offset1:1
	;; [unrolled: 1-line block ×3, first 2 shown]
	s_waitcnt lgkmcnt(3)
	v_fma_f32 v1, -v13, v1, v9
	v_fma_f32 v0, -v14, v0, v1
	s_waitcnt lgkmcnt(2)
	v_fma_f32 v0, -v16, v3, v0
	v_fma_f32 v0, -v18, v2, v0
	;; [unrolled: 3-line block ×3, first 2 shown]
	s_waitcnt lgkmcnt(0)
	v_fma_f32 v0, -v23, v7, v0
	s_add_i32 s7, s6, 0xffffffbc
	v_fma_f32 v6, -v21, v6, v0
	v_mov_b32_e32 v0, s7
	ds_read2_b32 v[0:1], v0 offset1:1
	s_add_i32 s7, s6, 0xffffffb4
	s_addk_i32 s6, 0xffac
	s_sub_i32 s4, s0, 23
	v_mov_b32_e32 v2, s7
	v_mov_b32_e32 v4, s6
	ds_read2_b32 v[2:3], v2 offset1:1
	ds_read2_b32 v[4:5], v4 offset1:1
	s_lshl_b32 s6, s4, 2
	s_waitcnt lgkmcnt(2)
	v_fma_f32 v1, -v19, v1, v6
	s_add_i32 s1, s1, s6
	v_fma_f32 v6, -v17, v0, v1
	v_mov_b32_e32 v0, s1
	ds_read2_b32 v[0:1], v0 offset1:1
	s_waitcnt lgkmcnt(2)
	v_fma_f32 v3, -v15, v3, v6
	v_fma_f32 v2, -v11, v2, v3
	s_waitcnt lgkmcnt(1)
	v_fma_f32 v2, -v8, v5, v2
	v_fma_f32 v2, -v32, v4, v2
	s_waitcnt lgkmcnt(0)
	v_fma_f32 v1, -v33, v1, v2
	s_lshl_b64 s[4:5], s[4:5], 2
	v_mul_f32_e32 v2, v1, v0
	v_mov_b32_e32 v1, s5
	v_add_co_u32_e32 v0, vcc, s4, v46
	v_addc_co_u32_e32 v1, vcc, v47, v1, vcc
	s_sub_i32 s0, s0, 24
	global_store_dword v[0:1], v2, off
.LBB34_24:
	s_cmp_lt_i32 s0, 0
	s_cbranch_scc1 .LBB34_41
; %bb.25:
	s_and_b32 s1, s0, 3
	s_cmp_eq_u32 s1, 3
	s_mov_b32 s4, s0
	s_cbranch_scc1 .LBB34_30
; %bb.26:
	s_mul_i32 s4, s0, 0x70
	s_lshl_b32 s5, s17, 2
	s_add_i32 s1, s0, 1
	s_add_i32 s4, s4, s5
	s_and_b32 s1, s1, 3
	s_add_i32 s8, s4, -4
	s_mov_b32 s7, 0
	s_mov_b32 s4, s0
	;; [unrolled: 1-line block ×3, first 2 shown]
	s_branch .LBB34_28
.LBB34_27:                              ;   in Loop: Header=BB34_28 Depth=1
	s_mul_i32 s5, s4, 0x74
	v_mov_b32_e32 v3, s5
	ds_read_b32 v3, v3
	s_add_i32 s4, s4, -1
	s_add_i32 s9, s9, 1
	s_addk_i32 s8, 0xff90
	s_cmp_lg_u32 s9, s1
	s_waitcnt lgkmcnt(0)
	v_mul_f32_e32 v2, v2, v3
	global_store_dword v[0:1], v2, off
	s_cbranch_scc0 .LBB34_30
.LBB34_28:                              ; =>This Loop Header: Depth=1
                                        ;     Child Loop BB34_29 Depth 2
	s_mov_b32 s5, s7
	s_lshl_b64 s[10:11], s[4:5], 2
	v_mov_b32_e32 v1, s11
	v_add_co_u32_e32 v0, vcc, s10, v46
	v_addc_co_u32_e32 v1, vcc, v47, v1, vcc
	global_load_dword v2, v[0:1], off
	s_mov_b32 s5, s8
	s_cmp_le_i32 s3, s4
	s_mov_b32 s6, s3
	s_waitcnt vmcnt(0)
	v_mul_f32_e32 v2, s16, v2
	s_cbranch_scc1 .LBB34_27
.LBB34_29:                              ;   Parent Loop BB34_28 Depth=1
                                        ; =>  This Inner Loop Header: Depth=2
	s_lshl_b64 s[10:11], s[6:7], 2
	v_mov_b32_e32 v4, s11
	v_add_co_u32_e32 v3, vcc, s10, v46
	v_addc_co_u32_e32 v4, vcc, v47, v4, vcc
	global_load_dword v3, v[3:4], off
	v_mov_b32_e32 v4, s5
	ds_read_b32 v4, v4
	s_add_i32 s6, s6, -1
	s_add_i32 s5, s5, -4
	s_cmp_gt_i32 s6, s4
	s_waitcnt vmcnt(0) lgkmcnt(0)
	v_fma_f32 v2, -v3, v4, v2
	s_cbranch_scc1 .LBB34_29
	s_branch .LBB34_27
.LBB34_30:
	s_cmp_lt_u32 s0, 3
	s_cbranch_scc1 .LBB34_41
; %bb.31:
	s_mul_i32 s0, s4, 0x70
	s_lshl_b32 s1, s17, 2
	s_add_i32 s0, s0, s1
	s_add_i32 s8, s0, -4
	s_add_i32 s9, s0, 0xffffff8c
	s_add_i32 s10, s0, 0xffffff1c
	;; [unrolled: 1-line block ×3, first 2 shown]
	s_mov_b32 s1, 0
	s_branch .LBB34_33
.LBB34_32:                              ;   in Loop: Header=BB34_33 Depth=1
	s_add_i32 s0, s5, 0xffffff8c
	v_mov_b32_e32 v3, s0
	ds_read_b32 v3, v3
	s_add_i32 s0, s4, -4
	s_addk_i32 s8, 0xfe40
	s_addk_i32 s9, 0xfe40
	;; [unrolled: 1-line block ×4, first 2 shown]
	s_waitcnt lgkmcnt(0)
	v_mul_f32_e32 v2, v2, v3
	s_cmp_lt_i32 s4, 4
	s_mov_b32 s4, s0
	global_store_dword v[0:1], v2, off
	s_cbranch_scc1 .LBB34_41
.LBB34_33:                              ; =>This Loop Header: Depth=1
                                        ;     Child Loop BB34_34 Depth 2
                                        ;     Child Loop BB34_36 Depth 2
	;; [unrolled: 1-line block ×4, first 2 shown]
	s_mov_b32 s5, s1
	s_lshl_b64 s[6:7], s[4:5], 2
	v_mov_b32_e32 v0, s7
	v_add_co_u32_e32 v2, vcc, s6, v46
	v_addc_co_u32_e32 v3, vcc, v47, v0, vcc
	global_load_dword v0, v[2:3], off
	s_mov_b32 s5, s8
	s_cmp_le_i32 s3, s4
	s_mov_b32 s0, s3
	s_waitcnt vmcnt(0)
	v_mul_f32_e32 v4, s16, v0
	s_cbranch_scc1 .LBB34_35
.LBB34_34:                              ;   Parent Loop BB34_33 Depth=1
                                        ; =>  This Inner Loop Header: Depth=2
	s_lshl_b64 s[6:7], s[0:1], 2
	v_mov_b32_e32 v1, s7
	v_add_co_u32_e32 v0, vcc, s6, v46
	v_addc_co_u32_e32 v1, vcc, v47, v1, vcc
	global_load_dword v0, v[0:1], off
	v_mov_b32_e32 v1, s5
	ds_read_b32 v1, v1
	s_add_i32 s0, s0, -1
	s_add_i32 s5, s5, -4
	s_cmp_gt_i32 s0, s4
	s_waitcnt vmcnt(0) lgkmcnt(0)
	v_fma_f32 v4, -v0, v1, v4
	s_cbranch_scc1 .LBB34_34
.LBB34_35:                              ;   in Loop: Header=BB34_33 Depth=1
	s_add_i32 s0, s4, -1
	s_lshl_b64 s[6:7], s[0:1], 2
	v_mov_b32_e32 v1, s7
	v_add_co_u32_e32 v0, vcc, s6, v46
	v_addc_co_u32_e32 v1, vcc, v47, v1, vcc
	global_load_dword v5, v[0:1], off
	s_mul_i32 s5, s4, 0x74
	v_mov_b32_e32 v6, s5
	ds_read_b32 v6, v6
	s_mov_b32 s6, s9
	s_cmp_le_i32 s17, s4
	s_mov_b32 s0, s17
	s_waitcnt lgkmcnt(0)
	v_mul_f32_e32 v4, v4, v6
	global_store_dword v[2:3], v4, off
	s_waitcnt vmcnt(1)
	v_mul_f32_e32 v4, s16, v5
	s_cbranch_scc1 .LBB34_37
.LBB34_36:                              ;   Parent Loop BB34_33 Depth=1
                                        ; =>  This Inner Loop Header: Depth=2
	s_add_i32 s0, s0, -1
	s_lshl_b64 s[12:13], s[0:1], 2
	v_mov_b32_e32 v3, s13
	v_add_co_u32_e32 v2, vcc, s12, v46
	v_addc_co_u32_e32 v3, vcc, v47, v3, vcc
	global_load_dword v2, v[2:3], off
	v_mov_b32_e32 v3, s6
	ds_read_b32 v3, v3
	s_add_i32 s6, s6, -4
	s_cmp_gt_i32 s0, s4
	s_waitcnt vmcnt(0) lgkmcnt(0)
	v_fma_f32 v4, -v2, v3, v4
	s_cbranch_scc1 .LBB34_36
.LBB34_37:                              ;   in Loop: Header=BB34_33 Depth=1
	s_add_i32 s6, s4, -2
	s_mov_b32 s7, s1
	s_lshl_b64 s[12:13], s[6:7], 2
	v_mov_b32_e32 v3, s13
	v_add_co_u32_e32 v2, vcc, s12, v46
	v_addc_co_u32_e32 v3, vcc, v47, v3, vcc
	global_load_dword v5, v[2:3], off
	s_addk_i32 s5, 0xff8c
	v_mov_b32_e32 v6, s5
	ds_read_b32 v6, v6
	s_mov_b32 s7, s10
	s_cmp_le_i32 s3, s6
	s_mov_b32 s0, s3
	s_waitcnt lgkmcnt(0)
	v_mul_f32_e32 v4, v4, v6
	global_store_dword v[0:1], v4, off
	s_waitcnt vmcnt(1)
	v_mul_f32_e32 v4, s16, v5
	s_cbranch_scc1 .LBB34_39
.LBB34_38:                              ;   Parent Loop BB34_33 Depth=1
                                        ; =>  This Inner Loop Header: Depth=2
	s_lshl_b64 s[12:13], s[0:1], 2
	v_mov_b32_e32 v1, s13
	v_add_co_u32_e32 v0, vcc, s12, v46
	v_addc_co_u32_e32 v1, vcc, v47, v1, vcc
	global_load_dword v0, v[0:1], off
	v_mov_b32_e32 v1, s7
	ds_read_b32 v1, v1
	s_add_i32 s0, s0, -1
	s_add_i32 s7, s7, -4
	s_cmp_gt_i32 s0, s6
	s_waitcnt vmcnt(0) lgkmcnt(0)
	v_fma_f32 v4, -v0, v1, v4
	s_cbranch_scc1 .LBB34_38
.LBB34_39:                              ;   in Loop: Header=BB34_33 Depth=1
	s_add_i32 s6, s4, -3
	s_mov_b32 s7, s1
	s_lshl_b64 s[12:13], s[6:7], 2
	v_mov_b32_e32 v1, s13
	v_add_co_u32_e32 v0, vcc, s12, v46
	v_addc_co_u32_e32 v1, vcc, v47, v1, vcc
	global_load_dword v5, v[0:1], off
	s_addk_i32 s5, 0xff8c
	v_mov_b32_e32 v6, s5
	ds_read_b32 v6, v6
	s_mov_b32 s7, s11
	s_cmp_le_i32 s3, s6
	s_mov_b32 s0, s3
	s_waitcnt lgkmcnt(0)
	v_mul_f32_e32 v4, v4, v6
	global_store_dword v[2:3], v4, off
	s_waitcnt vmcnt(1)
	v_mul_f32_e32 v2, s16, v5
	s_cbranch_scc1 .LBB34_32
.LBB34_40:                              ;   Parent Loop BB34_33 Depth=1
                                        ; =>  This Inner Loop Header: Depth=2
	s_lshl_b64 s[12:13], s[0:1], 2
	v_mov_b32_e32 v4, s13
	v_add_co_u32_e32 v3, vcc, s12, v46
	v_addc_co_u32_e32 v4, vcc, v47, v4, vcc
	global_load_dword v3, v[3:4], off
	v_mov_b32_e32 v4, s7
	ds_read_b32 v4, v4
	s_add_i32 s0, s0, -1
	s_add_i32 s7, s7, -4
	s_cmp_gt_i32 s0, s6
	s_waitcnt vmcnt(0) lgkmcnt(0)
	v_fma_f32 v2, -v3, v4, v2
	s_cbranch_scc1 .LBB34_40
	s_branch .LBB34_32
.LBB34_41:
	s_mov_b64 s[0:1], 0
.LBB34_42:
	s_and_b64 vcc, exec, s[0:1]
	s_cbranch_vccz .LBB34_56
; %bb.43:
	s_cmp_gt_i32 s2, 27
	s_cselect_b64 s[0:1], -1, 0
	s_and_b64 vcc, exec, s[0:1]
	s_cbranch_vccz .LBB34_45
; %bb.44:
	global_load_dwordx4 v[16:19], v[46:47], off offset:48
	global_load_dwordx4 v[8:11], v[46:47], off offset:32
	;; [unrolled: 1-line block ×3, first 2 shown]
	global_load_dwordx4 v[0:3], v[46:47], off
	v_mov_b32_e32 v72, 0
	global_load_dwordx4 v[12:15], v[46:47], off offset:96
	global_load_dwordx4 v[42:45], v[46:47], off offset:80
	;; [unrolled: 1-line block ×3, first 2 shown]
	ds_read_b128 v[24:27], v72
	ds_read_b128 v[28:31], v72 offset:16
	s_movk_i32 s2, 0x200
	ds_read2_b64 v[32:35], v72 offset0:29 offset1:30
	ds_read_b128 v[48:51], v72 offset:928
	ds_read2_b64 v[52:55], v72 offset0:145 offset1:146
	ds_read_b128 v[56:59], v72 offset:1392
	ds_read_b128 v[73:76], v72 offset:1424
	;; [unrolled: 1-line block ×4, first 2 shown]
	s_waitcnt vmcnt(3)
	v_mul_f32_e32 v0, s16, v0
	s_waitcnt lgkmcnt(8)
	v_mul_f32_e32 v0, v0, v24
	v_mul_f32_e32 v24, v0, v25
	v_fma_f32 v1, s16, v1, -v24
	ds_read2_b32 v[24:25], v72 offset0:29 offset1:30
	s_waitcnt lgkmcnt(0)
	v_mul_f32_e32 v1, v1, v24
	v_mul_f32_e32 v24, v0, v26
	v_fma_f32 v2, s16, v2, -v24
	v_mul_f32_e32 v24, v0, v27
	v_fma_f32 v2, -v1, v25, v2
	v_fma_f32 v3, s16, v3, -v24
	ds_read2_b32 v[24:25], v72 offset0:31 offset1:32
	ds_read2_b32 v[26:27], v72 offset0:87 offset1:88
	v_mul_f32_e32 v2, v2, v32
	s_waitcnt lgkmcnt(1)
	v_fma_f32 v3, -v1, v24, v3
	v_mul_f32_e32 v24, v0, v28
	v_fma_f32 v4, s16, v4, -v24
	v_fma_f32 v3, -v2, v33, v3
	v_fma_f32 v4, -v1, v25, v4
	s_waitcnt lgkmcnt(0)
	v_mul_f32_e32 v3, v3, v26
	v_fma_f32 v4, -v2, v34, v4
	v_fma_f32 v4, -v3, v27, v4
	ds_read_b128 v[24:27], v72 offset:464
	global_store_dwordx4 v[46:47], v[0:3], off
	s_waitcnt lgkmcnt(0)
	v_mul_f32_e32 v4, v4, v24
	v_mul_f32_e32 v24, v0, v29
	ds_read2_b32 v[28:29], v72 offset0:33 offset1:34
	v_fma_f32 v5, s16, v5, -v24
	s_waitcnt lgkmcnt(0)
	v_fma_f32 v5, -v1, v28, v5
	v_fma_f32 v5, -v2, v35, v5
	ds_read2_b32 v[35:36], v72 offset0:89 offset1:90
	s_waitcnt lgkmcnt(0)
	v_fma_f32 v5, -v3, v35, v5
	v_fma_f32 v5, -v4, v25, v5
	ds_read2_b32 v[24:25], v72 offset0:145 offset1:146
	ds_read2_b64 v[32:35], v72 offset0:31 offset1:32
	s_waitcnt lgkmcnt(1)
	v_mul_f32_e32 v5, v5, v24
	v_mul_f32_e32 v24, v0, v30
	v_fma_f32 v6, s16, v6, -v24
	v_fma_f32 v6, -v1, v29, v6
	ds_read2_b32 v[28:29], v72 offset0:35 offset1:36
	s_waitcnt lgkmcnt(1)
	v_fma_f32 v6, -v2, v32, v6
	v_fma_f32 v6, -v3, v36, v6
	ds_read2_b64 v[36:39], v72 offset0:87 offset1:88
	v_mul_f32_e32 v24, v0, v31
	ds_read2_b32 v[30:31], v72 offset0:91 offset1:92
	v_fma_f32 v7, s16, v7, -v24
	s_waitcnt lgkmcnt(2)
	v_fma_f32 v7, -v1, v28, v7
	v_fma_f32 v7, -v2, v33, v7
	;; [unrolled: 1-line block ×3, first 2 shown]
	s_waitcnt lgkmcnt(0)
	v_fma_f32 v7, -v3, v30, v7
	v_fma_f32 v6, -v5, v25, v6
	v_fma_f32 v7, -v4, v27, v7
	ds_read2_b32 v[32:33], v72 offset0:147 offset1:148
	ds_read_b128 v[24:27], v72 offset:32
	v_mul_f32_e32 v6, v6, v36
	s_waitcnt lgkmcnt(1)
	v_fma_f32 v7, -v5, v32, v7
	s_waitcnt lgkmcnt(0)
	v_mul_f32_e32 v24, v0, v24
	v_fma_f32 v8, s16, v8, -v24
	v_fma_f32 v8, -v1, v29, v8
	v_fma_f32 v8, -v2, v34, v8
	v_mul_f32_e32 v24, v0, v25
	v_fma_f32 v8, -v3, v31, v8
	ds_read_b128 v[28:31], v72 offset:480
	v_fma_f32 v9, s16, v9, -v24
	ds_read2_b32 v[24:25], v72 offset0:37 offset1:38
	v_fma_f32 v7, -v6, v37, v7
	ds_read2_b32 v[36:37], v72 offset0:203 offset1:204
	s_waitcnt lgkmcnt(2)
	v_fma_f32 v8, -v4, v28, v8
	v_fma_f32 v8, -v5, v33, v8
	s_waitcnt lgkmcnt(1)
	v_fma_f32 v9, -v1, v24, v9
	v_fma_f32 v9, -v2, v35, v9
	s_waitcnt lgkmcnt(0)
	v_mul_f32_e32 v7, v7, v36
	ds_read2_b32 v[35:36], v72 offset0:93 offset1:94
	v_fma_f32 v8, -v6, v38, v8
	v_fma_f32 v8, -v7, v37, v8
	v_mul_f32_e32 v8, v8, v48
	v_mov_b32_e32 v24, 0x414
	s_waitcnt lgkmcnt(0)
	v_fma_f32 v9, -v3, v35, v9
	v_fma_f32 v9, -v4, v29, v9
	ds_read2_b32 v[28:29], v72 offset0:149 offset1:150
	ds_read2_b64 v[32:35], v72 offset0:33 offset1:34
	global_store_dwordx4 v[46:47], v[4:7], off offset:16
	s_waitcnt lgkmcnt(1)
	v_fma_f32 v9, -v5, v28, v9
	v_fma_f32 v9, -v6, v39, v9
	ds_read2_b32 v[39:40], v72 offset0:205 offset1:206
	s_waitcnt lgkmcnt(0)
	v_fma_f32 v9, -v7, v39, v9
	v_fma_f32 v9, -v8, v49, v9
	ds_read2_b32 v[48:49], v24 offset1:1
	v_mul_f32_e32 v24, v0, v26
	v_fma_f32 v10, s16, v10, -v24
	v_fma_f32 v10, -v1, v25, v10
	v_fma_f32 v10, -v2, v32, v10
	v_fma_f32 v10, -v3, v36, v10
	ds_read2_b64 v[36:39], v72 offset0:89 offset1:90
	v_mul_f32_e32 v24, v0, v27
	ds_read2_b32 v[27:28], v72 offset0:39 offset1:40
	v_fma_f32 v10, -v4, v30, v10
	v_fma_f32 v10, -v5, v29, v10
	ds_read2_b32 v[29:30], v72 offset0:95 offset1:96
	s_waitcnt lgkmcnt(2)
	v_fma_f32 v10, -v6, v36, v10
	v_fma_f32 v11, s16, v11, -v24
	v_mov_b32_e32 v24, 0x41c
	v_fma_f32 v10, -v7, v40, v10
	ds_read2_b32 v[40:41], v24 offset1:1
	s_waitcnt lgkmcnt(2)
	v_fma_f32 v11, -v1, v27, v11
	v_fma_f32 v11, -v2, v33, v11
	s_waitcnt lgkmcnt(1)
	v_fma_f32 v11, -v3, v29, v11
	v_fma_f32 v11, -v4, v31, v11
	ds_read2_b32 v[31:32], v72 offset0:151 offset1:152
	v_mul_f32_e32 v9, v9, v48
	v_fma_f32 v10, -v8, v50, v10
	v_fma_f32 v10, -v9, v49, v10
	v_mov_b32_e32 v24, 0x4fc
	s_waitcnt lgkmcnt(0)
	v_fma_f32 v11, -v5, v31, v11
	v_fma_f32 v11, -v6, v37, v11
	ds_read2_b32 v[36:37], v72 offset0:207 offset1:208
	v_mul_f32_e32 v10, v10, v52
	s_waitcnt lgkmcnt(0)
	v_fma_f32 v11, -v7, v36, v11
	v_fma_f32 v11, -v8, v51, v11
	ds_read2_b32 v[51:52], v24 offset1:1
	ds_read_b128 v[24:27], v72 offset:48
	v_fma_f32 v11, -v9, v40, v11
	v_fma_f32 v11, -v10, v53, v11
	s_waitcnt lgkmcnt(1)
	v_mul_f32_e32 v11, v11, v51
	ds_read_b128 v[48:51], v72 offset:944
	s_waitcnt lgkmcnt(1)
	v_mul_f32_e32 v24, v0, v24
	v_fma_f32 v16, s16, v16, -v24
	v_fma_f32 v16, -v1, v28, v16
	v_fma_f32 v16, -v2, v34, v16
	v_mul_f32_e32 v24, v0, v25
	v_fma_f32 v16, -v3, v30, v16
	ds_read_b128 v[28:31], v72 offset:496
	v_fma_f32 v17, s16, v17, -v24
	ds_read2_b32 v[24:25], v72 offset0:41 offset1:42
	global_store_dwordx4 v[46:47], v[8:11], off offset:32
	s_waitcnt lgkmcnt(1)
	v_fma_f32 v16, -v4, v28, v16
	v_fma_f32 v16, -v5, v32, v16
	s_waitcnt lgkmcnt(0)
	v_fma_f32 v17, -v1, v24, v17
	v_fma_f32 v17, -v2, v35, v17
	ds_read2_b32 v[35:36], v72 offset0:97 offset1:98
	v_fma_f32 v16, -v6, v38, v16
	v_fma_f32 v16, -v7, v37, v16
	v_mov_b32_e32 v24, 0x424
	v_fma_f32 v16, -v8, v48, v16
	s_waitcnt lgkmcnt(0)
	v_fma_f32 v17, -v3, v35, v17
	v_fma_f32 v17, -v4, v29, v17
	ds_read2_b32 v[28:29], v72 offset0:153 offset1:154
	v_fma_f32 v16, -v9, v41, v16
	v_fma_f32 v16, -v10, v54, v16
	;; [unrolled: 1-line block ×3, first 2 shown]
	ds_read2_b64 v[32:35], v72 offset0:35 offset1:36
	s_waitcnt lgkmcnt(1)
	v_fma_f32 v17, -v5, v28, v17
	v_fma_f32 v17, -v6, v39, v17
	ds_read2_b32 v[39:40], v72 offset0:209 offset1:210
	v_mul_f32_e32 v16, v16, v56
	s_waitcnt lgkmcnt(0)
	v_fma_f32 v17, -v7, v39, v17
	v_fma_f32 v17, -v8, v49, v17
	ds_read2_b32 v[48:49], v24 offset1:1
	v_mov_b32_e32 v24, 0x504
	s_waitcnt lgkmcnt(0)
	v_fma_f32 v17, -v9, v48, v17
	v_fma_f32 v17, -v10, v55, v17
	ds_read2_b32 v[55:56], v24 offset1:1
	v_mov_b32_e32 v24, 0x5e4
	ds_read2_b32 v[60:61], v24 offset1:1
	s_waitcnt lgkmcnt(1)
	v_fma_f32 v17, -v11, v55, v17
	ds_read2_b64 v[52:55], v72 offset0:147 offset1:148
	v_mul_f32_e32 v24, v0, v26
	v_fma_f32 v18, s16, v18, -v24
	v_fma_f32 v18, -v1, v25, v18
	v_fma_f32 v18, -v2, v32, v18
	;; [unrolled: 1-line block ×3, first 2 shown]
	ds_read2_b64 v[36:39], v72 offset0:91 offset1:92
	v_mul_f32_e32 v24, v0, v27
	ds_read2_b32 v[27:28], v72 offset0:43 offset1:44
	v_fma_f32 v18, -v4, v30, v18
	v_fma_f32 v18, -v5, v29, v18
	ds_read2_b32 v[29:30], v72 offset0:99 offset1:100
	s_waitcnt lgkmcnt(2)
	v_fma_f32 v18, -v6, v36, v18
	v_fma_f32 v19, s16, v19, -v24
	v_mov_b32_e32 v24, 0x42c
	v_fma_f32 v18, -v7, v40, v18
	ds_read2_b32 v[40:41], v24 offset1:1
	s_waitcnt lgkmcnt(2)
	v_fma_f32 v19, -v1, v27, v19
	v_fma_f32 v19, -v2, v33, v19
	s_waitcnt lgkmcnt(1)
	v_fma_f32 v19, -v3, v29, v19
	v_fma_f32 v19, -v4, v31, v19
	ds_read2_b32 v[31:32], v72 offset0:155 offset1:156
	v_fma_f32 v18, -v8, v50, v18
	v_fma_f32 v18, -v9, v49, v18
	v_fma_f32 v18, -v10, v52, v18
	v_fma_f32 v17, -v16, v57, v17
	s_waitcnt lgkmcnt(0)
	v_fma_f32 v19, -v5, v31, v19
	v_fma_f32 v19, -v6, v37, v19
	ds_read2_b32 v[36:37], v72 offset0:211 offset1:212
	v_fma_f32 v18, -v11, v56, v18
	v_mul_f32_e32 v17, v17, v60
	v_fma_f32 v18, -v16, v58, v18
	v_mov_b32_e32 v24, 0x50c
	s_waitcnt lgkmcnt(0)
	v_fma_f32 v19, -v7, v36, v19
	v_fma_f32 v18, -v17, v61, v18
	ds_read2_b64 v[60:63], v72 offset0:203 offset1:204
	v_fma_f32 v19, -v8, v51, v19
	ds_read2_b32 v[51:52], v24 offset1:1
	v_fma_f32 v19, -v9, v40, v19
	v_fma_f32 v19, -v10, v53, v19
	v_mov_b32_e32 v24, 0x5ec
	s_waitcnt lgkmcnt(1)
	v_mul_f32_e32 v18, v18, v60
	s_waitcnt lgkmcnt(0)
	v_fma_f32 v19, -v11, v51, v19
	v_fma_f32 v19, -v16, v59, v19
	ds_read2_b32 v[59:60], v24 offset1:1
	ds_read_b128 v[48:51], v72 offset:960
	v_mov_b32_e32 v24, 0x6cc
	ds_read2_b32 v[64:65], v24 offset1:1
	s_waitcnt lgkmcnt(2)
	v_fma_f32 v19, -v17, v59, v19
	ds_read_b128 v[56:59], v72 offset:1408
	ds_read_b128 v[24:27], v72 offset:64
	v_fma_f32 v19, -v18, v61, v19
	s_waitcnt lgkmcnt(2)
	v_mul_f32_e32 v19, v19, v64
	global_store_dwordx4 v[46:47], v[16:19], off offset:48
	s_waitcnt lgkmcnt(0)
	v_mul_f32_e32 v24, v0, v24
	s_waitcnt vmcnt(4)
	v_fma_f32 v20, s16, v20, -v24
	v_fma_f32 v20, -v1, v28, v20
	v_fma_f32 v20, -v2, v34, v20
	v_mul_f32_e32 v24, v0, v25
	v_fma_f32 v20, -v3, v30, v20
	ds_read_b128 v[28:31], v72 offset:512
	v_fma_f32 v21, s16, v21, -v24
	ds_read2_b32 v[24:25], v72 offset0:45 offset1:46
	s_waitcnt lgkmcnt(1)
	v_fma_f32 v20, -v4, v28, v20
	v_fma_f32 v20, -v5, v32, v20
	s_waitcnt lgkmcnt(0)
	v_fma_f32 v21, -v1, v24, v21
	v_fma_f32 v21, -v2, v35, v21
	ds_read2_b32 v[35:36], v72 offset0:101 offset1:102
	v_fma_f32 v20, -v6, v38, v20
	v_fma_f32 v20, -v7, v37, v20
	;; [unrolled: 1-line block ×3, first 2 shown]
	v_mov_b32_e32 v24, 0x434
	s_waitcnt lgkmcnt(0)
	v_fma_f32 v21, -v3, v35, v21
	v_fma_f32 v21, -v4, v29, v21
	ds_read2_b32 v[28:29], v72 offset0:157 offset1:158
	v_fma_f32 v20, -v9, v41, v20
	v_fma_f32 v20, -v10, v54, v20
	;; [unrolled: 1-line block ×4, first 2 shown]
	s_waitcnt lgkmcnt(0)
	v_fma_f32 v21, -v5, v28, v21
	v_fma_f32 v21, -v6, v39, v21
	ds_read2_b32 v[39:40], v72 offset0:213 offset1:214
	v_fma_f32 v20, -v17, v60, v20
	v_fma_f32 v20, -v18, v62, v20
	ds_read2_b64 v[32:35], v72 offset0:37 offset1:38
	v_fma_f32 v20, -v19, v65, v20
	s_waitcnt lgkmcnt(1)
	v_fma_f32 v21, -v7, v39, v21
	v_fma_f32 v21, -v8, v49, v21
	ds_read2_b32 v[48:49], v24 offset1:1
	v_mov_b32_e32 v24, 0x514
	ds_read_b128 v[64:67], v72 offset:1856
	s_waitcnt lgkmcnt(1)
	v_fma_f32 v21, -v9, v48, v21
	v_fma_f32 v21, -v10, v55, v21
	ds_read2_b32 v[55:56], v24 offset1:1
	v_mov_b32_e32 v24, 0x5f4
	ds_read2_b32 v[60:61], v24 offset1:1
	s_waitcnt lgkmcnt(2)
	v_mul_f32_e32 v20, v20, v64
	s_waitcnt lgkmcnt(1)
	v_fma_f32 v21, -v11, v55, v21
	v_fma_f32 v21, -v16, v57, v21
	ds_read2_b64 v[52:55], v72 offset0:149 offset1:150
	s_waitcnt lgkmcnt(1)
	v_fma_f32 v21, -v17, v60, v21
	v_mov_b32_e32 v24, 0x6d4
	v_fma_f32 v21, -v18, v63, v21
	ds_read2_b32 v[63:64], v24 offset1:1
	v_mov_b32_e32 v24, 0x7b4
	ds_read2_b32 v[68:69], v24 offset1:1
	v_mul_f32_e32 v24, v0, v26
	v_fma_f32 v22, s16, v22, -v24
	v_fma_f32 v22, -v1, v25, v22
	v_fma_f32 v22, -v2, v32, v22
	;; [unrolled: 1-line block ×3, first 2 shown]
	ds_read2_b64 v[36:39], v72 offset0:93 offset1:94
	v_fma_f32 v22, -v4, v30, v22
	v_fma_f32 v22, -v5, v29, v22
	s_waitcnt lgkmcnt(2)
	v_fma_f32 v21, -v19, v63, v21
	v_fma_f32 v21, -v20, v65, v21
	s_waitcnt lgkmcnt(0)
	v_fma_f32 v22, -v6, v36, v22
	v_fma_f32 v22, -v7, v40, v22
	;; [unrolled: 1-line block ×8, first 2 shown]
	ds_read2_b64 v[60:63], v72 offset0:205 offset1:206
	v_mul_f32_e32 v21, v21, v68
	v_mov_b32_e32 v24, 0x828
	ds_read2_b32 v[29:30], v72 offset0:215 offset1:216
	s_waitcnt lgkmcnt(1)
	v_fma_f32 v22, -v18, v60, v22
	v_fma_f32 v22, -v19, v64, v22
	;; [unrolled: 1-line block ×4, first 2 shown]
	ds_read2_b64 v[68:71], v24 offset1:1
	v_mul_f32_e32 v24, v0, v27
	v_fma_f32 v25, s16, v23, -v24
	ds_read2_b32 v[23:24], v72 offset0:47 offset1:48
	ds_read2_b32 v[27:28], v72 offset0:159 offset1:160
	s_waitcnt lgkmcnt(2)
	v_mul_f32_e32 v22, v22, v68
	s_waitcnt lgkmcnt(1)
	v_fma_f32 v23, -v1, v23, v25
	ds_read2_b32 v[25:26], v72 offset0:103 offset1:104
	v_fma_f32 v23, -v2, v33, v23
	s_waitcnt lgkmcnt(0)
	v_fma_f32 v23, -v3, v25, v23
	v_mov_b32_e32 v25, 0x43c
	v_fma_f32 v23, -v4, v31, v23
	ds_read2_b32 v[31:32], v25 offset1:1
	v_fma_f32 v23, -v5, v27, v23
	v_mov_b32_e32 v25, 0x51c
	v_fma_f32 v23, -v6, v37, v23
	ds_read2_b32 v[36:37], v25 offset1:1
	;; [unrolled: 4-line block ×3, first 2 shown]
	s_waitcnt lgkmcnt(2)
	v_fma_f32 v23, -v9, v31, v23
	v_mov_b32_e32 v25, 0x6dc
	v_fma_f32 v23, -v10, v53, v23
	ds_read2_b32 v[51:52], v25 offset1:1
	s_waitcnt lgkmcnt(2)
	v_fma_f32 v23, -v11, v36, v23
	v_fma_f32 v23, -v16, v59, v23
	s_waitcnt lgkmcnt(1)
	v_fma_f32 v23, -v17, v40, v23
	v_fma_f32 v23, -v18, v61, v23
	v_mov_b32_e32 v25, 0x7bc
	s_waitcnt lgkmcnt(0)
	v_fma_f32 v23, -v19, v51, v23
	ds_read2_b32 v[59:60], v25 offset1:1
	ds_read_b128 v[48:51], v72 offset:80
	v_mov_b32_e32 v25, 0x89c
	v_fma_f32 v23, -v20, v67, v23
	ds_read2_b32 v[67:68], v25 offset1:1
	s_waitcnt lgkmcnt(2)
	v_fma_f32 v23, -v21, v59, v23
	ds_read_b128 v[56:59], v72 offset:528
	s_waitcnt lgkmcnt(2)
	v_mul_f32_e32 v25, v0, v48
	v_fma_f32 v25, s16, v42, -v25
	v_fma_f32 v24, -v1, v24, v25
	v_fma_f32 v23, -v22, v69, v23
	;; [unrolled: 1-line block ×3, first 2 shown]
	v_mul_f32_e32 v25, v0, v49
	s_waitcnt lgkmcnt(1)
	v_mul_f32_e32 v23, v23, v67
	v_fma_f32 v24, -v3, v26, v24
	ds_read_b128 v[64:67], v72 offset:976
	v_fma_f32 v27, s16, v43, -v25
	ds_read2_b32 v[25:26], v72 offset0:49 offset1:50
	s_waitcnt lgkmcnt(2)
	v_fma_f32 v24, -v4, v56, v24
	v_fma_f32 v24, -v5, v28, v24
	;; [unrolled: 1-line block ×4, first 2 shown]
	s_waitcnt lgkmcnt(0)
	v_fma_f32 v25, -v1, v25, v27
	ds_read2_b32 v[27:28], v72 offset0:105 offset1:106
	ds_read2_b32 v[29:30], v72 offset0:161 offset1:162
	v_fma_f32 v24, -v8, v64, v24
	v_fma_f32 v24, -v9, v32, v24
	;; [unrolled: 1-line block ×3, first 2 shown]
	ds_read2_b32 v[31:32], v72 offset0:217 offset1:218
	v_fma_f32 v24, -v10, v54, v24
	s_waitcnt lgkmcnt(2)
	v_fma_f32 v25, -v3, v27, v25
	v_mov_b32_e32 v27, 0x444
	v_fma_f32 v24, -v11, v37, v24
	v_fma_f32 v25, -v4, v57, v25
	ds_read2_b32 v[33:34], v27 offset1:1
	v_fma_f32 v24, -v16, v73, v24
	s_waitcnt lgkmcnt(2)
	v_fma_f32 v25, -v5, v29, v25
	v_mov_b32_e32 v27, 0x524
	v_fma_f32 v24, -v17, v41, v24
	v_fma_f32 v25, -v6, v39, v25
	ds_read2_b32 v[48:49], v27 offset1:1
	;; [unrolled: 7-line block ×3, first 2 shown]
	s_waitcnt lgkmcnt(2)
	v_fma_f32 v25, -v9, v33, v25
	v_fma_f32 v25, -v10, v55, v25
	v_mov_b32_e32 v27, 0x6e4
	s_waitcnt lgkmcnt(1)
	v_fma_f32 v25, -v11, v48, v25
	ds_read2_b32 v[54:55], v27 offset1:1
	v_mov_b32_e32 v27, 0x7c4
	v_fma_f32 v24, -v20, v77, v24
	v_fma_f32 v25, -v16, v74, v25
	ds_read2_b32 v[56:57], v27 offset1:1
	v_mov_b32_e32 v27, 0x8a4
	v_fma_f32 v24, -v21, v60, v24
	s_waitcnt lgkmcnt(2)
	v_fma_f32 v25, -v17, v52, v25
	ds_read2_b32 v[60:61], v27 offset1:1
	v_mov_b32_e32 v27, 0x984
	v_fma_f32 v25, -v18, v63, v25
	ds_read2_b32 v[62:63], v27 offset1:1
	v_mul_f32_e32 v27, v0, v50
	v_fma_f32 v27, s16, v44, -v27
	ds_read2_b64 v[41:44], v72 offset0:39 offset1:40
	v_fma_f32 v26, -v1, v26, v27
	v_mov_b32_e32 v27, 0x838
	s_waitcnt lgkmcnt(4)
	v_fma_f32 v25, -v19, v54, v25
	v_fma_f32 v25, -v20, v78, v25
	s_waitcnt lgkmcnt(0)
	v_fma_f32 v26, -v2, v41, v26
	ds_read2_b64 v[38:41], v72 offset0:95 offset1:96
	v_fma_f32 v26, -v3, v28, v26
	v_fma_f32 v26, -v4, v58, v26
	v_fma_f32 v26, -v5, v30, v26
	v_fma_f32 v24, -v22, v70, v24
	s_waitcnt lgkmcnt(0)
	v_fma_f32 v26, -v6, v38, v26
	ds_read2_b64 v[35:38], v72 offset0:151 offset1:152
	v_fma_f32 v26, -v7, v32, v26
	v_fma_f32 v26, -v8, v66, v26
	;; [unrolled: 7-line block ×3, first 2 shown]
	v_fma_f32 v26, -v17, v53, v26
	v_fma_f32 v24, -v23, v68, v24
	s_waitcnt lgkmcnt(0)
	v_fma_f32 v26, -v18, v32, v26
	ds_read2_b64 v[29:32], v27 offset1:1
	v_fma_f32 v26, -v19, v55, v26
	v_fma_f32 v26, -v20, v79, v26
	;; [unrolled: 1-line block ×4, first 2 shown]
	v_mul_f32_e32 v24, v24, v81
	v_fma_f32 v25, -v23, v60, v25
	ds_read2_b32 v[54:55], v72 offset0:219 offset1:220
	s_waitcnt lgkmcnt(1)
	v_fma_f32 v26, -v22, v29, v26
	v_fma_f32 v25, -v24, v82, v25
	;; [unrolled: 1-line block ×3, first 2 shown]
	v_mul_f32_e32 v25, v25, v62
	v_fma_f32 v26, -v24, v83, v26
	v_fma_f32 v48, -v25, v63, v26
	v_mov_b32_e32 v26, 0x9f8
	ds_read2_b64 v[26:29], v26 offset1:1
	ds_read2_b32 v[52:53], v72 offset0:163 offset1:164
	global_store_dwordx4 v[46:47], v[20:23], off offset:64
	s_waitcnt lgkmcnt(1)
	v_mul_f32_e32 v26, v48, v26
	v_mul_f32_e32 v48, v0, v51
	v_fma_f32 v45, s16, v45, -v48
	ds_read2_b32 v[48:49], v72 offset0:51 offset1:52
	ds_read2_b32 v[50:51], v72 offset0:107 offset1:108
	s_waitcnt lgkmcnt(1)
	v_fma_f32 v45, -v1, v48, v45
	v_fma_f32 v42, -v2, v42, v45
	s_waitcnt lgkmcnt(0)
	v_fma_f32 v42, -v3, v50, v42
	v_fma_f32 v42, -v4, v59, v42
	;; [unrolled: 1-line block ×4, first 2 shown]
	v_mov_b32_e32 v42, 0x44c
	ds_read2_b32 v[56:57], v42 offset1:1
	v_fma_f32 v39, -v7, v54, v39
	v_fma_f32 v39, -v8, v67, v39
	s_waitcnt lgkmcnt(0)
	v_fma_f32 v39, -v9, v56, v39
	v_fma_f32 v36, -v10, v36, v39
	v_mov_b32_e32 v39, 0x52c
	ds_read2_b32 v[58:59], v39 offset1:1
	v_mov_b32_e32 v39, 0x60c
	ds_read2_b32 v[60:61], v39 offset1:1
	s_waitcnt lgkmcnt(1)
	v_fma_f32 v36, -v11, v58, v36
	v_fma_f32 v36, -v16, v76, v36
	s_waitcnt lgkmcnt(0)
	v_fma_f32 v36, -v17, v60, v36
	v_fma_f32 v33, -v18, v33, v36
	v_mov_b32_e32 v36, 0x6ec
	ds_read2_b32 v[62:63], v36 offset1:1
	v_mov_b32_e32 v36, 0x7cc
	ds_read2_b32 v[64:65], v36 offset1:1
	ds_read_b128 v[73:76], v72 offset:96
	s_waitcnt lgkmcnt(2)
	v_fma_f32 v33, -v19, v62, v33
	v_fma_f32 v33, -v20, v80, v33
	s_waitcnt lgkmcnt(1)
	v_fma_f32 v33, -v21, v64, v33
	v_fma_f32 v30, -v22, v30, v33
	v_mov_b32_e32 v33, 0x8ac
	ds_read2_b32 v[66:67], v33 offset1:1
	v_mov_b32_e32 v33, 0x98c
	ds_read2_b32 v[68:69], v33 offset1:1
	s_waitcnt lgkmcnt(1)
	v_fma_f32 v30, -v23, v66, v30
	v_fma_f32 v30, -v24, v84, v30
	s_waitcnt lgkmcnt(0)
	v_fma_f32 v30, -v25, v68, v30
	v_fma_f32 v27, -v26, v27, v30
	v_mov_b32_e32 v30, 0xa6c
	ds_read2_b32 v[70:71], v30 offset1:1
	v_mul_f32_e32 v30, v0, v73
	v_fma_f32 v12, s16, v12, -v30
	v_fma_f32 v12, -v1, v49, v12
	v_fma_f32 v12, -v2, v43, v12
	;; [unrolled: 1-line block ×3, first 2 shown]
	ds_read_b128 v[48:51], v72 offset:544
	s_waitcnt lgkmcnt(1)
	v_mul_f32_e32 v27, v27, v70
	global_store_dwordx4 v[46:47], v[24:27], off offset:80
	s_waitcnt lgkmcnt(0)
	v_fma_f32 v12, -v4, v48, v12
	v_fma_f32 v12, -v5, v53, v12
	v_fma_f32 v12, -v6, v40, v12
	v_fma_f32 v12, -v7, v55, v12
	ds_read_b128 v[52:55], v72 offset:992
	ds_read2_b32 v[39:40], v72 offset0:221 offset1:222
	s_waitcnt lgkmcnt(1)
	v_fma_f32 v12, -v8, v52, v12
	v_fma_f32 v12, -v9, v57, v12
	v_fma_f32 v12, -v10, v37, v12
	v_fma_f32 v12, -v11, v59, v12
	ds_read_b128 v[56:59], v72 offset:1440
	ds_read2_b32 v[36:37], v72 offset0:165 offset1:166
	;; [unrolled: 7-line block ×4, first 2 shown]
	s_waitcnt lgkmcnt(1)
	v_fma_f32 v12, -v24, v64, v12
	v_fma_f32 v12, -v25, v69, v12
	;; [unrolled: 1-line block ×3, first 2 shown]
	v_mul_f32_e32 v28, v0, v74
	v_fma_f32 v13, s16, v13, -v28
	s_waitcnt lgkmcnt(0)
	v_fma_f32 v13, -v1, v30, v13
	v_fma_f32 v13, -v2, v44, v13
	;; [unrolled: 1-line block ×5, first 2 shown]
	v_mov_b32_e32 v28, 0x454
	v_fma_f32 v13, -v6, v41, v13
	ds_read2_b32 v[41:42], v28 offset1:1
	v_fma_f32 v13, -v7, v39, v13
	v_fma_f32 v13, -v8, v53, v13
	v_mov_b32_e32 v28, 0x534
	v_fma_f32 v12, -v27, v71, v12
	s_waitcnt lgkmcnt(0)
	v_fma_f32 v13, -v9, v41, v13
	ds_read_b128 v[68:71], v72 offset:2784
	v_fma_f32 v13, -v10, v38, v13
	ds_read2_b32 v[38:39], v28 offset1:1
	v_mov_b32_e32 v28, 0x614
	ds_read2_b32 v[43:44], v28 offset1:1
	v_mov_b32_e32 v28, 0x6f4
	s_waitcnt lgkmcnt(2)
	v_mul_f32_e32 v12, v12, v68
	s_waitcnt lgkmcnt(1)
	v_fma_f32 v13, -v11, v38, v13
	v_fma_f32 v13, -v16, v57, v13
	s_waitcnt lgkmcnt(0)
	v_fma_f32 v13, -v17, v43, v13
	v_fma_f32 v13, -v18, v35, v13
	ds_read2_b32 v[35:36], v28 offset1:1
	v_mov_b32_e32 v28, 0x7d4
	ds_read2_b32 v[48:49], v28 offset1:1
	v_mov_b32_e32 v28, 0x8b4
	s_waitcnt lgkmcnt(1)
	v_fma_f32 v13, -v19, v35, v13
	v_fma_f32 v13, -v20, v61, v13
	s_waitcnt lgkmcnt(0)
	v_fma_f32 v13, -v21, v48, v13
	v_fma_f32 v13, -v22, v32, v13
	ds_read2_b32 v[32:33], v28 offset1:1
	v_mov_b32_e32 v28, 0x994
	ds_read2_b32 v[52:53], v28 offset1:1
	v_mov_b32_e32 v28, 0xa74
	s_waitcnt lgkmcnt(1)
	v_fma_f32 v13, -v23, v32, v13
	v_fma_f32 v13, -v24, v65, v13
	s_waitcnt lgkmcnt(0)
	v_fma_f32 v13, -v25, v52, v13
	v_fma_f32 v13, -v26, v29, v13
	ds_read2_b32 v[28:29], v28 offset1:1
	s_waitcnt lgkmcnt(0)
	v_fma_f32 v13, -v27, v28, v13
	v_mov_b32_e32 v28, 0xb54
	ds_read2_b32 v[56:57], v28 offset1:1
	v_mul_f32_e32 v28, v0, v75
	v_fma_f32 v14, s16, v14, -v28
	v_mul_f32_e32 v0, v0, v76
	v_fma_f32 v14, -v1, v31, v14
	ds_read_b64 v[30:31], v72 offset:328
	v_fma_f32 v0, s16, v15, -v0
	ds_read_b32 v15, v72 offset:220
	v_fma_f32 v13, -v12, v69, v13
	s_waitcnt lgkmcnt(2)
	v_mul_f32_e32 v13, v13, v56
	s_waitcnt lgkmcnt(1)
	v_fma_f32 v14, -v2, v30, v14
	v_fma_f32 v14, -v3, v34, v14
	s_waitcnt lgkmcnt(0)
	v_fma_f32 v0, -v1, v15, v0
	v_fma_f32 v2, -v2, v31, v0
	ds_read2_b32 v[0:1], v72 offset0:111 offset1:167
	ds_read_b64 v[34:35], v72 offset:776
	v_fma_f32 v14, -v4, v50, v14
	v_fma_f32 v14, -v5, v37, v14
	ds_read_b64 v[37:38], v72 offset:1224
	s_waitcnt lgkmcnt(2)
	v_fma_f32 v0, -v3, v0, v2
	v_fma_f32 v0, -v4, v51, v0
	v_fma_f32 v0, -v5, v1, v0
	s_waitcnt lgkmcnt(1)
	v_fma_f32 v2, -v6, v35, v0
	v_add_u32_e64 v0, s2, 0
	ds_read2_b32 v[0:1], v0 offset0:95 offset1:151
	v_fma_f32 v14, -v6, v34, v14
	s_movk_i32 s2, 0x400
	v_fma_f32 v14, -v7, v40, v14
	v_add_u32_e64 v3, s2, 0
	s_waitcnt lgkmcnt(0)
	v_fma_f32 v0, -v7, v0, v2
	v_fma_f32 v0, -v8, v55, v0
	;; [unrolled: 1-line block ×5, first 2 shown]
	ds_read2_b32 v[0:1], v3 offset0:79 offset1:135
	v_fma_f32 v14, -v9, v42, v14
	v_fma_f32 v14, -v10, v37, v14
	;; [unrolled: 1-line block ×3, first 2 shown]
	ds_read_b64 v[39:40], v72 offset:1672
	s_waitcnt lgkmcnt(1)
	v_fma_f32 v0, -v11, v0, v2
	v_fma_f32 v0, -v16, v59, v0
	;; [unrolled: 1-line block ×4, first 2 shown]
	s_waitcnt lgkmcnt(0)
	v_fma_f32 v2, -v18, v40, v0
	ds_read2_b32 v[0:1], v3 offset0:191 offset1:247
	v_fma_f32 v14, -v17, v44, v14
	v_fma_f32 v14, -v18, v39, v14
	;; [unrolled: 1-line block ×3, first 2 shown]
	ds_read_b64 v[36:37], v72 offset:2120
	s_waitcnt lgkmcnt(1)
	v_fma_f32 v0, -v19, v0, v2
	v_fma_f32 v0, -v20, v63, v0
	s_movk_i32 s2, 0x800
	v_fma_f32 v0, -v21, v1, v0
	v_add_u32_e64 v3, s2, 0
	v_fma_f32 v14, -v20, v62, v14
	s_waitcnt lgkmcnt(0)
	v_fma_f32 v2, -v22, v37, v0
	ds_read2_b32 v[0:1], v3 offset0:47 offset1:103
	v_fma_f32 v14, -v21, v49, v14
	v_fma_f32 v14, -v22, v36, v14
	;; [unrolled: 1-line block ×3, first 2 shown]
	ds_read_b64 v[32:33], v72 offset:2568
	s_waitcnt lgkmcnt(1)
	v_fma_f32 v0, -v23, v0, v2
	v_fma_f32 v0, -v24, v67, v0
	;; [unrolled: 1-line block ×4, first 2 shown]
	s_waitcnt lgkmcnt(0)
	v_fma_f32 v2, -v26, v33, v0
	ds_read2_b32 v[0:1], v3 offset0:159 offset1:215
	v_fma_f32 v14, -v25, v53, v14
	v_fma_f32 v14, -v26, v32, v14
	;; [unrolled: 1-line block ×3, first 2 shown]
	ds_read_b64 v[28:29], v72 offset:3016
	s_waitcnt lgkmcnt(1)
	v_fma_f32 v0, -v27, v0, v2
	v_fma_f32 v0, -v12, v71, v0
	;; [unrolled: 1-line block ×3, first 2 shown]
	ds_read_b32 v1, v72 offset:3132
	v_fma_f32 v14, -v12, v70, v14
	v_fma_f32 v14, -v13, v57, v14
	s_waitcnt lgkmcnt(1)
	v_mul_f32_e32 v14, v14, v28
	v_fma_f32 v0, -v14, v29, v0
	s_waitcnt lgkmcnt(0)
	v_mul_f32_e32 v15, v0, v1
	s_mov_b32 s2, 28
	global_store_dwordx4 v[46:47], v[12:15], off offset:96
	s_cmp_lt_i32 s2, s17
	s_cbranch_scc1 .LBB34_46
	s_branch .LBB34_56
.LBB34_45:
	s_mov_b32 s2, 0
	s_cmp_lt_i32 s2, s17
	s_cbranch_scc0 .LBB34_56
.LBB34_46:
	s_add_i32 s3, s2, 23
	s_cmp_ge_u32 s3, s17
	s_cbranch_scc1 .LBB34_51
; %bb.47:
	s_lshl_b32 s4, s2, 2
	v_add_co_u32_e32 v31, vcc, s4, v46
	v_addc_co_u32_e32 v32, vcc, 0, v47, vcc
	global_load_dwordx4 v[0:3], v[31:32], off
	global_load_dwordx4 v[4:7], v[31:32], off offset:16
	global_load_dwordx4 v[8:11], v[31:32], off offset:32
	;; [unrolled: 1-line block ×5, first 2 shown]
	s_andn2_b64 vcc, exec, s[0:1]
	s_waitcnt vmcnt(5)
	v_mul_f32_e32 v15, s16, v0
	v_mul_f32_e32 v16, s16, v1
	v_mul_f32_e32 v18, s16, v2
	v_mul_f32_e32 v22, s16, v3
	s_waitcnt vmcnt(4)
	v_mul_f32_e32 v17, s16, v4
	v_mul_f32_e32 v21, s16, v5
	v_mul_f32_e32 v20, s16, v6
	v_mul_f32_e32 v19, s16, v7
	;; [unrolled: 5-line block ×6, first 2 shown]
	s_cbranch_vccnz .LBB34_50
; %bb.48:
	v_mov_b32_e32 v0, v46
	v_mov_b32_e32 v1, v47
	s_mov_b32 s0, s2
.LBB34_49:                              ; =>This Inner Loop Header: Depth=1
	global_load_dword v42, v[0:1], off
	v_mov_b32_e32 v45, s4
	ds_read_b128 v[23:26], v45
	ds_read_b128 v[27:30], v45 offset:16
	ds_read_b128 v[34:37], v45 offset:32
	;; [unrolled: 1-line block ×5, first 2 shown]
	s_add_i32 s0, s0, -1
	s_addk_i32 s4, 0x70
	v_add_co_u32_e32 v0, vcc, 4, v0
	v_addc_co_u32_e32 v1, vcc, 0, v1, vcc
	s_cmp_lg_u32 s0, 0
	s_waitcnt vmcnt(0) lgkmcnt(5)
	v_fma_f32 v15, -v42, v23, v15
	v_fma_f32 v16, -v42, v24, v16
	v_fma_f32 v18, -v42, v25, v18
	v_fma_f32 v22, -v42, v26, v22
	s_waitcnt lgkmcnt(4)
	v_fma_f32 v17, -v42, v27, v17
	v_fma_f32 v21, -v42, v28, v21
	v_fma_f32 v20, -v42, v29, v20
	v_fma_f32 v19, -v42, v30, v19
	s_waitcnt lgkmcnt(3)
	;; [unrolled: 5-line block ×5, first 2 shown]
	v_fma_f32 v33, -v42, v52, v33
	v_fma_f32 v14, -v42, v53, v14
	;; [unrolled: 1-line block ×4, first 2 shown]
	s_cbranch_scc1 .LBB34_49
.LBB34_50:
	s_lshl_b32 s0, s2, 2
	s_mul_i32 s1, s2, 0x70
	s_add_i32 s0, s0, s1
	v_mov_b32_e32 v41, s0
	ds_read_b128 v[23:26], v41
	ds_read2_b32 v[0:1], v41 offset0:29 offset1:30
	s_mul_i32 s1, s2, 0x74
	s_add_i32 s4, s1, 0x414
	v_mov_b32_e32 v42, s1
	s_waitcnt lgkmcnt(1)
	v_mul_f32_e32 v15, v15, v23
	v_fma_f32 v16, -v15, v24, v16
	v_fma_f32 v18, -v15, v25, v18
	;; [unrolled: 1-line block ×3, first 2 shown]
	ds_read2_b32 v[26:27], v41 offset0:31 offset1:32
	ds_read_b128 v[22:25], v41 offset:16
	s_waitcnt lgkmcnt(2)
	v_mul_f32_e32 v16, v16, v0
	v_fma_f32 v0, -v16, v1, v18
	s_add_i32 s2, s2, 24
	s_waitcnt lgkmcnt(1)
	v_fma_f32 v1, -v16, v26, v28
	s_waitcnt lgkmcnt(0)
	v_fma_f32 v17, -v15, v22, v17
	v_fma_f32 v22, -v16, v27, v17
	ds_read2_b64 v[26:29], v41 offset0:29 offset1:30
	v_fma_f32 v21, -v15, v23, v21
	v_fma_f32 v20, -v15, v24, v20
	;; [unrolled: 1-line block ×3, first 2 shown]
	ds_read2_b32 v[51:52], v41 offset0:213 offset1:214
	s_waitcnt lgkmcnt(1)
	v_mul_f32_e32 v17, v0, v26
	v_fma_f32 v18, -v17, v27, v1
	ds_read2_b32 v[0:1], v41 offset0:87 offset1:88
	ds_read_b128 v[24:27], v41 offset:464
	ds_read2_b32 v[60:61], v41 offset0:105 offset1:106
	s_waitcnt lgkmcnt(2)
	v_mul_f32_e32 v18, v18, v0
	v_fma_f32 v0, -v17, v28, v22
	v_fma_f32 v30, -v18, v1, v0
	ds_read2_b32 v[0:1], v41 offset0:33 offset1:34
	global_store_dwordx4 v[31:32], v[15:18], off
	s_waitcnt lgkmcnt(0)
	v_fma_f32 v0, -v16, v0, v21
	v_fma_f32 v0, -v17, v29, v0
	ds_read2_b32 v[28:29], v41 offset0:89 offset1:90
	v_fma_f32 v1, -v16, v1, v20
	ds_read2_b64 v[20:23], v41 offset0:31 offset1:32
	s_waitcnt lgkmcnt(1)
	v_fma_f32 v19, -v18, v28, v0
	s_waitcnt lgkmcnt(0)
	v_fma_f32 v0, -v17, v20, v1
	v_fma_f32 v1, -v18, v29, v0
	v_mul_f32_e32 v0, v30, v24
	v_fma_f32 v30, -v0, v25, v19
	ds_read2_b32 v[19:20], v41 offset0:35 offset1:36
	ds_read2_b32 v[28:29], v41 offset0:91 offset1:92
	v_fma_f32 v35, -v0, v26, v1
	s_waitcnt lgkmcnt(1)
	v_fma_f32 v1, -v16, v19, v34
	v_fma_f32 v1, -v17, v21, v1
	s_waitcnt lgkmcnt(0)
	v_fma_f32 v1, -v18, v28, v1
	v_fma_f32 v19, -v0, v27, v1
	ds_read_b128 v[24:27], v41 offset:32
	s_waitcnt lgkmcnt(0)
	v_fma_f32 v1, -v15, v24, v13
	v_fma_f32 v1, -v16, v20, v1
	;; [unrolled: 1-line block ×4, first 2 shown]
	ds_read2_b32 v[24:25], v41 offset0:37 offset1:38
	v_fma_f32 v13, -v18, v29, v13
	v_fma_f32 v3, -v15, v26, v3
	;; [unrolled: 1-line block ×3, first 2 shown]
	s_waitcnt lgkmcnt(0)
	v_fma_f32 v1, -v16, v24, v1
	v_fma_f32 v24, -v17, v23, v1
	ds_read2_b32 v[1:2], v41 offset0:145 offset1:146
	ds_read2_b32 v[22:23], v41 offset0:147 offset1:148
	v_fma_f32 v3, -v16, v25, v3
	s_waitcnt lgkmcnt(1)
	v_mul_f32_e32 v1, v30, v1
	v_fma_f32 v2, -v1, v2, v35
	ds_read2_b64 v[34:37], v41 offset0:87 offset1:88
	s_waitcnt lgkmcnt(1)
	v_fma_f32 v28, -v1, v22, v19
	ds_read_b128 v[19:22], v41 offset:480
	s_waitcnt lgkmcnt(1)
	v_mul_f32_e32 v2, v2, v34
	v_fma_f32 v30, -v2, v35, v28
	ds_read2_b32 v[28:29], v41 offset0:93 offset1:94
	s_waitcnt lgkmcnt(1)
	v_fma_f32 v13, -v0, v19, v13
	v_fma_f32 v13, -v1, v23, v13
	ds_read2_b32 v[34:35], v41 offset0:39 offset1:40
	v_fma_f32 v13, -v2, v36, v13
	s_waitcnt lgkmcnt(1)
	v_fma_f32 v19, -v18, v28, v24
	v_fma_f32 v23, -v0, v20, v19
	ds_read2_b32 v[19:20], v41 offset0:149 offset1:150
	s_waitcnt lgkmcnt(0)
	v_fma_f32 v19, -v1, v19, v23
	ds_read2_b64 v[23:26], v41 offset0:33 offset1:34
	v_fma_f32 v19, -v2, v37, v19
	s_waitcnt lgkmcnt(0)
	v_fma_f32 v3, -v17, v23, v3
	v_fma_f32 v3, -v18, v29, v3
	;; [unrolled: 1-line block ×5, first 2 shown]
	ds_read2_b32 v[23:24], v41 offset0:95 offset1:96
	s_waitcnt lgkmcnt(0)
	v_fma_f32 v3, -v18, v23, v3
	v_fma_f32 v34, -v0, v22, v3
	ds_read2_b32 v[21:22], v41 offset0:203 offset1:204
	s_waitcnt lgkmcnt(0)
	v_mul_f32_e32 v3, v30, v21
	v_fma_f32 v8, -v3, v22, v13
	v_fma_f32 v13, -v1, v20, v27
	ds_read2_b32 v[22:23], v41 offset0:205 offset1:206
	ds_read_b128 v[27:30], v41 offset:928
	global_store_dwordx4 v[31:32], v[0:3], off offset:16
	s_waitcnt lgkmcnt(1)
	v_fma_f32 v36, -v3, v22, v19
	s_waitcnt lgkmcnt(0)
	v_mul_f32_e32 v8, v8, v27
	ds_read2_b64 v[19:22], v41 offset0:89 offset1:90
	v_fma_f32 v39, -v8, v28, v36
	ds_read2_b32 v[36:37], v41 offset0:151 offset1:152
	s_waitcnt lgkmcnt(1)
	v_fma_f32 v13, -v2, v19, v13
	v_fma_f32 v13, -v3, v23, v13
	s_waitcnt lgkmcnt(0)
	v_fma_f32 v19, -v1, v36, v34
	v_fma_f32 v23, -v2, v20, v19
	ds_read2_b32 v[19:20], v41 offset0:207 offset1:208
	v_fma_f32 v13, -v8, v29, v13
	s_waitcnt lgkmcnt(0)
	v_fma_f32 v19, -v3, v19, v23
	v_fma_f32 v19, -v8, v30, v19
	ds_read_b128 v[27:30], v41 offset:48
	s_waitcnt lgkmcnt(0)
	v_fma_f32 v10, -v15, v27, v10
	v_fma_f32 v9, -v15, v28, v9
	ds_read2_b32 v[27:28], v41 offset0:41 offset1:42
	v_fma_f32 v10, -v16, v35, v10
	v_fma_f32 v10, -v17, v25, v10
	;; [unrolled: 1-line block ×4, first 2 shown]
	s_waitcnt lgkmcnt(0)
	v_fma_f32 v9, -v16, v27, v9
	v_fma_f32 v9, -v17, v26, v9
	ds_read_b128 v[23:26], v41 offset:496
	v_fma_f32 v11, -v15, v30, v11
	v_fma_f32 v4, -v16, v28, v4
	s_waitcnt lgkmcnt(0)
	v_fma_f32 v10, -v0, v23, v10
	v_fma_f32 v10, -v1, v37, v10
	ds_read2_b32 v[37:38], v41 offset0:97 offset1:98
	v_fma_f32 v21, -v2, v21, v10
	s_waitcnt lgkmcnt(0)
	v_fma_f32 v9, -v18, v37, v9
	v_fma_f32 v9, -v0, v24, v9
	ds_read2_b32 v[23:24], v41 offset0:153 offset1:154
	ds_read2_b64 v[34:37], v42 offset0:145 offset1:146
	s_waitcnt lgkmcnt(1)
	v_fma_f32 v9, -v1, v23, v9
	v_fma_f32 v27, -v2, v22, v9
	v_mov_b32_e32 v9, s4
	ds_read2_b32 v[9:10], v9 offset1:1
	s_add_i32 s4, s0, 0x41c
	s_waitcnt lgkmcnt(0)
	v_mul_f32_e32 v9, v39, v9
	v_fma_f32 v10, -v9, v10, v13
	v_fma_f32 v13, -v3, v20, v21
	v_mov_b32_e32 v20, s4
	ds_read2_b32 v[22:23], v20 offset1:1
	v_mul_f32_e32 v10, v10, v34
	s_add_i32 s4, s0, 0x424
	s_waitcnt lgkmcnt(0)
	v_fma_f32 v39, -v9, v22, v19
	ds_read_b128 v[19:22], v41 offset:944
	v_fma_f32 v45, -v10, v35, v39
	ds_read2_b32 v[34:35], v41 offset0:209 offset1:210
	ds_read2_b32 v[39:40], v41 offset0:155 offset1:156
	s_waitcnt lgkmcnt(2)
	v_fma_f32 v13, -v8, v19, v13
	v_fma_f32 v13, -v9, v23, v13
	s_waitcnt lgkmcnt(1)
	v_fma_f32 v19, -v3, v34, v27
	v_fma_f32 v23, -v8, v20, v19
	v_mov_b32_e32 v19, s4
	ds_read2_b32 v[19:20], v19 offset1:1
	ds_read2_b64 v[27:30], v41 offset0:35 offset1:36
	s_add_i32 s4, s1, 0x4fc
	v_fma_f32 v13, -v10, v36, v13
	s_waitcnt lgkmcnt(1)
	v_fma_f32 v19, -v9, v19, v23
	s_waitcnt lgkmcnt(0)
	v_fma_f32 v4, -v17, v27, v4
	v_fma_f32 v19, -v10, v37, v19
	;; [unrolled: 1-line block ×3, first 2 shown]
	ds_read2_b32 v[37:38], v41 offset0:43 offset1:44
	v_fma_f32 v4, -v0, v25, v4
	v_fma_f32 v4, -v1, v24, v4
	s_waitcnt lgkmcnt(0)
	v_fma_f32 v11, -v16, v37, v11
	v_fma_f32 v11, -v17, v28, v11
	ds_read2_b32 v[27:28], v41 offset0:99 offset1:100
	s_waitcnt lgkmcnt(0)
	v_fma_f32 v11, -v18, v27, v11
	v_fma_f32 v11, -v0, v26, v11
	ds_read2_b64 v[23:26], v41 offset0:91 offset1:92
	v_fma_f32 v11, -v1, v39, v11
	s_waitcnt lgkmcnt(0)
	v_fma_f32 v4, -v2, v23, v4
	v_fma_f32 v11, -v2, v24, v11
	ds_read2_b32 v[23:24], v41 offset0:211 offset1:212
	v_fma_f32 v4, -v3, v35, v4
	v_fma_f32 v4, -v8, v21, v4
	;; [unrolled: 1-line block ×3, first 2 shown]
	ds_read_b128 v[34:37], v42 offset:1392
	s_waitcnt lgkmcnt(1)
	v_fma_f32 v11, -v3, v23, v11
	v_fma_f32 v27, -v8, v22, v11
	v_mov_b32_e32 v11, s4
	ds_read2_b32 v[21:22], v11 offset1:1
	s_add_i32 s4, s0, 0x504
	v_mov_b32_e32 v20, s4
	s_add_i32 s4, s0, 0x42c
	s_waitcnt lgkmcnt(0)
	v_mul_f32_e32 v11, v45, v21
	v_fma_f32 v13, -v11, v22, v13
	ds_read2_b32 v[22:23], v20 offset1:1
	s_waitcnt lgkmcnt(0)
	v_fma_f32 v39, -v11, v22, v19
	ds_read2_b64 v[19:22], v41 offset0:147 offset1:148
	s_waitcnt lgkmcnt(0)
	v_fma_f32 v4, -v10, v19, v4
	v_fma_f32 v19, -v11, v23, v4
	v_mul_f32_e32 v4, v13, v34
	v_fma_f32 v45, -v4, v36, v19
	v_mov_b32_e32 v19, s4
	ds_read2_b32 v[48:49], v19 offset1:1
	s_add_i32 s4, s0, 0x50c
	v_fma_f32 v13, -v4, v35, v39
	s_waitcnt lgkmcnt(0)
	v_fma_f32 v19, -v9, v48, v27
	v_fma_f32 v23, -v10, v20, v19
	v_mov_b32_e32 v19, s4
	ds_read2_b32 v[19:20], v19 offset1:1
	s_add_i32 s4, s0, 0x434
	s_waitcnt lgkmcnt(0)
	v_fma_f32 v19, -v11, v19, v23
	v_fma_f32 v48, -v4, v37, v19
	ds_read_b128 v[34:37], v41 offset:64
	s_waitcnt lgkmcnt(0)
	v_fma_f32 v6, -v15, v34, v6
	v_fma_f32 v5, -v15, v35, v5
	ds_read2_b32 v[34:35], v41 offset0:45 offset1:46
	v_fma_f32 v6, -v16, v38, v6
	v_fma_f32 v6, -v17, v29, v6
	ds_read2_b32 v[38:39], v41 offset0:101 offset1:102
	v_fma_f32 v6, -v18, v28, v6
	s_waitcnt lgkmcnt(1)
	v_fma_f32 v5, -v16, v34, v5
	v_fma_f32 v5, -v17, v30, v5
	ds_read_b128 v[27:30], v41 offset:512
	s_waitcnt lgkmcnt(1)
	v_fma_f32 v5, -v18, v38, v5
	v_fma_f32 v7, -v15, v36, v7
	v_fma_f32 v12, -v15, v37, v12
	v_fma_f32 v7, -v16, v35, v7
	s_waitcnt lgkmcnt(0)
	v_fma_f32 v6, -v0, v27, v6
	v_fma_f32 v5, -v0, v28, v5
	ds_read2_b32 v[27:28], v41 offset0:157 offset1:158
	v_fma_f32 v6, -v1, v40, v6
	v_fma_f32 v6, -v2, v25, v6
	;; [unrolled: 1-line block ×3, first 2 shown]
	ds_read2_b64 v[34:37], v41 offset0:37 offset1:38
	s_waitcnt lgkmcnt(1)
	v_fma_f32 v5, -v1, v27, v5
	v_fma_f32 v5, -v2, v26, v5
	ds_read_b128 v[23:26], v41 offset:960
	v_fma_f32 v5, -v3, v51, v5
	s_waitcnt lgkmcnt(1)
	v_fma_f32 v7, -v17, v34, v7
	v_fma_f32 v7, -v18, v39, v7
	ds_read2_b32 v[38:39], v41 offset0:47 offset1:48
	s_waitcnt lgkmcnt(1)
	v_fma_f32 v6, -v8, v23, v6
	v_fma_f32 v6, -v9, v49, v6
	;; [unrolled: 1-line block ×3, first 2 shown]
	v_mov_b32_e32 v6, s4
	ds_read2_b32 v[53:54], v6 offset1:1
	v_fma_f32 v5, -v8, v24, v5
	s_add_i32 s4, s1, 0x5e4
	s_waitcnt lgkmcnt(1)
	v_fma_f32 v12, -v16, v38, v12
	v_fma_f32 v12, -v17, v35, v12
	s_waitcnt lgkmcnt(0)
	v_fma_f32 v5, -v9, v53, v5
	v_fma_f32 v23, -v10, v22, v5
	v_mov_b32_e32 v5, s4
	ds_read2_b32 v[5:6], v5 offset1:1
	s_add_i32 s4, s0, 0x5ec
	ds_read2_b32 v[34:35], v41 offset0:103 offset1:104
	v_fma_f32 v7, -v0, v29, v7
	v_fma_f32 v7, -v1, v28, v7
	s_waitcnt lgkmcnt(1)
	v_mul_f32_e32 v5, v13, v5
	v_fma_f32 v13, -v11, v20, v19
	v_mov_b32_e32 v19, s4
	ds_read2_b32 v[19:20], v19 offset1:1
	v_fma_f32 v6, -v5, v6, v45
	s_add_i32 s4, s0, 0x514
	s_waitcnt lgkmcnt(1)
	v_fma_f32 v12, -v18, v34, v12
	v_fma_f32 v12, -v0, v30, v12
	s_waitcnt lgkmcnt(0)
	v_fma_f32 v24, -v5, v19, v48
	ds_read_b128 v[48:51], v41 offset:1408
	s_waitcnt lgkmcnt(0)
	v_fma_f32 v13, -v4, v48, v13
	v_fma_f32 v13, -v5, v20, v13
	ds_read2_b64 v[19:22], v42 offset0:203 offset1:204
	s_waitcnt lgkmcnt(0)
	v_mul_f32_e32 v6, v6, v19
	v_fma_f32 v40, -v6, v21, v13
	v_mov_b32_e32 v13, s4
	ds_read2_b32 v[55:56], v13 offset1:1
	s_add_i32 s4, s0, 0x5f4
	v_mov_b32_e32 v19, s4
	v_fma_f32 v27, -v6, v20, v24
	s_add_i32 s4, s0, 0x43c
	s_waitcnt lgkmcnt(0)
	v_fma_f32 v13, -v11, v55, v23
	v_fma_f32 v13, -v4, v49, v13
	ds_read2_b32 v[48:49], v19 offset1:1
	s_waitcnt lgkmcnt(0)
	v_fma_f32 v13, -v5, v48, v13
	v_fma_f32 v45, -v6, v22, v13
	ds_read2_b64 v[21:24], v41 offset0:93 offset1:94
	s_waitcnt lgkmcnt(0)
	v_fma_f32 v7, -v2, v21, v7
	v_fma_f32 v7, -v3, v52, v7
	ds_read2_b32 v[52:53], v41 offset0:159 offset1:160
	v_fma_f32 v7, -v8, v25, v7
	v_fma_f32 v7, -v9, v54, v7
	s_waitcnt lgkmcnt(0)
	v_fma_f32 v12, -v1, v52, v12
	v_fma_f32 v19, -v2, v22, v12
	ds_read2_b32 v[12:13], v41 offset0:215 offset1:216
	s_waitcnt lgkmcnt(0)
	v_fma_f32 v12, -v3, v12, v19
	ds_read2_b64 v[19:22], v41 offset0:149 offset1:150
	v_fma_f32 v12, -v8, v26, v12
	s_waitcnt lgkmcnt(0)
	v_fma_f32 v7, -v10, v19, v7
	v_fma_f32 v7, -v11, v56, v7
	;; [unrolled: 1-line block ×3, first 2 shown]
	v_mov_b32_e32 v7, s4
	ds_read2_b32 v[54:55], v7 offset1:1
	s_add_i32 s4, s0, 0x51c
	v_fma_f32 v34, -v5, v49, v28
	s_waitcnt lgkmcnt(0)
	v_fma_f32 v7, -v9, v54, v12
	v_mov_b32_e32 v12, s4
	v_fma_f32 v7, -v10, v20, v7
	ds_read2_b32 v[19:20], v12 offset1:1
	s_add_i32 s4, s1, 0x6cc
	s_waitcnt lgkmcnt(0)
	v_fma_f32 v7, -v11, v19, v7
	v_fma_f32 v19, -v4, v51, v7
	v_mov_b32_e32 v7, s4
	ds_read2_b32 v[25:26], v7 offset1:1
	ds_read_b128 v[48:51], v42 offset:1856
	s_add_i32 s4, s0, 0x6d4
	s_waitcnt lgkmcnt(1)
	v_mul_f32_e32 v7, v27, v25
	v_mov_b32_e32 v25, s4
	v_fma_f32 v12, -v7, v26, v40
	ds_read2_b32 v[25:26], v25 offset1:1
	ds_read2_b64 v[27:30], v41 offset0:205 offset1:206
	s_waitcnt lgkmcnt(2)
	v_mul_f32_e32 v12, v12, v48
	s_add_i32 s4, s0, 0x5fc
	s_waitcnt lgkmcnt(1)
	v_fma_f32 v25, -v7, v25, v45
	v_fma_f32 v45, -v12, v49, v25
	v_mov_b32_e32 v25, s4
	ds_read2_b32 v[56:57], v25 offset1:1
	s_add_i32 s4, s0, 0x6dc
	s_waitcnt lgkmcnt(1)
	v_fma_f32 v27, -v6, v27, v34
	v_mov_b32_e32 v25, s4
	v_fma_f32 v26, -v7, v26, v27
	s_waitcnt lgkmcnt(0)
	v_fma_f32 v19, -v5, v56, v19
	ds_read2_b32 v[58:59], v25 offset1:1
	v_fma_f32 v52, -v12, v50, v26
	v_fma_f32 v19, -v6, v28, v19
	ds_read_b128 v[25:28], v41 offset:80
	s_add_i32 s4, s0, 0x444
	s_waitcnt lgkmcnt(1)
	v_fma_f32 v19, -v7, v58, v19
	v_fma_f32 v19, -v12, v51, v19
	ds_read_b128 v[48:51], v41 offset:528
	s_waitcnt lgkmcnt(1)
	v_fma_f32 v25, -v15, v25, v33
	v_fma_f32 v25, -v16, v39, v25
	ds_read2_b32 v[39:40], v41 offset0:49 offset1:50
	v_fma_f32 v14, -v15, v26, v14
	v_fma_f32 v25, -v17, v36, v25
	;; [unrolled: 1-line block ×3, first 2 shown]
	s_waitcnt lgkmcnt(1)
	v_fma_f32 v25, -v0, v48, v25
	s_waitcnt lgkmcnt(0)
	v_fma_f32 v14, -v16, v39, v14
	v_fma_f32 v14, -v17, v37, v14
	;; [unrolled: 1-line block ×4, first 2 shown]
	ds_read2_b32 v[48:49], v41 offset0:161 offset1:162
	v_fma_f32 v25, -v1, v53, v25
	v_fma_f32 v23, -v2, v23, v25
	v_fma_f32 v13, -v3, v13, v23
	ds_read2_b32 v[36:37], v41 offset0:217 offset1:218
	s_waitcnt lgkmcnt(1)
	v_fma_f32 v14, -v1, v48, v14
	v_fma_f32 v14, -v2, v24, v14
	ds_read_b128 v[23:26], v41 offset:976
	v_fma_f32 v27, -v15, v27, v43
	s_waitcnt lgkmcnt(0)
	v_fma_f32 v13, -v8, v23, v13
	v_fma_f32 v13, -v9, v55, v13
	;; [unrolled: 1-line block ×3, first 2 shown]
	v_mov_b32_e32 v21, s4
	ds_read2_b32 v[33:34], v21 offset1:1
	v_fma_f32 v14, -v3, v36, v14
	v_fma_f32 v14, -v8, v24, v14
	;; [unrolled: 1-line block ×3, first 2 shown]
	s_add_i32 s4, s0, 0x524
	s_waitcnt lgkmcnt(0)
	v_fma_f32 v14, -v9, v33, v14
	v_fma_f32 v14, -v10, v22, v14
	ds_read_b128 v[21:24], v41 offset:1424
	s_waitcnt lgkmcnt(0)
	v_fma_f32 v13, -v4, v21, v13
	v_fma_f32 v13, -v5, v57, v13
	;; [unrolled: 1-line block ×3, first 2 shown]
	v_mov_b32_e32 v13, s4
	ds_read2_b32 v[35:36], v13 offset1:1
	s_add_i32 s4, s0, 0x604
	v_fma_f32 v33, -v7, v59, v20
	s_waitcnt lgkmcnt(0)
	v_fma_f32 v13, -v11, v35, v14
	v_mov_b32_e32 v14, s4
	ds_read2_b32 v[38:39], v14 offset1:1
	v_fma_f32 v13, -v4, v22, v13
	s_add_i32 s4, s1, 0x7b4
	s_waitcnt lgkmcnt(0)
	v_fma_f32 v13, -v5, v38, v13
	v_fma_f32 v38, -v6, v30, v13
	v_mov_b32_e32 v13, s4
	s_add_i32 s4, s0, 0x7bc
	ds_read2_b32 v[13:14], v13 offset1:1
	v_mov_b32_e32 v20, s4
	ds_read2_b32 v[29:30], v20 offset1:1
	s_add_i32 s4, s1, 0x828
	s_waitcnt lgkmcnt(1)
	v_mul_f32_e32 v13, v45, v13
	v_fma_f32 v14, -v13, v14, v52
	s_waitcnt lgkmcnt(0)
	v_fma_f32 v29, -v13, v29, v19
	ds_read_b128 v[19:22], v41 offset:1872
	s_waitcnt lgkmcnt(0)
	v_fma_f32 v19, -v12, v19, v33
	v_fma_f32 v19, -v13, v30, v19
	v_mov_b32_e32 v30, s4
	ds_read2_b64 v[52:55], v30 offset1:1
	s_add_i32 s4, s0, 0x6e4
	s_waitcnt lgkmcnt(0)
	v_mul_f32_e32 v14, v14, v52
	v_fma_f32 v35, -v14, v54, v19
	v_mov_b32_e32 v19, s4
	v_fma_f32 v33, -v14, v53, v29
	ds_read2_b32 v[29:30], v19 offset1:1
	s_add_i32 s4, s0, 0x7c4
	s_addk_i32 s0, 0x8a4
	s_waitcnt lgkmcnt(0)
	v_fma_f32 v19, -v7, v29, v38
	v_fma_f32 v29, -v12, v20, v19
	v_mov_b32_e32 v19, s4
	ds_read2_b32 v[19:20], v19 offset1:1
	v_fma_f32 v38, -v16, v40, v27
	s_add_i32 s4, s1, 0x89c
	s_waitcnt lgkmcnt(0)
	v_fma_f32 v19, -v13, v19, v29
	v_fma_f32 v29, -v15, v28, v44
	ds_read_b64 v[27:28], v41 offset:312
	v_fma_f32 v19, -v14, v55, v19
	s_waitcnt lgkmcnt(0)
	v_fma_f32 v27, -v17, v27, v38
	ds_read_b32 v38, v41 offset:204
	v_fma_f32 v27, -v18, v61, v27
	s_waitcnt lgkmcnt(0)
	v_fma_f32 v29, -v16, v38, v29
	ds_read2_b32 v[15:16], v41 offset0:107 offset1:163
	v_fma_f32 v28, -v17, v28, v29
	v_fma_f32 v17, -v0, v50, v27
	v_fma_f32 v17, -v1, v49, v17
	s_waitcnt lgkmcnt(0)
	v_fma_f32 v15, -v18, v15, v28
	v_fma_f32 v15, -v0, v51, v15
	ds_read_b64 v[27:28], v41 offset:760
	v_add_u32_e32 v0, 0x200, v41
	v_fma_f32 v15, -v1, v16, v15
	ds_read2_b32 v[0:1], v0 offset0:91 offset1:147
	s_waitcnt lgkmcnt(1)
	v_fma_f32 v17, -v2, v27, v17
	v_fma_f32 v15, -v2, v28, v15
	v_mov_b32_e32 v2, s4
	v_fma_f32 v17, -v3, v37, v17
	s_waitcnt lgkmcnt(0)
	v_fma_f32 v0, -v3, v0, v15
	ds_read2_b32 v[2:3], v2 offset1:1
	v_fma_f32 v16, -v8, v25, v17
	v_fma_f32 v16, -v9, v34, v16
	;; [unrolled: 1-line block ×4, first 2 shown]
	s_waitcnt lgkmcnt(0)
	v_mul_f32_e32 v15, v33, v2
	v_fma_f32 v18, -v15, v3, v35
	ds_read_b64 v[2:3], v41 offset:1208
	v_mov_b32_e32 v1, s0
	s_add_i32 s0, s1, 0x984
	s_waitcnt lgkmcnt(0)
	v_fma_f32 v2, -v10, v2, v16
	ds_read_b64 v[16:17], v41 offset:1656
	v_fma_f32 v2, -v11, v36, v2
	v_fma_f32 v2, -v4, v23, v2
	;; [unrolled: 1-line block ×3, first 2 shown]
	global_store_dwordx4 v[31:32], v[8:11], off offset:32
	global_store_dwordx4 v[31:32], v[4:7], off offset:48
	;; [unrolled: 1-line block ×3, first 2 shown]
	s_waitcnt lgkmcnt(0)
	v_fma_f32 v2, -v6, v16, v2
	v_fma_f32 v2, -v7, v30, v2
	;; [unrolled: 1-line block ×4, first 2 shown]
	ds_read2_b32 v[20:21], v1 offset1:1
	ds_read_b64 v[25:26], v41 offset:2104
	v_add_u32_e32 v23, 0x400, v41
	ds_read2_b32 v[8:9], v23 offset0:75 offset1:131
	v_fma_f32 v0, -v10, v3, v0
	s_waitcnt lgkmcnt(2)
	v_fma_f32 v19, -v15, v20, v19
	s_waitcnt lgkmcnt(1)
	v_fma_f32 v10, -v14, v25, v16
	v_fma_f32 v16, -v15, v21, v10
	ds_read2_b32 v[20:21], v23 offset0:187 offset1:243
	s_waitcnt lgkmcnt(1)
	v_fma_f32 v8, -v11, v8, v0
	v_fma_f32 v4, -v4, v24, v8
	;; [unrolled: 1-line block ×3, first 2 shown]
	ds_read_b128 v[0:3], v42 offset:2320
	v_fma_f32 v4, -v6, v17, v4
	s_waitcnt lgkmcnt(1)
	v_fma_f32 v4, -v7, v20, v4
	v_fma_f32 v4, -v12, v22, v4
	v_mov_b32_e32 v10, s0
	v_fma_f32 v6, -v13, v21, v4
	v_add_u32_e32 v4, 0x800, v41
	ds_read2_b32 v[10:11], v10 offset1:1
	ds_read2_b32 v[4:5], v4 offset0:43 offset1:99
	s_waitcnt lgkmcnt(2)
	v_mul_f32_e32 v0, v18, v0
	v_fma_f32 v1, -v0, v1, v19
	ds_read_b64 v[18:19], v42 offset:2552
	s_mul_i32 s0, s3, 0x74
	v_mov_b32_e32 v7, s0
	v_fma_f32 v6, -v14, v26, v6
	ds_read_b32 v7, v7
	s_waitcnt lgkmcnt(3)
	v_mul_f32_e32 v1, v1, v10
	v_fma_f32 v2, -v0, v2, v16
	s_waitcnt lgkmcnt(2)
	v_fma_f32 v4, -v15, v4, v6
	v_fma_f32 v2, -v1, v11, v2
	v_fma_f32 v3, -v0, v3, v4
	s_waitcnt lgkmcnt(1)
	v_mul_f32_e32 v2, v2, v18
	v_fma_f32 v3, -v1, v5, v3
	v_fma_f32 v3, -v2, v19, v3
	s_waitcnt lgkmcnt(0)
	v_mul_f32_e32 v3, v3, v7
	global_store_dwordx4 v[31:32], v[0:3], off offset:80
.LBB34_51:
	s_cmp_ge_i32 s2, s17
	s_cbranch_scc1 .LBB34_56
; %bb.52:
	s_lshl_b32 s0, s2, 2
	s_mov_b32 s3, 0
	s_branch .LBB34_54
.LBB34_53:                              ;   in Loop: Header=BB34_54 Depth=1
	s_mul_i32 s1, s2, 0x74
	v_mov_b32_e32 v2, s1
	ds_read_b32 v2, v2
	s_add_i32 s2, s2, 1
	s_add_i32 s0, s0, 4
	s_cmp_ge_i32 s2, s17
	s_waitcnt lgkmcnt(0)
	v_mul_f32_e32 v2, v4, v2
	global_store_dword v[0:1], v2, off
	s_cbranch_scc1 .LBB34_56
.LBB34_54:                              ; =>This Loop Header: Depth=1
                                        ;     Child Loop BB34_55 Depth 2
	s_lshl_b64 s[4:5], s[2:3], 2
	v_mov_b32_e32 v1, s5
	v_add_co_u32_e32 v0, vcc, s4, v46
	v_addc_co_u32_e32 v1, vcc, v47, v1, vcc
	global_load_dword v4, v[0:1], off
	v_mov_b32_e32 v2, v46
	v_mov_b32_e32 v3, v47
	s_mov_b32 s1, s0
	s_cmp_eq_u32 s2, 0
	s_mov_b32 s4, s2
	s_waitcnt vmcnt(0)
	v_mul_f32_e32 v4, s16, v4
	s_cbranch_scc1 .LBB34_53
.LBB34_55:                              ;   Parent Loop BB34_54 Depth=1
                                        ; =>  This Inner Loop Header: Depth=2
	global_load_dword v5, v[2:3], off
	v_mov_b32_e32 v6, s1
	ds_read_b32 v6, v6
	s_add_i32 s4, s4, -1
	s_addk_i32 s1, 0x70
	v_add_co_u32_e32 v2, vcc, 4, v2
	v_addc_co_u32_e32 v3, vcc, 0, v3, vcc
	s_cmp_lg_u32 s4, 0
	s_waitcnt vmcnt(0) lgkmcnt(0)
	v_fma_f32 v4, -v5, v6, v4
	s_cbranch_scc1 .LBB34_55
	s_branch .LBB34_53
.LBB34_56:
	s_endpgm
	.section	.rodata,"a",@progbits
	.p2align	6, 0x0
	.amdhsa_kernel _ZL30rocblas_trsm_small_left_deviceILi28ELi28ELb1EffPKfPfEv13rocblas_fill_18rocblas_operation_17rocblas_diagonal_iiT3_T4_lilT5_lili
		.amdhsa_group_segment_fixed_size 3136
		.amdhsa_private_segment_fixed_size 0
		.amdhsa_kernarg_size 352
		.amdhsa_user_sgpr_count 6
		.amdhsa_user_sgpr_private_segment_buffer 1
		.amdhsa_user_sgpr_dispatch_ptr 0
		.amdhsa_user_sgpr_queue_ptr 0
		.amdhsa_user_sgpr_kernarg_segment_ptr 1
		.amdhsa_user_sgpr_dispatch_id 0
		.amdhsa_user_sgpr_flat_scratch_init 0
		.amdhsa_user_sgpr_private_segment_size 0
		.amdhsa_uses_dynamic_stack 0
		.amdhsa_system_sgpr_private_segment_wavefront_offset 0
		.amdhsa_system_sgpr_workgroup_id_x 1
		.amdhsa_system_sgpr_workgroup_id_y 0
		.amdhsa_system_sgpr_workgroup_id_z 1
		.amdhsa_system_sgpr_workgroup_info 0
		.amdhsa_system_vgpr_workitem_id 0
		.amdhsa_next_free_vgpr 85
		.amdhsa_next_free_sgpr 98
		.amdhsa_reserve_vcc 1
		.amdhsa_reserve_flat_scratch 0
		.amdhsa_float_round_mode_32 0
		.amdhsa_float_round_mode_16_64 0
		.amdhsa_float_denorm_mode_32 3
		.amdhsa_float_denorm_mode_16_64 3
		.amdhsa_dx10_clamp 1
		.amdhsa_ieee_mode 1
		.amdhsa_fp16_overflow 0
		.amdhsa_exception_fp_ieee_invalid_op 0
		.amdhsa_exception_fp_denorm_src 0
		.amdhsa_exception_fp_ieee_div_zero 0
		.amdhsa_exception_fp_ieee_overflow 0
		.amdhsa_exception_fp_ieee_underflow 0
		.amdhsa_exception_fp_ieee_inexact 0
		.amdhsa_exception_int_div_zero 0
	.end_amdhsa_kernel
	.section	.text._ZL30rocblas_trsm_small_left_deviceILi28ELi28ELb1EffPKfPfEv13rocblas_fill_18rocblas_operation_17rocblas_diagonal_iiT3_T4_lilT5_lili,"axG",@progbits,_ZL30rocblas_trsm_small_left_deviceILi28ELi28ELb1EffPKfPfEv13rocblas_fill_18rocblas_operation_17rocblas_diagonal_iiT3_T4_lilT5_lili,comdat
.Lfunc_end34:
	.size	_ZL30rocblas_trsm_small_left_deviceILi28ELi28ELb1EffPKfPfEv13rocblas_fill_18rocblas_operation_17rocblas_diagonal_iiT3_T4_lilT5_lili, .Lfunc_end34-_ZL30rocblas_trsm_small_left_deviceILi28ELi28ELb1EffPKfPfEv13rocblas_fill_18rocblas_operation_17rocblas_diagonal_iiT3_T4_lilT5_lili
                                        ; -- End function
	.set _ZL30rocblas_trsm_small_left_deviceILi28ELi28ELb1EffPKfPfEv13rocblas_fill_18rocblas_operation_17rocblas_diagonal_iiT3_T4_lilT5_lili.num_vgpr, 85
	.set _ZL30rocblas_trsm_small_left_deviceILi28ELi28ELb1EffPKfPfEv13rocblas_fill_18rocblas_operation_17rocblas_diagonal_iiT3_T4_lilT5_lili.num_agpr, 0
	.set _ZL30rocblas_trsm_small_left_deviceILi28ELi28ELb1EffPKfPfEv13rocblas_fill_18rocblas_operation_17rocblas_diagonal_iiT3_T4_lilT5_lili.numbered_sgpr, 24
	.set _ZL30rocblas_trsm_small_left_deviceILi28ELi28ELb1EffPKfPfEv13rocblas_fill_18rocblas_operation_17rocblas_diagonal_iiT3_T4_lilT5_lili.num_named_barrier, 0
	.set _ZL30rocblas_trsm_small_left_deviceILi28ELi28ELb1EffPKfPfEv13rocblas_fill_18rocblas_operation_17rocblas_diagonal_iiT3_T4_lilT5_lili.private_seg_size, 0
	.set _ZL30rocblas_trsm_small_left_deviceILi28ELi28ELb1EffPKfPfEv13rocblas_fill_18rocblas_operation_17rocblas_diagonal_iiT3_T4_lilT5_lili.uses_vcc, 1
	.set _ZL30rocblas_trsm_small_left_deviceILi28ELi28ELb1EffPKfPfEv13rocblas_fill_18rocblas_operation_17rocblas_diagonal_iiT3_T4_lilT5_lili.uses_flat_scratch, 0
	.set _ZL30rocblas_trsm_small_left_deviceILi28ELi28ELb1EffPKfPfEv13rocblas_fill_18rocblas_operation_17rocblas_diagonal_iiT3_T4_lilT5_lili.has_dyn_sized_stack, 0
	.set _ZL30rocblas_trsm_small_left_deviceILi28ELi28ELb1EffPKfPfEv13rocblas_fill_18rocblas_operation_17rocblas_diagonal_iiT3_T4_lilT5_lili.has_recursion, 0
	.set _ZL30rocblas_trsm_small_left_deviceILi28ELi28ELb1EffPKfPfEv13rocblas_fill_18rocblas_operation_17rocblas_diagonal_iiT3_T4_lilT5_lili.has_indirect_call, 0
	.section	.AMDGPU.csdata,"",@progbits
; Kernel info:
; codeLenInByte = 19500
; TotalNumSgprs: 28
; NumVgprs: 85
; ScratchSize: 0
; MemoryBound: 0
; FloatMode: 240
; IeeeMode: 1
; LDSByteSize: 3136 bytes/workgroup (compile time only)
; SGPRBlocks: 12
; VGPRBlocks: 21
; NumSGPRsForWavesPerEU: 102
; NumVGPRsForWavesPerEU: 85
; Occupancy: 2
; WaveLimiterHint : 0
; COMPUTE_PGM_RSRC2:SCRATCH_EN: 0
; COMPUTE_PGM_RSRC2:USER_SGPR: 6
; COMPUTE_PGM_RSRC2:TRAP_HANDLER: 0
; COMPUTE_PGM_RSRC2:TGID_X_EN: 1
; COMPUTE_PGM_RSRC2:TGID_Y_EN: 0
; COMPUTE_PGM_RSRC2:TGID_Z_EN: 1
; COMPUTE_PGM_RSRC2:TIDIG_COMP_CNT: 0
	.section	.text._ZL31rocblas_trsm_small_right_deviceIffPKfPfLi28EEv13rocblas_fill_18rocblas_operation_17rocblas_diagonal_iiT0_T1_lilT2_lili,"axG",@progbits,_ZL31rocblas_trsm_small_right_deviceIffPKfPfLi28EEv13rocblas_fill_18rocblas_operation_17rocblas_diagonal_iiT0_T1_lilT2_lili,comdat
	.globl	_ZL31rocblas_trsm_small_right_deviceIffPKfPfLi28EEv13rocblas_fill_18rocblas_operation_17rocblas_diagonal_iiT0_T1_lilT2_lili ; -- Begin function _ZL31rocblas_trsm_small_right_deviceIffPKfPfLi28EEv13rocblas_fill_18rocblas_operation_17rocblas_diagonal_iiT0_T1_lilT2_lili
	.p2align	8
	.type	_ZL31rocblas_trsm_small_right_deviceIffPKfPfLi28EEv13rocblas_fill_18rocblas_operation_17rocblas_diagonal_iiT0_T1_lilT2_lili,@function
_ZL31rocblas_trsm_small_right_deviceIffPKfPfLi28EEv13rocblas_fill_18rocblas_operation_17rocblas_diagonal_iiT0_T1_lilT2_lili: ; @_ZL31rocblas_trsm_small_right_deviceIffPKfPfLi28EEv13rocblas_fill_18rocblas_operation_17rocblas_diagonal_iiT0_T1_lilT2_lili
; %bb.0:
	s_load_dwordx4 s[8:11], s[4:5], 0x0
	s_load_dwordx2 s[12:13], s[4:5], 0x10
	s_load_dwordx4 s[0:3], s[4:5], 0x30
	s_load_dwordx2 s[14:15], s[4:5], 0x40
	s_waitcnt lgkmcnt(0)
	s_min_i32 s18, s12, 28
	v_cmp_gt_i32_e32 vcc, s18, v0
	s_and_saveexec_b64 s[16:17], vcc
	s_cbranch_execz .LBB35_5
; %bb.1:
	s_load_dword s24, s[4:5], 0x28
	s_load_dwordx4 s[20:23], s[4:5], 0x18
	s_mul_i32 s1, s1, s7
	s_mul_hi_u32 s19, s0, s7
	s_add_i32 s1, s19, s1
	s_mul_i32 s0, s0, s7
	s_waitcnt lgkmcnt(0)
	s_ashr_i32 s25, s24, 31
	s_lshl_b64 s[0:1], s[0:1], 2
	s_add_u32 s19, s20, s0
	s_addc_u32 s20, s21, s1
	s_lshl_b64 s[0:1], s[22:23], 2
	s_add_u32 s0, s19, s0
	s_addc_u32 s1, s20, s1
	v_lshlrev_b32_e32 v3, 2, v0
	v_mov_b32_e32 v2, s1
	v_add_co_u32_e32 v1, vcc, s0, v3
	s_lshl_b64 s[0:1], s[24:25], 2
	v_addc_co_u32_e32 v2, vcc, 0, v2, vcc
	v_mov_b32_e32 v4, s1
	v_mov_b32_e32 v5, v3
	s_mov_b32 s1, s18
.LBB35_2:                               ; =>This Inner Loop Header: Depth=1
	global_load_dword v6, v[1:2], off
	v_add_co_u32_e32 v1, vcc, s0, v1
	s_add_i32 s1, s1, -1
	v_addc_co_u32_e32 v2, vcc, v2, v4, vcc
	s_cmp_eq_u32 s1, 0
	s_waitcnt vmcnt(0)
	ds_write_b32 v5, v6
	v_add_u32_e32 v5, 0x70, v5
	s_cbranch_scc0 .LBB35_2
; %bb.3:
	s_cmpk_eq_i32 s10, 0x84
	s_cbranch_scc0 .LBB35_5
; %bb.4:
	s_movk_i32 s0, 0x70
	v_mad_u32_u24 v1, v0, s0, v3
	v_mov_b32_e32 v2, 1.0
	ds_write_b32 v1, v2
.LBB35_5:
	s_or_b64 exec, exec, s[16:17]
	s_load_dword s0, s[4:5], 0x60
	s_load_dwordx2 s[16:17], s[4:5], 0x50
	s_load_dword s10, s[4:5], 0x48
	s_waitcnt lgkmcnt(0)
	s_mul_i32 s1, s17, s7
	s_mul_hi_u32 s5, s16, s7
	s_mul_i32 s4, s16, s7
	s_add_i32 s5, s5, s1
	s_lshl_b64 s[4:5], s[4:5], 2
	s_add_u32 s1, s2, s4
	s_addc_u32 s4, s3, s5
	s_lshl_b64 s[2:3], s[14:15], 2
	s_add_u32 s1, s1, s2
	s_addc_u32 s2, s4, s3
	s_mul_i32 s3, s6, 0xffffffe4
	s_add_i32 s0, s0, -1
	s_add_i32 s3, s11, s3
	s_cmp_ge_u32 s6, s0
	s_cselect_b32 s0, s3, 28
	s_mul_hi_i32 s3, s6, 0x70
	s_mulk_i32 s6, 0x70
	s_add_u32 s14, s1, s6
	s_addc_u32 s15, s2, s3
	v_cmp_gt_i32_e64 s[0:1], s0, v0
	s_and_saveexec_b64 s[2:3], s[0:1]
	s_cbranch_execz .LBB35_9
; %bb.6:
	s_cmp_lt_i32 s12, 1
	s_cbranch_scc1 .LBB35_9
; %bb.7:
	s_ashr_i32 s11, s10, 31
	v_lshlrev_b32_e32 v3, 2, v0
	v_mov_b32_e32 v2, s15
	v_add_co_u32_e32 v1, vcc, s14, v3
	s_lshl_b64 s[4:5], s[10:11], 2
	v_addc_co_u32_e32 v2, vcc, 0, v2, vcc
	v_add_u32_e32 v3, 0xc40, v3
	v_mov_b32_e32 v4, s5
	s_mov_b32 s5, s12
.LBB35_8:                               ; =>This Inner Loop Header: Depth=1
	global_load_dword v5, v[1:2], off
	s_add_i32 s5, s5, -1
	v_add_co_u32_e32 v1, vcc, s4, v1
	v_addc_co_u32_e32 v2, vcc, v2, v4, vcc
	s_cmp_lg_u32 s5, 0
	s_waitcnt vmcnt(0)
	v_mul_f32_e32 v5, s13, v5
	ds_write_b32 v3, v5
	v_add_u32_e32 v3, 0x70, v3
	s_cbranch_scc1 .LBB35_8
.LBB35_9:
	s_or_b64 exec, exec, s[2:3]
	s_cmpk_eq_i32 s9, 0x6f
	s_cselect_b64 s[2:3], -1, 0
	s_cmpk_lg_i32 s8, 0x79
	s_cselect_b64 s[4:5], -1, 0
	s_cmpk_eq_i32 s8, 0x79
	s_cselect_b64 s[6:7], -1, 0
	s_and_b64 s[6:7], s[6:7], s[2:3]
	s_andn2_b64 vcc, exec, s[6:7]
	s_mov_b64 s[6:7], -1
	s_waitcnt lgkmcnt(0)
	; wave barrier
	s_cbranch_vccz .LBB35_66
; %bb.10:
	s_cmpk_lg_i32 s8, 0x7a
	s_cselect_b64 s[16:17], -1, 0
	s_xor_b64 s[2:3], s[2:3], -1
	s_add_i32 s8, s18, -1
	s_or_b64 s[16:17], s[16:17], s[2:3]
	v_mov_b32_e32 v1, 0xc40
	s_cmp_gt_i32 s12, 3
	v_lshl_add_u32 v3, v0, 2, v1
	s_cselect_b64 s[2:3], -1, 0
	s_and_b64 vcc, exec, s[16:17]
	s_cbranch_vccz .LBB35_45
; %bb.11:
	s_andn2_b64 vcc, exec, s[4:5]
	s_mov_b64 s[4:5], -1
	s_cbranch_vccnz .LBB35_24
; %bb.12:
	s_andn2_b64 vcc, exec, s[2:3]
	s_mov_b32 s6, 0
	s_cbranch_vccnz .LBB35_18
; %bb.13:
	v_mov_b32_e32 v1, 0xc40
	v_lshl_add_u32 v4, v0, 2, v1
	s_mov_b32 s4, 0
	s_mov_b32 s5, 0
.LBB35_14:                              ; =>This Loop Header: Depth=1
                                        ;     Child Loop BB35_15 Depth 2
	s_or_b32 s7, s5, 3
	s_mul_i32 s6, s5, 0x70
	v_add_u32_e32 v5, s6, v3
	s_mulk_i32 s7, 0x70
	ds_read2_b32 v[1:2], v5 offset1:28
	v_add_u32_e32 v6, s7, v3
	ds_read_b32 v8, v5 offset:224
	ds_read_b32 v7, v6
	s_cmp_eq_u32 s5, 0
	v_mov_b32_e32 v9, v4
	s_mov_b32 s7, s4
	s_mov_b32 s9, s5
	s_cbranch_scc1 .LBB35_16
.LBB35_15:                              ;   Parent Loop BB35_14 Depth=1
                                        ; =>  This Inner Loop Header: Depth=2
	v_mov_b32_e32 v10, s7
	ds_read_b32 v14, v9
	ds_read_b128 v[10:13], v10
	s_add_i32 s9, s9, -1
	s_addk_i32 s7, 0x70
	v_add_u32_e32 v9, 0x70, v9
	s_cmp_eq_u32 s9, 0
	s_waitcnt lgkmcnt(0)
	v_fma_f32 v1, -v14, v10, v1
	v_fma_f32 v2, -v14, v11, v2
	;; [unrolled: 1-line block ×4, first 2 shown]
	s_cbranch_scc0 .LBB35_15
.LBB35_16:                              ;   in Loop: Header=BB35_14 Depth=1
	s_lshl_b32 s9, s5, 2
	s_add_i32 s11, s9, s6
	v_mov_b32_e32 v15, s11
	ds_read_b128 v[9:12], v15
	ds_read2_b32 v[13:14], v15 offset0:29 offset1:30
	s_addk_i32 s11, 0x74
	s_add_i32 s4, s4, 16
	s_waitcnt lgkmcnt(1)
	v_div_scale_f32 v16, s[6:7], v9, v9, v1
	v_div_scale_f32 v17, vcc, v1, v9, v1
	v_rcp_f32_e32 v18, v16
	v_fma_f32 v19, -v16, v18, 1.0
	v_fmac_f32_e32 v18, v19, v18
	v_mul_f32_e32 v19, v17, v18
	v_fma_f32 v20, -v16, v19, v17
	v_fmac_f32_e32 v19, v20, v18
	v_fma_f32 v16, -v16, v19, v17
	v_div_fmas_f32 v16, v16, v18, v19
	v_div_fixup_f32 v9, v16, v9, v1
	v_fma_f32 v10, -v9, v10, v2
	s_waitcnt lgkmcnt(0)
	v_div_scale_f32 v1, s[6:7], v13, v13, v10
	v_div_scale_f32 v2, vcc, v10, v13, v10
	v_fma_f32 v8, -v9, v11, v8
	v_fma_f32 v7, -v9, v12, v7
	v_rcp_f32_e32 v16, v1
	v_fma_f32 v17, -v1, v16, 1.0
	v_fmac_f32_e32 v16, v17, v16
	v_mul_f32_e32 v17, v2, v16
	v_fma_f32 v18, -v1, v17, v2
	v_fmac_f32_e32 v17, v18, v16
	v_fma_f32 v1, -v1, v17, v2
	v_div_fmas_f32 v16, v1, v16, v17
	ds_read_b64 v[1:2], v15 offset:232
	ds_read_b32 v15, v15 offset:348
	v_div_fixup_f32 v10, v16, v13, v10
	v_fma_f32 v8, -v10, v14, v8
	s_waitcnt lgkmcnt(1)
	v_div_scale_f32 v11, s[6:7], v1, v1, v8
	v_div_scale_f32 v13, vcc, v8, v1, v8
	s_or_b32 s6, s9, 4
	s_sub_i32 s6, s11, s6
	s_add_i32 s6, s6, s9
	v_rcp_f32_e32 v14, v11
	v_fma_f32 v16, -v11, v14, 1.0
	v_fmac_f32_e32 v14, v16, v14
	v_mul_f32_e32 v16, v13, v14
	v_fma_f32 v17, -v11, v16, v13
	v_fmac_f32_e32 v16, v17, v14
	v_fma_f32 v11, -v11, v16, v13
	v_div_fmas_f32 v11, v11, v14, v16
	v_mov_b32_e32 v13, s6
	ds_read_b32 v13, v13 offset:12
	s_waitcnt lgkmcnt(0)
	v_fma_f32 v7, -v10, v13, v7
	v_div_fixup_f32 v1, v11, v1, v8
	v_fma_f32 v2, -v1, v2, v7
	v_div_scale_f32 v7, s[6:7], v15, v15, v2
	v_div_scale_f32 v8, vcc, v2, v15, v2
	s_add_i32 s6, s5, 4
	s_add_i32 s5, s5, 7
	ds_write2_b32 v5, v9, v10 offset1:28
	ds_write_b32 v5, v1 offset:224
	s_cmp_ge_i32 s5, s18
	v_rcp_f32_e32 v11, v7
	v_fma_f32 v12, -v7, v11, 1.0
	v_fmac_f32_e32 v11, v12, v11
	v_mul_f32_e32 v12, v8, v11
	v_fma_f32 v13, -v7, v12, v8
	v_fmac_f32_e32 v12, v13, v11
	v_fma_f32 v7, -v7, v12, v8
	v_div_fmas_f32 v7, v7, v11, v12
	v_div_fixup_f32 v1, v7, v15, v2
	ds_write_b32 v6, v1
	s_cbranch_scc1 .LBB35_18
; %bb.17:                               ;   in Loop: Header=BB35_14 Depth=1
	s_mov_b32 s5, s6
	s_branch .LBB35_14
.LBB35_18:
	s_cmp_ge_i32 s6, s18
	s_cbranch_scc1 .LBB35_23
; %bb.19:
	v_mov_b32_e32 v1, 0xc40
	s_lshl_b32 s4, s6, 2
	v_lshl_add_u32 v1, v0, 2, v1
	s_branch .LBB35_21
.LBB35_20:                              ;   in Loop: Header=BB35_21 Depth=1
	s_lshl_b32 s7, s6, 2
	s_add_i32 s5, s7, s5
	v_mov_b32_e32 v5, s5
	ds_read_b32 v5, v5
	s_add_i32 s6, s6, 1
	s_add_i32 s4, s4, 4
	s_cmp_ge_i32 s6, s18
	s_waitcnt lgkmcnt(0)
	v_div_scale_f32 v6, s[16:17], v5, v5, v4
	v_div_scale_f32 v7, vcc, v4, v5, v4
	v_rcp_f32_e32 v8, v6
	v_fma_f32 v9, -v6, v8, 1.0
	v_fmac_f32_e32 v8, v9, v8
	v_mul_f32_e32 v9, v7, v8
	v_fma_f32 v10, -v6, v9, v7
	v_fmac_f32_e32 v9, v10, v8
	v_fma_f32 v6, -v6, v9, v7
	v_div_fmas_f32 v6, v6, v8, v9
	v_div_fixup_f32 v4, v6, v5, v4
	ds_write_b32 v2, v4
	s_cbranch_scc1 .LBB35_23
.LBB35_21:                              ; =>This Loop Header: Depth=1
                                        ;     Child Loop BB35_22 Depth 2
	s_mul_i32 s5, s6, 0x70
	v_add_u32_e32 v2, s5, v3
	ds_read_b32 v4, v2
	s_cmp_eq_u32 s6, 0
	v_mov_b32_e32 v5, v1
	s_mov_b32 s7, s4
	s_mov_b32 s9, s6
	s_cbranch_scc1 .LBB35_20
.LBB35_22:                              ;   Parent Loop BB35_21 Depth=1
                                        ; =>  This Inner Loop Header: Depth=2
	v_mov_b32_e32 v7, s7
	ds_read_b32 v6, v5
	ds_read_b32 v7, v7
	s_add_i32 s9, s9, -1
	s_addk_i32 s7, 0x70
	v_add_u32_e32 v5, 0x70, v5
	s_cmp_eq_u32 s9, 0
	s_waitcnt lgkmcnt(0)
	v_fma_f32 v4, -v6, v7, v4
	s_cbranch_scc0 .LBB35_22
	s_branch .LBB35_20
.LBB35_23:
	s_mov_b64 s[4:5], 0
.LBB35_24:
	s_and_b64 vcc, exec, s[4:5]
	s_cbranch_vccz .LBB35_44
; %bb.25:
	s_andn2_b64 vcc, exec, s[2:3]
	s_mov_b32 s6, s8
	s_cbranch_vccnz .LBB35_31
; %bb.26:
	s_mul_i32 s5, s18, 0x70
	s_mul_i32 s4, s18, 0x74
	v_lshl_add_u32 v1, v0, 2, s5
	s_addk_i32 s4, 0xff80
	v_add_u32_e32 v1, 0xbd0, v1
	s_mov_b32 s5, s8
.LBB35_27:                              ; =>This Loop Header: Depth=1
                                        ;     Child Loop BB35_28 Depth 2
	s_mul_i32 s7, s5, 0x70
	v_add_u32_e32 v2, s7, v3
	s_add_i32 s6, s7, 0xfffffeb0
	v_add_u32_e32 v4, 0xffffff90, v2
	v_add_u32_e32 v5, 0xffffff20, v2
	;; [unrolled: 1-line block ×3, first 2 shown]
	ds_read_b32 v10, v2
	ds_read_b32 v9, v4
	;; [unrolled: 1-line block ×4, first 2 shown]
	s_cmp_le_i32 s8, s5
	v_mov_b32_e32 v11, v1
	s_mov_b32 s9, s4
	s_mov_b32 s11, s8
	s_cbranch_scc1 .LBB35_29
.LBB35_28:                              ;   Parent Loop BB35_27 Depth=1
                                        ; =>  This Inner Loop Header: Depth=2
	v_mov_b32_e32 v14, s9
	ds_read_b32 v16, v11
	ds_read2_b32 v[12:13], v14 offset0:2 offset1:3
	ds_read2_b32 v[14:15], v14 offset1:1
	s_add_i32 s11, s11, -1
	s_addk_i32 s9, 0xff90
	v_add_u32_e32 v11, 0xffffff90, v11
	s_cmp_le_i32 s11, s5
	s_waitcnt lgkmcnt(1)
	v_fma_f32 v10, -v16, v13, v10
	v_fma_f32 v9, -v16, v12, v9
	s_waitcnt lgkmcnt(0)
	v_fma_f32 v8, -v16, v15, v8
	v_fma_f32 v7, -v16, v14, v7
	s_cbranch_scc0 .LBB35_28
.LBB35_29:                              ;   in Loop: Header=BB35_27 Depth=1
	s_add_i32 s9, s5, -3
	s_lshl_b32 s11, s5, 2
	s_add_i32 s13, s11, s7
	s_lshl_b32 s9, s9, 2
	s_add_i32 s16, s13, -4
	s_add_i32 s7, s7, s9
	v_mov_b32_e32 v11, s16
	s_add_i32 s16, s13, 0xffffff8c
	s_add_i32 s13, s13, -12
	s_add_i32 s9, s7, 0xffffff90
	v_mov_b32_e32 v13, s16
	v_mov_b32_e32 v14, s13
	;; [unrolled: 1-line block ×3, first 2 shown]
	ds_read2_b32 v[11:12], v11 offset1:1
	ds_read_b32 v17, v13
	ds_read2_b32 v[13:14], v14 offset1:1
	ds_read2_b32 v[15:16], v15 offset1:1
	s_add_i32 s6, s11, s6
	s_waitcnt lgkmcnt(3)
	v_div_scale_f32 v18, s[16:17], v12, v12, v10
	v_div_scale_f32 v19, vcc, v10, v12, v10
	s_addk_i32 s7, 0xff20
	s_add_i32 s6, s6, -12
	s_add_i32 s4, s4, -16
	v_rcp_f32_e32 v20, v18
	v_fma_f32 v21, -v18, v20, 1.0
	v_fmac_f32_e32 v20, v21, v20
	v_mul_f32_e32 v21, v19, v20
	v_fma_f32 v22, -v18, v21, v19
	v_fmac_f32_e32 v21, v22, v20
	v_fma_f32 v18, -v18, v21, v19
	v_div_fmas_f32 v18, v18, v20, v21
	v_div_fixup_f32 v12, v18, v12, v10
	v_fma_f32 v11, -v12, v11, v9
	s_waitcnt lgkmcnt(2)
	v_div_scale_f32 v9, s[16:17], v17, v17, v11
	v_div_scale_f32 v10, vcc, v11, v17, v11
	s_waitcnt lgkmcnt(1)
	v_fma_f32 v8, -v12, v14, v8
	v_fma_f32 v7, -v12, v13, v7
	v_rcp_f32_e32 v18, v9
	v_fma_f32 v19, -v9, v18, 1.0
	v_fmac_f32_e32 v18, v19, v18
	v_mul_f32_e32 v19, v10, v18
	v_fma_f32 v20, -v9, v19, v10
	v_fmac_f32_e32 v19, v20, v18
	v_fma_f32 v9, -v9, v19, v10
	v_div_fmas_f32 v18, v9, v18, v19
	v_mov_b32_e32 v9, s7
	v_mov_b32_e32 v19, s6
	ds_read2_b32 v[9:10], v9 offset1:1
	ds_read_b32 v19, v19
	v_div_fixup_f32 v11, v18, v17, v11
	s_waitcnt lgkmcnt(2)
	v_fma_f32 v8, -v11, v16, v8
	s_waitcnt lgkmcnt(1)
	v_div_scale_f32 v14, s[6:7], v10, v10, v8
	v_div_scale_f32 v16, vcc, v8, v10, v8
	v_fma_f32 v7, -v11, v15, v7
	v_rcp_f32_e32 v17, v14
	v_fma_f32 v18, -v14, v17, 1.0
	v_fmac_f32_e32 v17, v18, v17
	v_mul_f32_e32 v18, v16, v17
	v_fma_f32 v20, -v14, v18, v16
	v_fmac_f32_e32 v18, v20, v17
	v_fma_f32 v14, -v14, v18, v16
	v_div_fmas_f32 v14, v14, v17, v18
	v_div_fixup_f32 v8, v14, v10, v8
	v_fma_f32 v7, -v8, v9, v7
	s_waitcnt lgkmcnt(0)
	v_div_scale_f32 v9, s[6:7], v19, v19, v7
	v_div_scale_f32 v10, vcc, v7, v19, v7
	s_add_i32 s6, s5, -4
	ds_write_b32 v2, v12
	ds_write_b32 v4, v11
	;; [unrolled: 1-line block ×3, first 2 shown]
	s_cmp_lt_i32 s5, 7
	v_rcp_f32_e32 v13, v9
	v_fma_f32 v14, -v9, v13, 1.0
	v_fmac_f32_e32 v13, v14, v13
	v_mul_f32_e32 v14, v10, v13
	v_fma_f32 v15, -v9, v14, v10
	v_fmac_f32_e32 v14, v15, v13
	v_fma_f32 v9, -v9, v14, v10
	v_div_fmas_f32 v9, v9, v13, v14
	v_div_fixup_f32 v2, v9, v19, v7
	ds_write_b32 v6, v2
	s_cbranch_scc1 .LBB35_31
; %bb.30:                               ;   in Loop: Header=BB35_27 Depth=1
	s_mov_b32 s5, s6
	s_branch .LBB35_27
.LBB35_31:
	s_cmp_lt_i32 s6, 0
	s_cbranch_scc1 .LBB35_44
; %bb.32:
	s_bitcmp1_b32 s6, 0
	s_cselect_b64 s[4:5], -1, 0
	s_and_b64 vcc, exec, s[4:5]
	s_mov_b32 s4, s6
	s_cbranch_vccnz .LBB35_37
; %bb.33:
	s_mul_i32 s4, s6, 0x70
	v_add_u32_e32 v1, s4, v3
	ds_read_b32 v2, v1
	s_cmp_le_i32 s8, s6
	s_cbranch_scc1 .LBB35_36
; %bb.34:
	s_mul_i32 s7, s18, 0x70
	s_lshl_b32 s5, s6, 2
	s_add_i32 s5, s7, s5
	v_lshl_add_u32 v4, v0, 2, s7
	s_addk_i32 s5, 0xff90
	v_add_u32_e32 v4, 0xbd0, v4
	s_mov_b32 s7, s8
.LBB35_35:                              ; =>This Inner Loop Header: Depth=1
	v_mov_b32_e32 v6, s5
	ds_read_b32 v5, v4
	ds_read_b32 v6, v6
	s_add_i32 s7, s7, -1
	s_addk_i32 s5, 0xff90
	v_add_u32_e32 v4, 0xffffff90, v4
	s_cmp_gt_u32 s7, s6
	s_waitcnt lgkmcnt(0)
	v_fma_f32 v2, -v5, v6, v2
	s_cbranch_scc1 .LBB35_35
.LBB35_36:
	s_lshl_b32 s5, s6, 2
	s_add_i32 s4, s5, s4
	v_mov_b32_e32 v4, s4
	ds_read_b32 v4, v4
	s_waitcnt lgkmcnt(0)
	v_div_scale_f32 v5, s[4:5], v4, v4, v2
	v_div_scale_f32 v6, vcc, v2, v4, v2
	s_add_i32 s4, s6, -1
	v_rcp_f32_e32 v7, v5
	v_fma_f32 v8, -v5, v7, 1.0
	v_fmac_f32_e32 v7, v8, v7
	v_mul_f32_e32 v8, v6, v7
	v_fma_f32 v9, -v5, v8, v6
	v_fmac_f32_e32 v8, v9, v7
	v_fma_f32 v5, -v5, v8, v6
	v_div_fmas_f32 v5, v5, v7, v8
	v_div_fixup_f32 v2, v5, v4, v2
	ds_write_b32 v1, v2
.LBB35_37:
	s_cmp_eq_u32 s6, 0
	s_cbranch_scc1 .LBB35_44
; %bb.38:
	s_mul_i32 s6, s18, 0x70
	s_lshl_b32 s5, s4, 2
	s_add_i32 s7, s6, s5
	v_lshl_add_u32 v1, v0, 2, s6
	s_add_i32 s5, s7, 0xffffff90
	v_add_u32_e32 v1, 0xbd0, v1
	s_add_i32 s6, s7, 0xffffff8c
	s_branch .LBB35_40
.LBB35_39:                              ;   in Loop: Header=BB35_40 Depth=1
	s_mul_i32 s11, s9, 0x70
	s_add_i32 s7, s7, s11
	s_add_i32 s7, s7, -4
	v_mov_b32_e32 v4, s7
	ds_read_b32 v4, v4
	s_add_i32 s4, s4, -2
	s_add_i32 s5, s5, -8
	;; [unrolled: 1-line block ×3, first 2 shown]
	s_cmp_eq_u32 s9, 0
	s_waitcnt lgkmcnt(0)
	v_div_scale_f32 v6, s[16:17], v4, v4, v5
	v_div_scale_f32 v7, vcc, v5, v4, v5
	v_rcp_f32_e32 v8, v6
	v_fma_f32 v9, -v6, v8, 1.0
	v_fmac_f32_e32 v8, v9, v8
	v_mul_f32_e32 v9, v7, v8
	v_fma_f32 v10, -v6, v9, v7
	v_fmac_f32_e32 v9, v10, v8
	v_fma_f32 v6, -v6, v9, v7
	v_div_fmas_f32 v6, v6, v8, v9
	v_div_fixup_f32 v4, v6, v4, v5
	ds_write_b32 v2, v4
	s_cbranch_scc1 .LBB35_44
.LBB35_40:                              ; =>This Loop Header: Depth=1
                                        ;     Child Loop BB35_41 Depth 2
                                        ;     Child Loop BB35_43 Depth 2
	s_mul_i32 s9, s4, 0x70
	v_add_u32_e32 v4, s9, v3
	ds_read_b32 v6, v4
	s_cmp_le_i32 s8, s4
	v_mov_b32_e32 v2, v1
	s_mov_b32 s7, s5
	s_mov_b32 s11, s8
	s_cbranch_scc1 .LBB35_42
.LBB35_41:                              ;   Parent Loop BB35_40 Depth=1
                                        ; =>  This Inner Loop Header: Depth=2
	v_mov_b32_e32 v7, s7
	ds_read_b32 v5, v2
	ds_read_b32 v7, v7
	s_add_i32 s11, s11, -1
	s_addk_i32 s7, 0xff90
	v_add_u32_e32 v2, 0xffffff90, v2
	s_cmp_le_u32 s11, s4
	s_waitcnt lgkmcnt(0)
	v_fma_f32 v6, -v5, v7, v6
	s_cbranch_scc0 .LBB35_41
.LBB35_42:                              ;   in Loop: Header=BB35_40 Depth=1
	s_lshl_b32 s7, s4, 2
	s_add_i32 s11, s7, s9
	v_mov_b32_e32 v2, s11
	ds_read_b32 v8, v2
	s_addk_i32 s9, 0xff90
	v_add_u32_e32 v2, s9, v3
	ds_read_b32 v5, v2
	s_add_i32 s9, s4, -1
	s_waitcnt lgkmcnt(1)
	v_div_scale_f32 v7, s[16:17], v8, v8, v6
	v_div_scale_f32 v9, vcc, v6, v8, v6
	s_mov_b32 s11, s6
	s_cmp_le_i32 s18, s4
	s_mov_b32 s13, s8
	v_rcp_f32_e32 v10, v7
	v_fma_f32 v11, -v7, v10, 1.0
	v_fmac_f32_e32 v10, v11, v10
	v_mul_f32_e32 v11, v9, v10
	v_fma_f32 v12, -v7, v11, v9
	v_fmac_f32_e32 v11, v12, v10
	v_fma_f32 v7, -v7, v11, v9
	v_div_fmas_f32 v9, v7, v10, v11
	v_mov_b32_e32 v7, v1
	v_div_fixup_f32 v6, v9, v8, v6
	ds_write_b32 v4, v6
	s_cbranch_scc1 .LBB35_39
.LBB35_43:                              ;   Parent Loop BB35_40 Depth=1
                                        ; =>  This Inner Loop Header: Depth=2
	v_mov_b32_e32 v6, s11
	ds_read_b32 v4, v7
	ds_read_b32 v6, v6
	s_add_i32 s13, s13, -1
	s_addk_i32 s11, 0xff90
	v_add_u32_e32 v7, 0xffffff90, v7
	s_cmp_gt_u32 s13, s9
	s_waitcnt lgkmcnt(0)
	v_fma_f32 v5, -v4, v6, v5
	s_cbranch_scc1 .LBB35_43
	s_branch .LBB35_39
.LBB35_44:
	s_mov_b64 s[6:7], 0
.LBB35_45:
	s_andn2_b64 vcc, exec, s[6:7]
	s_cbranch_vccnz .LBB35_65
; %bb.46:
	s_andn2_b64 vcc, exec, s[2:3]
	s_mov_b32 s4, s8
	s_cbranch_vccnz .LBB35_52
; %bb.47:
	s_mul_i32 s2, s18, 0x70
	v_lshl_add_u32 v1, v0, 2, s2
	s_mul_i32 s2, s18, 0x74
	v_add_u32_e32 v1, 0xbd0, v1
	s_addk_i32 s2, 0xfe3c
	s_mov_b32 s3, s8
.LBB35_48:                              ; =>This Loop Header: Depth=1
                                        ;     Child Loop BB35_49 Depth 2
	s_mul_i32 s4, s3, 28
	v_lshl_add_u32 v2, s4, 2, v3
	v_add_u32_e32 v4, 0xffffff90, v2
	v_add_u32_e32 v6, 0xffffff20, v2
	;; [unrolled: 1-line block ×3, first 2 shown]
	ds_read_b32 v10, v2
	ds_read_b32 v9, v4
	;; [unrolled: 1-line block ×4, first 2 shown]
	s_cmp_le_i32 s8, s3
	s_mov_b32 s5, s2
	v_mov_b32_e32 v11, v1
	s_mov_b32 s6, s8
	s_cbranch_scc1 .LBB35_50
.LBB35_49:                              ;   Parent Loop BB35_48 Depth=1
                                        ; =>  This Inner Loop Header: Depth=2
	v_mov_b32_e32 v14, s5
	ds_read_b32 v16, v11
	ds_read2_b32 v[12:13], v14 offset0:56 offset1:84
	ds_read2_b32 v[14:15], v14 offset1:28
	s_add_i32 s6, s6, -1
	s_add_i32 s5, s5, -4
	v_add_u32_e32 v11, 0xffffff90, v11
	s_cmp_le_i32 s6, s3
	s_waitcnt lgkmcnt(1)
	v_fma_f32 v10, -v16, v13, v10
	v_fma_f32 v9, -v16, v12, v9
	s_waitcnt lgkmcnt(0)
	v_fma_f32 v8, -v16, v15, v8
	v_fma_f32 v7, -v16, v14, v7
	s_cbranch_scc0 .LBB35_49
.LBB35_50:                              ;   in Loop: Header=BB35_48 Depth=1
	s_mul_i32 s5, s3, 0x74
	s_lshl_b32 s4, s4, 2
	v_mov_b32_e32 v11, s5
	s_lshl_b32 s5, s3, 2
	s_add_i32 s6, s4, s5
	s_add_i32 s4, s6, 0xffffff8c
	v_mov_b32_e32 v12, s4
	s_add_i32 s4, s6, 0xffffff20
	v_mov_b32_e32 v13, s4
	;; [unrolled: 2-line block ×3, first 2 shown]
	ds_read_b32 v15, v11
	ds_read2_b32 v[11:12], v12 offset1:1
	ds_read_b32 v16, v13
	ds_read2_b32 v[13:14], v14 offset1:1
	s_addk_i32 s2, 0xfe40
	s_waitcnt lgkmcnt(3)
	v_div_scale_f32 v17, s[4:5], v15, v15, v10
	v_div_scale_f32 v18, vcc, v10, v15, v10
	v_rcp_f32_e32 v19, v17
	v_fma_f32 v20, -v17, v19, 1.0
	v_fmac_f32_e32 v19, v20, v19
	v_mul_f32_e32 v20, v18, v19
	v_fma_f32 v21, -v17, v20, v18
	v_fmac_f32_e32 v20, v21, v19
	v_fma_f32 v17, -v17, v20, v18
	v_div_fmas_f32 v17, v17, v19, v20
	v_div_fixup_f32 v15, v17, v15, v10
	s_waitcnt lgkmcnt(2)
	v_fma_f32 v9, -v15, v12, v9
	v_div_scale_f32 v10, s[4:5], v11, v11, v9
	v_div_scale_f32 v12, vcc, v9, v11, v9
	s_waitcnt lgkmcnt(1)
	v_fma_f32 v8, -v15, v16, v8
	v_rcp_f32_e32 v17, v10
	v_fma_f32 v18, -v10, v17, 1.0
	v_fmac_f32_e32 v17, v18, v17
	v_mul_f32_e32 v18, v12, v17
	v_fma_f32 v19, -v10, v18, v12
	v_fmac_f32_e32 v18, v19, v17
	v_fma_f32 v10, -v10, v18, v12
	v_div_fmas_f32 v10, v10, v17, v18
	v_div_fixup_f32 v12, v10, v11, v9
	s_waitcnt lgkmcnt(0)
	v_fma_f32 v14, -v12, v14, v8
	v_div_scale_f32 v8, s[4:5], v13, v13, v14
	v_div_scale_f32 v9, vcc, v14, v13, v14
	s_add_i32 s4, s6, 0xfffffeac
	v_rcp_f32_e32 v10, v8
	v_fma_f32 v11, -v8, v10, 1.0
	v_fmac_f32_e32 v10, v11, v10
	v_mul_f32_e32 v11, v9, v10
	v_fma_f32 v16, -v8, v11, v9
	v_fmac_f32_e32 v11, v16, v10
	v_fma_f32 v8, -v8, v11, v9
	v_div_fmas_f32 v16, v8, v10, v11
	v_mov_b32_e32 v8, s4
	ds_read2_b32 v[8:9], v8 offset1:1
	s_add_i32 s4, s6, 0xfffffea4
	v_mov_b32_e32 v10, s4
	ds_read2_b32 v[10:11], v10 offset1:1
	s_waitcnt lgkmcnt(1)
	v_fma_f32 v7, -v15, v9, v7
	v_fma_f32 v7, -v12, v8, v7
	v_div_fixup_f32 v8, v16, v13, v14
	s_waitcnt lgkmcnt(0)
	v_fma_f32 v7, -v8, v11, v7
	v_div_scale_f32 v9, s[4:5], v10, v10, v7
	v_div_scale_f32 v11, vcc, v7, v10, v7
	s_add_i32 s4, s3, -4
	ds_write_b32 v2, v15
	ds_write_b32 v4, v12
	;; [unrolled: 1-line block ×3, first 2 shown]
	s_cmp_lt_i32 s3, 7
	v_rcp_f32_e32 v13, v9
	v_fma_f32 v14, -v9, v13, 1.0
	v_fmac_f32_e32 v13, v14, v13
	v_mul_f32_e32 v14, v11, v13
	v_fma_f32 v16, -v9, v14, v11
	v_fmac_f32_e32 v14, v16, v13
	v_fma_f32 v9, -v9, v14, v11
	v_div_fmas_f32 v9, v9, v13, v14
	v_div_fixup_f32 v2, v9, v10, v7
	ds_write_b32 v5, v2
	s_cbranch_scc1 .LBB35_52
; %bb.51:                               ;   in Loop: Header=BB35_48 Depth=1
	s_mov_b32 s3, s4
	s_branch .LBB35_48
.LBB35_52:
	s_cmp_lt_i32 s4, 0
	s_cbranch_scc1 .LBB35_65
; %bb.53:
	s_bitcmp1_b32 s4, 0
	s_cselect_b64 s[2:3], -1, 0
	s_and_b64 vcc, exec, s[2:3]
	s_mov_b32 s2, s4
	s_cbranch_vccnz .LBB35_58
; %bb.54:
	s_mul_i32 s2, s4, 0x70
	v_add_u32_e32 v1, s2, v3
	ds_read_b32 v2, v1
	s_cmp_le_i32 s8, s4
	s_cbranch_scc1 .LBB35_57
; %bb.55:
	s_lshl_b32 s3, s18, 2
	s_add_i32 s2, s2, s3
	s_mul_i32 s3, s18, 0x70
	v_lshl_add_u32 v4, v0, 2, s3
	s_add_i32 s2, s2, -4
	v_add_u32_e32 v4, 0xbd0, v4
	s_mov_b32 s3, s8
.LBB35_56:                              ; =>This Inner Loop Header: Depth=1
	v_mov_b32_e32 v6, s2
	ds_read_b32 v5, v4
	ds_read_b32 v6, v6
	s_add_i32 s3, s3, -1
	s_add_i32 s2, s2, -4
	v_add_u32_e32 v4, 0xffffff90, v4
	s_cmp_gt_u32 s3, s4
	s_waitcnt lgkmcnt(0)
	v_fma_f32 v2, -v5, v6, v2
	s_cbranch_scc1 .LBB35_56
.LBB35_57:
	s_mul_i32 s2, s4, 0x74
	v_mov_b32_e32 v4, s2
	ds_read_b32 v4, v4
	s_waitcnt lgkmcnt(0)
	v_div_scale_f32 v5, s[2:3], v4, v4, v2
	v_div_scale_f32 v6, vcc, v2, v4, v2
	s_add_i32 s2, s4, -1
	v_rcp_f32_e32 v7, v5
	v_fma_f32 v8, -v5, v7, 1.0
	v_fmac_f32_e32 v7, v8, v7
	v_mul_f32_e32 v8, v6, v7
	v_fma_f32 v9, -v5, v8, v6
	v_fmac_f32_e32 v8, v9, v7
	v_fma_f32 v5, -v5, v8, v6
	v_div_fmas_f32 v5, v5, v7, v8
	v_div_fixup_f32 v2, v5, v4, v2
	ds_write_b32 v1, v2
.LBB35_58:
	s_cmp_eq_u32 s4, 0
	s_cbranch_scc1 .LBB35_65
; %bb.59:
	s_mul_i32 s3, s18, 0x70
	v_lshl_add_u32 v1, v0, 2, s3
	s_mul_i32 s3, s2, 0x70
	s_lshl_b32 s4, s18, 2
	s_add_i32 s4, s3, s4
	v_add_u32_e32 v1, 0xbd0, v1
	s_add_i32 s3, s4, -4
	s_addk_i32 s4, 0xff8c
	s_branch .LBB35_61
.LBB35_60:                              ;   in Loop: Header=BB35_61 Depth=1
	s_addk_i32 s5, 0xff8c
	v_mov_b32_e32 v4, s5
	ds_read_b32 v4, v4
	s_add_i32 s2, s2, -2
	s_addk_i32 s3, 0xff20
	s_addk_i32 s4, 0xff20
	s_cmp_eq_u32 s6, 0
	s_waitcnt lgkmcnt(0)
	v_div_scale_f32 v6, s[16:17], v4, v4, v5
	v_div_scale_f32 v7, vcc, v5, v4, v5
	v_rcp_f32_e32 v8, v6
	v_fma_f32 v9, -v6, v8, 1.0
	v_fmac_f32_e32 v8, v9, v8
	v_mul_f32_e32 v9, v7, v8
	v_fma_f32 v10, -v6, v9, v7
	v_fmac_f32_e32 v9, v10, v8
	v_fma_f32 v6, -v6, v9, v7
	v_div_fmas_f32 v6, v6, v8, v9
	v_div_fixup_f32 v4, v6, v4, v5
	ds_write_b32 v2, v4
	s_cbranch_scc1 .LBB35_65
.LBB35_61:                              ; =>This Loop Header: Depth=1
                                        ;     Child Loop BB35_62 Depth 2
                                        ;     Child Loop BB35_64 Depth 2
	s_mul_i32 s5, s2, 0x70
	v_add_u32_e32 v4, s5, v3
	ds_read_b32 v6, v4
	s_cmp_le_i32 s8, s2
	s_mov_b32 s5, s3
	v_mov_b32_e32 v2, v1
	s_mov_b32 s6, s8
	s_cbranch_scc1 .LBB35_63
.LBB35_62:                              ;   Parent Loop BB35_61 Depth=1
                                        ; =>  This Inner Loop Header: Depth=2
	v_mov_b32_e32 v7, s5
	ds_read_b32 v5, v2
	ds_read_b32 v7, v7
	s_add_i32 s6, s6, -1
	s_add_i32 s5, s5, -4
	v_add_u32_e32 v2, 0xffffff90, v2
	s_cmp_le_u32 s6, s2
	s_waitcnt lgkmcnt(0)
	v_fma_f32 v6, -v5, v7, v6
	s_cbranch_scc0 .LBB35_62
.LBB35_63:                              ;   in Loop: Header=BB35_61 Depth=1
	s_mul_i32 s5, s2, 0x74
	v_mov_b32_e32 v2, s5
	ds_read_b32 v8, v2
	v_add_u32_e32 v2, 0xffffff90, v4
	ds_read_b32 v5, v2
	s_mov_b32 s9, s8
	s_waitcnt lgkmcnt(1)
	v_div_scale_f32 v7, s[6:7], v8, v8, v6
	v_div_scale_f32 v9, vcc, v6, v8, v6
	s_add_i32 s6, s2, -1
	s_mov_b32 s7, s4
	s_cmp_le_i32 s18, s2
	v_rcp_f32_e32 v10, v7
	v_fma_f32 v11, -v7, v10, 1.0
	v_fmac_f32_e32 v10, v11, v10
	v_mul_f32_e32 v11, v9, v10
	v_fma_f32 v12, -v7, v11, v9
	v_fmac_f32_e32 v11, v12, v10
	v_fma_f32 v7, -v7, v11, v9
	v_div_fmas_f32 v9, v7, v10, v11
	v_mov_b32_e32 v7, v1
	v_div_fixup_f32 v6, v9, v8, v6
	ds_write_b32 v4, v6
	s_cbranch_scc1 .LBB35_60
.LBB35_64:                              ;   Parent Loop BB35_61 Depth=1
                                        ; =>  This Inner Loop Header: Depth=2
	v_mov_b32_e32 v6, s7
	ds_read_b32 v4, v7
	ds_read_b32 v6, v6
	s_add_i32 s9, s9, -1
	s_add_i32 s7, s7, -4
	v_add_u32_e32 v7, 0xffffff90, v7
	s_cmp_gt_u32 s9, s6
	s_waitcnt lgkmcnt(0)
	v_fma_f32 v5, -v4, v6, v5
	s_cbranch_scc1 .LBB35_64
	s_branch .LBB35_60
.LBB35_65:
	s_mov_b64 s[6:7], 0
.LBB35_66:
	s_andn2_b64 vcc, exec, s[6:7]
	s_cbranch_vccnz .LBB35_78
; %bb.67:
	v_mov_b32_e32 v1, 0xc40
	v_lshl_add_u32 v5, v0, 2, v1
	s_cmp_lt_i32 s12, 4
	s_mov_b32 s4, 0
	s_cbranch_scc1 .LBB35_73
; %bb.68:
	s_mov_b32 s2, 0
	s_mov_b32 s3, 0
.LBB35_69:                              ; =>This Loop Header: Depth=1
                                        ;     Child Loop BB35_70 Depth 2
	s_mul_i32 s4, s3, 28
	v_lshl_add_u32 v6, s4, 2, v5
	ds_read2_b32 v[3:4], v6 offset1:28
	ds_read2_b32 v[1:2], v6 offset0:56 offset1:84
	s_cmp_eq_u32 s3, 0
	s_mov_b32 s5, s2
	v_mov_b32_e32 v7, v5
	s_mov_b32 s6, s3
	s_cbranch_scc1 .LBB35_71
.LBB35_70:                              ;   Parent Loop BB35_69 Depth=1
                                        ; =>  This Inner Loop Header: Depth=2
	v_mov_b32_e32 v10, s5
	ds_read_b32 v12, v7
	ds_read2_b32 v[8:9], v10 offset1:28
	ds_read2_b32 v[10:11], v10 offset0:56 offset1:84
	s_add_i32 s6, s6, -1
	s_add_i32 s5, s5, 4
	v_add_u32_e32 v7, 0x70, v7
	s_cmp_eq_u32 s6, 0
	s_waitcnt lgkmcnt(1)
	v_fma_f32 v3, -v12, v8, v3
	v_fma_f32 v4, -v12, v9, v4
	s_waitcnt lgkmcnt(0)
	v_fma_f32 v1, -v12, v10, v1
	v_fma_f32 v2, -v12, v11, v2
	s_cbranch_scc0 .LBB35_70
.LBB35_71:                              ;   in Loop: Header=BB35_69 Depth=1
	s_mul_i32 s5, s3, 0x74
	v_mov_b32_e32 v7, s5
	ds_read_b32 v12, v7
	s_lshl_b32 s4, s4, 2
	s_lshl_b32 s5, s3, 2
	s_add_i32 s4, s4, s5
	v_mov_b32_e32 v13, s4
	s_waitcnt lgkmcnt(0)
	v_div_scale_f32 v14, s[4:5], v12, v12, v3
	v_div_scale_f32 v15, vcc, v3, v12, v3
	ds_read_b64 v[7:8], v13 offset:112
	ds_read_b96 v[9:11], v13 offset:224
	s_addk_i32 s2, 0x1c0
	v_rcp_f32_e32 v16, v14
	v_fma_f32 v17, -v14, v16, 1.0
	v_fmac_f32_e32 v16, v17, v16
	v_mul_f32_e32 v17, v15, v16
	v_fma_f32 v18, -v14, v17, v15
	v_fmac_f32_e32 v17, v18, v16
	v_fma_f32 v14, -v14, v17, v15
	v_div_fmas_f32 v14, v14, v16, v17
	v_div_fixup_f32 v3, v14, v12, v3
	s_waitcnt lgkmcnt(1)
	v_fma_f32 v4, -v3, v7, v4
	v_div_scale_f32 v7, s[4:5], v8, v8, v4
	v_div_scale_f32 v12, vcc, v4, v8, v4
	s_waitcnt lgkmcnt(0)
	v_fma_f32 v1, -v3, v9, v1
	v_rcp_f32_e32 v14, v7
	v_fma_f32 v15, -v7, v14, 1.0
	v_fmac_f32_e32 v14, v15, v14
	v_mul_f32_e32 v15, v12, v14
	v_fma_f32 v16, -v7, v15, v12
	v_fmac_f32_e32 v15, v16, v14
	v_fma_f32 v7, -v7, v15, v12
	v_div_fmas_f32 v7, v7, v14, v15
	v_div_fixup_f32 v4, v7, v8, v4
	v_fma_f32 v1, -v4, v10, v1
	v_div_scale_f32 v7, s[4:5], v11, v11, v1
	v_div_scale_f32 v8, vcc, v1, v11, v1
	ds_write2_b32 v6, v3, v4 offset1:28
	v_rcp_f32_e32 v9, v7
	v_fma_f32 v10, -v7, v9, 1.0
	v_fmac_f32_e32 v9, v10, v9
	v_mul_f32_e32 v10, v8, v9
	v_fma_f32 v12, -v7, v10, v8
	v_fmac_f32_e32 v10, v12, v9
	v_fma_f32 v7, -v7, v10, v8
	v_div_fmas_f32 v12, v7, v9, v10
	ds_read_b128 v[7:10], v13 offset:336
	s_waitcnt lgkmcnt(0)
	v_fma_f32 v2, -v3, v7, v2
	v_fma_f32 v2, -v4, v8, v2
	v_div_fixup_f32 v1, v12, v11, v1
	v_fma_f32 v2, -v1, v9, v2
	v_div_scale_f32 v7, s[4:5], v10, v10, v2
	v_div_scale_f32 v8, vcc, v2, v10, v2
	s_add_i32 s4, s3, 4
	s_add_i32 s3, s3, 7
	s_cmp_ge_i32 s3, s18
	v_rcp_f32_e32 v9, v7
	v_fma_f32 v11, -v7, v9, 1.0
	v_fmac_f32_e32 v9, v11, v9
	v_mul_f32_e32 v11, v8, v9
	v_fma_f32 v12, -v7, v11, v8
	v_fmac_f32_e32 v11, v12, v9
	v_fma_f32 v7, -v7, v11, v8
	v_div_fmas_f32 v7, v7, v9, v11
	v_div_fixup_f32 v2, v7, v10, v2
	ds_write2_b32 v6, v1, v2 offset0:56 offset1:84
	s_cbranch_scc1 .LBB35_73
; %bb.72:                               ;   in Loop: Header=BB35_69 Depth=1
	s_mov_b32 s3, s4
	s_branch .LBB35_69
.LBB35_73:
	s_cmp_ge_i32 s4, s18
	s_cbranch_scc1 .LBB35_78
; %bb.74:
	v_mov_b32_e32 v1, 0xc40
	v_lshl_add_u32 v1, v0, 2, v1
	s_mul_i32 s2, s4, 0x70
	s_branch .LBB35_76
.LBB35_75:                              ;   in Loop: Header=BB35_76 Depth=1
	s_mul_i32 s3, s4, 0x74
	v_mov_b32_e32 v4, s3
	ds_read_b32 v4, v4
	s_add_i32 s4, s4, 1
	s_addk_i32 s2, 0x70
	s_cmp_ge_i32 s4, s18
	s_waitcnt lgkmcnt(0)
	v_div_scale_f32 v6, s[6:7], v4, v4, v3
	v_div_scale_f32 v7, vcc, v3, v4, v3
	v_rcp_f32_e32 v8, v6
	v_fma_f32 v9, -v6, v8, 1.0
	v_fmac_f32_e32 v8, v9, v8
	v_mul_f32_e32 v9, v7, v8
	v_fma_f32 v10, -v6, v9, v7
	v_fmac_f32_e32 v9, v10, v8
	v_fma_f32 v6, -v6, v9, v7
	v_div_fmas_f32 v6, v6, v8, v9
	v_div_fixup_f32 v3, v6, v4, v3
	ds_write_b32 v2, v3
	s_cbranch_scc1 .LBB35_78
.LBB35_76:                              ; =>This Loop Header: Depth=1
                                        ;     Child Loop BB35_77 Depth 2
	s_mul_i32 s3, s4, 0x70
	v_add_u32_e32 v2, s3, v5
	ds_read_b32 v3, v2
	s_cmp_eq_u32 s4, 0
	s_mov_b32 s3, s2
	v_mov_b32_e32 v4, v1
	s_mov_b32 s5, s4
	s_cbranch_scc1 .LBB35_75
.LBB35_77:                              ;   Parent Loop BB35_76 Depth=1
                                        ; =>  This Inner Loop Header: Depth=2
	v_mov_b32_e32 v7, s3
	ds_read_b32 v6, v4
	ds_read_b32 v7, v7
	s_add_i32 s5, s5, -1
	s_add_i32 s3, s3, 4
	v_add_u32_e32 v4, 0x70, v4
	s_cmp_eq_u32 s5, 0
	s_waitcnt lgkmcnt(0)
	v_fma_f32 v3, -v6, v7, v3
	s_cbranch_scc0 .LBB35_77
	s_branch .LBB35_75
.LBB35_78:
	s_and_saveexec_b64 s[2:3], s[0:1]
	s_cbranch_execz .LBB35_82
; %bb.79:
	s_cmp_lt_i32 s12, 1
	s_cbranch_scc1 .LBB35_82
; %bb.80:
	s_ashr_i32 s11, s10, 31
	v_lshlrev_b32_e32 v2, 2, v0
	v_mov_b32_e32 v1, s15
	v_add_co_u32_e32 v0, vcc, s14, v2
	s_lshl_b64 s[0:1], s[10:11], 2
	v_addc_co_u32_e32 v1, vcc, 0, v1, vcc
	v_add_u32_e32 v2, 0xc40, v2
	v_mov_b32_e32 v3, s1
.LBB35_81:                              ; =>This Inner Loop Header: Depth=1
	ds_read_b32 v4, v2
	s_add_i32 s12, s12, -1
	v_add_u32_e32 v2, 0x70, v2
	s_cmp_lg_u32 s12, 0
	s_waitcnt lgkmcnt(0)
	global_store_dword v[0:1], v4, off
	v_add_co_u32_e32 v0, vcc, s0, v0
	v_addc_co_u32_e32 v1, vcc, v1, v3, vcc
	s_cbranch_scc1 .LBB35_81
.LBB35_82:
	s_endpgm
	.section	.rodata,"a",@progbits
	.p2align	6, 0x0
	.amdhsa_kernel _ZL31rocblas_trsm_small_right_deviceIffPKfPfLi28EEv13rocblas_fill_18rocblas_operation_17rocblas_diagonal_iiT0_T1_lilT2_lili
		.amdhsa_group_segment_fixed_size 6272
		.amdhsa_private_segment_fixed_size 0
		.amdhsa_kernarg_size 352
		.amdhsa_user_sgpr_count 6
		.amdhsa_user_sgpr_private_segment_buffer 1
		.amdhsa_user_sgpr_dispatch_ptr 0
		.amdhsa_user_sgpr_queue_ptr 0
		.amdhsa_user_sgpr_kernarg_segment_ptr 1
		.amdhsa_user_sgpr_dispatch_id 0
		.amdhsa_user_sgpr_flat_scratch_init 0
		.amdhsa_user_sgpr_private_segment_size 0
		.amdhsa_uses_dynamic_stack 0
		.amdhsa_system_sgpr_private_segment_wavefront_offset 0
		.amdhsa_system_sgpr_workgroup_id_x 1
		.amdhsa_system_sgpr_workgroup_id_y 0
		.amdhsa_system_sgpr_workgroup_id_z 1
		.amdhsa_system_sgpr_workgroup_info 0
		.amdhsa_system_vgpr_workitem_id 0
		.amdhsa_next_free_vgpr 65
		.amdhsa_next_free_sgpr 98
		.amdhsa_reserve_vcc 1
		.amdhsa_reserve_flat_scratch 0
		.amdhsa_float_round_mode_32 0
		.amdhsa_float_round_mode_16_64 0
		.amdhsa_float_denorm_mode_32 3
		.amdhsa_float_denorm_mode_16_64 3
		.amdhsa_dx10_clamp 1
		.amdhsa_ieee_mode 1
		.amdhsa_fp16_overflow 0
		.amdhsa_exception_fp_ieee_invalid_op 0
		.amdhsa_exception_fp_denorm_src 0
		.amdhsa_exception_fp_ieee_div_zero 0
		.amdhsa_exception_fp_ieee_overflow 0
		.amdhsa_exception_fp_ieee_underflow 0
		.amdhsa_exception_fp_ieee_inexact 0
		.amdhsa_exception_int_div_zero 0
	.end_amdhsa_kernel
	.section	.text._ZL31rocblas_trsm_small_right_deviceIffPKfPfLi28EEv13rocblas_fill_18rocblas_operation_17rocblas_diagonal_iiT0_T1_lilT2_lili,"axG",@progbits,_ZL31rocblas_trsm_small_right_deviceIffPKfPfLi28EEv13rocblas_fill_18rocblas_operation_17rocblas_diagonal_iiT0_T1_lilT2_lili,comdat
.Lfunc_end35:
	.size	_ZL31rocblas_trsm_small_right_deviceIffPKfPfLi28EEv13rocblas_fill_18rocblas_operation_17rocblas_diagonal_iiT0_T1_lilT2_lili, .Lfunc_end35-_ZL31rocblas_trsm_small_right_deviceIffPKfPfLi28EEv13rocblas_fill_18rocblas_operation_17rocblas_diagonal_iiT0_T1_lilT2_lili
                                        ; -- End function
	.set _ZL31rocblas_trsm_small_right_deviceIffPKfPfLi28EEv13rocblas_fill_18rocblas_operation_17rocblas_diagonal_iiT0_T1_lilT2_lili.num_vgpr, 23
	.set _ZL31rocblas_trsm_small_right_deviceIffPKfPfLi28EEv13rocblas_fill_18rocblas_operation_17rocblas_diagonal_iiT0_T1_lilT2_lili.num_agpr, 0
	.set _ZL31rocblas_trsm_small_right_deviceIffPKfPfLi28EEv13rocblas_fill_18rocblas_operation_17rocblas_diagonal_iiT0_T1_lilT2_lili.numbered_sgpr, 26
	.set _ZL31rocblas_trsm_small_right_deviceIffPKfPfLi28EEv13rocblas_fill_18rocblas_operation_17rocblas_diagonal_iiT0_T1_lilT2_lili.num_named_barrier, 0
	.set _ZL31rocblas_trsm_small_right_deviceIffPKfPfLi28EEv13rocblas_fill_18rocblas_operation_17rocblas_diagonal_iiT0_T1_lilT2_lili.private_seg_size, 0
	.set _ZL31rocblas_trsm_small_right_deviceIffPKfPfLi28EEv13rocblas_fill_18rocblas_operation_17rocblas_diagonal_iiT0_T1_lilT2_lili.uses_vcc, 1
	.set _ZL31rocblas_trsm_small_right_deviceIffPKfPfLi28EEv13rocblas_fill_18rocblas_operation_17rocblas_diagonal_iiT0_T1_lilT2_lili.uses_flat_scratch, 0
	.set _ZL31rocblas_trsm_small_right_deviceIffPKfPfLi28EEv13rocblas_fill_18rocblas_operation_17rocblas_diagonal_iiT0_T1_lilT2_lili.has_dyn_sized_stack, 0
	.set _ZL31rocblas_trsm_small_right_deviceIffPKfPfLi28EEv13rocblas_fill_18rocblas_operation_17rocblas_diagonal_iiT0_T1_lilT2_lili.has_recursion, 0
	.set _ZL31rocblas_trsm_small_right_deviceIffPKfPfLi28EEv13rocblas_fill_18rocblas_operation_17rocblas_diagonal_iiT0_T1_lilT2_lili.has_indirect_call, 0
	.section	.AMDGPU.csdata,"",@progbits
; Kernel info:
; codeLenInByte = 5564
; TotalNumSgprs: 30
; NumVgprs: 23
; ScratchSize: 0
; MemoryBound: 0
; FloatMode: 240
; IeeeMode: 1
; LDSByteSize: 6272 bytes/workgroup (compile time only)
; SGPRBlocks: 12
; VGPRBlocks: 16
; NumSGPRsForWavesPerEU: 102
; NumVGPRsForWavesPerEU: 65
; Occupancy: 3
; WaveLimiterHint : 0
; COMPUTE_PGM_RSRC2:SCRATCH_EN: 0
; COMPUTE_PGM_RSRC2:USER_SGPR: 6
; COMPUTE_PGM_RSRC2:TRAP_HANDLER: 0
; COMPUTE_PGM_RSRC2:TGID_X_EN: 1
; COMPUTE_PGM_RSRC2:TGID_Y_EN: 0
; COMPUTE_PGM_RSRC2:TGID_Z_EN: 1
; COMPUTE_PGM_RSRC2:TIDIG_COMP_CNT: 0
	.section	.text._ZL38rocblas_trsm_small_left_device_sharedBILi32ELi32ELb0EffPKfPfEv13rocblas_fill_18rocblas_operation_17rocblas_diagonal_iiT3_T4_lilT5_lili,"axG",@progbits,_ZL38rocblas_trsm_small_left_device_sharedBILi32ELi32ELb0EffPKfPfEv13rocblas_fill_18rocblas_operation_17rocblas_diagonal_iiT3_T4_lilT5_lili,comdat
	.globl	_ZL38rocblas_trsm_small_left_device_sharedBILi32ELi32ELb0EffPKfPfEv13rocblas_fill_18rocblas_operation_17rocblas_diagonal_iiT3_T4_lilT5_lili ; -- Begin function _ZL38rocblas_trsm_small_left_device_sharedBILi32ELi32ELb0EffPKfPfEv13rocblas_fill_18rocblas_operation_17rocblas_diagonal_iiT3_T4_lilT5_lili
	.p2align	8
	.type	_ZL38rocblas_trsm_small_left_device_sharedBILi32ELi32ELb0EffPKfPfEv13rocblas_fill_18rocblas_operation_17rocblas_diagonal_iiT3_T4_lilT5_lili,@function
_ZL38rocblas_trsm_small_left_device_sharedBILi32ELi32ELb0EffPKfPfEv13rocblas_fill_18rocblas_operation_17rocblas_diagonal_iiT3_T4_lilT5_lili: ; @_ZL38rocblas_trsm_small_left_device_sharedBILi32ELi32ELb0EffPKfPfEv13rocblas_fill_18rocblas_operation_17rocblas_diagonal_iiT3_T4_lilT5_lili
; %bb.0:
	s_load_dwordx4 s[8:11], s[4:5], 0x4
	s_load_dword s17, s[4:5], 0x14
	s_load_dwordx4 s[0:3], s[4:5], 0x30
	s_load_dwordx2 s[12:13], s[4:5], 0x40
	s_waitcnt lgkmcnt(0)
	s_min_i32 s16, s10, 32
	v_cmp_gt_i32_e32 vcc, s16, v0
	s_and_saveexec_b64 s[14:15], vcc
	s_cbranch_execz .LBB36_6
; %bb.1:
	s_load_dword s18, s[4:5], 0x28
	s_load_dwordx4 s[20:23], s[4:5], 0x18
	s_mul_i32 s1, s1, s7
	s_mul_hi_u32 s19, s0, s7
	s_add_i32 s1, s19, s1
	s_mul_i32 s0, s0, s7
	s_waitcnt lgkmcnt(0)
	s_ashr_i32 s19, s18, 31
	s_lshl_b64 s[0:1], s[0:1], 2
	s_add_u32 s20, s20, s0
	s_addc_u32 s21, s21, s1
	s_lshl_b64 s[0:1], s[22:23], 2
	s_add_u32 s0, s20, s0
	s_addc_u32 s1, s21, s1
	v_lshlrev_b32_e32 v3, 2, v0
	v_mov_b32_e32 v2, s1
	v_add_co_u32_e32 v1, vcc, s0, v3
	s_lshl_b64 s[0:1], s[18:19], 2
	v_addc_co_u32_e32 v2, vcc, 0, v2, vcc
	v_mov_b32_e32 v4, s1
	v_mov_b32_e32 v5, v3
	s_mov_b32 s1, s16
.LBB36_2:                               ; =>This Inner Loop Header: Depth=1
	global_load_dword v6, v[1:2], off
	v_add_co_u32_e32 v1, vcc, s0, v1
	s_add_i32 s1, s1, -1
	v_addc_co_u32_e32 v2, vcc, v2, v4, vcc
	s_cmp_eq_u32 s1, 0
	s_waitcnt vmcnt(0)
	ds_write_b32 v5, v6
	v_add_u32_e32 v5, 0x80, v5
	s_cbranch_scc0 .LBB36_2
; %bb.3:
	v_lshlrev_b32_e32 v1, 7, v0
	s_cmpk_lg_i32 s9, 0x84
	v_mov_b32_e32 v2, 1.0
	v_add_u32_e32 v1, v3, v1
	s_cbranch_scc0 .LBB36_5
; %bb.4:
	ds_read_b32 v2, v1
	s_waitcnt lgkmcnt(0)
	v_div_scale_f32 v3, s[0:1], v2, v2, 1.0
	v_div_scale_f32 v4, vcc, 1.0, v2, 1.0
	v_rcp_f32_e32 v5, v3
	v_fma_f32 v6, -v3, v5, 1.0
	v_fmac_f32_e32 v5, v6, v5
	v_mul_f32_e32 v6, v4, v5
	v_fma_f32 v7, -v3, v6, v4
	v_fmac_f32_e32 v6, v7, v5
	v_fma_f32 v3, -v3, v6, v4
	v_div_fmas_f32 v3, v3, v5, v6
	v_div_fixup_f32 v2, v3, v2, 1.0
.LBB36_5:
	ds_write_b32 v1, v2
.LBB36_6:
	s_or_b64 exec, exec, s[14:15]
	s_load_dword s0, s[4:5], 0x60
	s_load_dwordx2 s[18:19], s[4:5], 0x50
	s_load_dword s14, s[4:5], 0x48
	s_waitcnt lgkmcnt(0)
	s_mul_i32 s1, s19, s7
	s_mul_hi_u32 s5, s18, s7
	s_mul_i32 s4, s18, s7
	s_add_i32 s5, s5, s1
	s_lshl_b64 s[4:5], s[4:5], 2
	s_add_u32 s1, s2, s4
	s_addc_u32 s4, s3, s5
	s_lshl_b64 s[2:3], s[12:13], 2
	s_add_u32 s2, s1, s2
	s_addc_u32 s3, s4, s3
	s_lshl_b32 s4, s6, 5
	s_add_i32 s0, s0, -1
	s_sub_i32 s1, s11, s4
	s_cmp_ge_u32 s6, s0
	s_cselect_b32 s5, s1, 32
	s_mul_hi_i32 s1, s14, s4
	s_mul_i32 s0, s14, s4
	s_lshl_b64 s[0:1], s[0:1], 2
	s_add_u32 s11, s2, s0
	s_addc_u32 s15, s3, s1
	s_cmp_gt_i32 s10, 0
	v_cmp_gt_i32_e64 s[0:1], s5, v0
	s_cselect_b64 s[2:3], -1, 0
	s_and_b64 s[6:7], s[0:1], s[2:3]
	s_and_saveexec_b64 s[4:5], s[6:7]
	s_cbranch_execz .LBB36_9
; %bb.7:
	v_mad_i64_i32 v[1:2], s[6:7], s14, v0, 0
	v_mov_b32_e32 v3, s15
	s_mov_b32 s6, s16
	v_lshlrev_b64 v[1:2], 2, v[1:2]
	v_add_co_u32_e32 v1, vcc, s11, v1
	v_addc_co_u32_e32 v2, vcc, v3, v2, vcc
	v_mov_b32_e32 v3, 0x1000
	v_lshl_or_b32 v3, v0, 2, v3
.LBB36_8:                               ; =>This Inner Loop Header: Depth=1
	global_load_dword v4, v[1:2], off
	s_add_i32 s6, s6, -1
	v_add_co_u32_e32 v1, vcc, 4, v1
	v_addc_co_u32_e32 v2, vcc, 0, v2, vcc
	s_cmp_lg_u32 s6, 0
	s_waitcnt vmcnt(0)
	v_mul_f32_e32 v4, s17, v4
	ds_write_b32 v3, v4
	v_add_u32_e32 v3, 0x80, v3
	s_cbranch_scc1 .LBB36_8
.LBB36_9:
	s_or_b64 exec, exec, s[4:5]
	v_mov_b32_e32 v1, 0x1000
	s_cmpk_eq_i32 s8, 0x6f
	v_lshl_or_b32 v33, v0, 2, v1
	s_mov_b64 s[4:5], -1
	s_waitcnt lgkmcnt(0)
	; wave barrier
	s_cbranch_scc1 .LBB36_32
; %bb.10:
	s_cmp_gt_i32 s10, 31
	s_cselect_b64 s[4:5], -1, 0
	s_and_b64 vcc, exec, s[4:5]
	s_cbranch_vccz .LBB36_20
; %bb.11:
	v_add_u32_e32 v15, 0x400, v33
	v_add_u32_e32 v23, 0x800, v33
	;; [unrolled: 1-line block ×3, first 2 shown]
	ds_read2_b32 v[1:2], v33 offset1:32
	ds_read2_b32 v[3:4], v33 offset0:64 offset1:96
	ds_read2_b32 v[5:6], v33 offset0:128 offset1:160
	ds_read2_b32 v[7:8], v33 offset0:192 offset1:224
	ds_read2_b32 v[9:10], v15 offset1:32
	ds_read2_b32 v[11:12], v15 offset0:64 offset1:96
	ds_read2_b32 v[13:14], v15 offset0:128 offset1:160
	ds_read2_b32 v[15:16], v15 offset0:192 offset1:224
	;; [unrolled: 4-line block ×4, first 2 shown]
	s_mov_b64 s[6:7], 0
	s_mov_b32 s17, 0
.LBB36_12:                              ; =>This Loop Header: Depth=1
                                        ;     Child Loop BB36_14 Depth 2
                                        ;     Child Loop BB36_17 Depth 2
	s_cmp_eq_u32 s6, 0
	s_cbranch_scc1 .LBB36_15
; %bb.13:                               ;   in Loop: Header=BB36_12 Depth=1
	s_mov_b64 s[8:9], s[6:7]
	s_lshl_b32 s18, s6, 7
	s_mov_b64 s[12:13], 0
	s_mov_b32 s9, s17
.LBB36_14:                              ;   Parent Loop BB36_12 Depth=1
                                        ; =>  This Inner Loop Header: Depth=2
	v_mov_b32_e32 v35, s9
	s_waitcnt lgkmcnt(0)
	s_set_gpr_idx_on s12, gpr_idx(SRC0)
	v_mov_b32_e32 v34, v1
	s_set_gpr_idx_off
	ds_read_b32 v35, v35
	s_add_u32 s12, s12, 1
	s_addc_u32 s13, s13, 0
	s_add_i32 s9, s9, 4
	s_set_gpr_idx_on s6, gpr_idx(SRC0)
	v_mov_b32_e32 v36, v1
	s_set_gpr_idx_off
	s_cmp_eq_u32 s6, s12
	s_waitcnt lgkmcnt(0)
	v_fma_f32 v34, -v34, v35, v36
	s_set_gpr_idx_on s6, gpr_idx(DST)
	v_mov_b32_e32 v1, v34
	s_set_gpr_idx_off
	s_cbranch_scc0 .LBB36_14
	s_branch .LBB36_16
.LBB36_15:                              ;   in Loop: Header=BB36_12 Depth=1
	s_mov_b64 s[8:9], 0
	s_mov_b32 s18, 0
.LBB36_16:                              ;   in Loop: Header=BB36_12 Depth=1
	s_mul_i32 s13, s6, 0x84
	v_mov_b32_e32 v34, s13
	ds_read_b32 v34, v34
	s_waitcnt lgkmcnt(1)
	s_set_gpr_idx_on s8, gpr_idx(SRC0)
	v_mov_b32_e32 v36, v1
	s_set_gpr_idx_off
	v_add_u32_e32 v35, s18, v33
	s_or_b32 s12, s6, 1
	s_add_u32 s18, s6, 1
	s_waitcnt lgkmcnt(0)
	v_mul_f32_e32 v34, v36, v34
	ds_write_b32 v35, v34
	s_set_gpr_idx_on s8, gpr_idx(DST)
	v_mov_b32_e32 v1, v34
	s_set_gpr_idx_off
	s_mov_b64 s[8:9], 0
	s_movk_i32 s19, 0x80
.LBB36_17:                              ;   Parent Loop BB36_12 Depth=1
                                        ; =>  This Inner Loop Header: Depth=2
	s_add_i32 s20, s17, s19
	v_mov_b32_e32 v35, s20
	s_set_gpr_idx_on s8, gpr_idx(SRC0)
	v_mov_b32_e32 v34, v1
	s_set_gpr_idx_off
	ds_read_b32 v35, v35
	s_add_u32 s8, s8, 1
	s_set_gpr_idx_on s12, gpr_idx(SRC0)
	v_mov_b32_e32 v36, v1
	s_set_gpr_idx_off
	s_addc_u32 s9, s9, 0
	s_add_i32 s19, s19, 4
	s_cmp_lg_u32 s18, s8
	s_waitcnt lgkmcnt(0)
	v_fma_f32 v34, -v34, v35, v36
	s_set_gpr_idx_on s12, gpr_idx(DST)
	v_mov_b32_e32 v1, v34
	s_set_gpr_idx_off
	s_cbranch_scc1 .LBB36_17
; %bb.18:                               ;   in Loop: Header=BB36_12 Depth=1
	v_mov_b32_e32 v35, s13
	ds_read_b32 v35, v35 offset:132
	s_add_u32 s6, s6, 2
	s_addc_u32 s7, s7, 0
	s_addk_i32 s17, 0x100
	v_lshl_add_u32 v36, s12, 7, v33
	s_waitcnt lgkmcnt(0)
	v_mul_f32_e32 v34, v34, v35
	s_cmp_eq_u32 s6, 32
	s_set_gpr_idx_on s12, gpr_idx(DST)
	v_mov_b32_e32 v1, v34
	s_set_gpr_idx_off
	ds_write_b32 v36, v34
	s_cbranch_scc0 .LBB36_12
; %bb.19:
	s_mov_b32 s6, 32
	s_cmp_lt_i32 s6, s16
	s_cbranch_scc1 .LBB36_21
	s_branch .LBB36_31
.LBB36_20:
	s_mov_b32 s6, 0
	s_cmp_lt_i32 s6, s16
	s_cbranch_scc0 .LBB36_31
.LBB36_21:
	s_or_b32 s8, s6, 27
	s_cmp_ge_u32 s8, s16
	s_cbranch_scc1 .LBB36_26
; %bb.22:
	s_lshl_b32 s7, s6, 7
	v_add_u32_e32 v31, s7, v33
	v_add_u32_e32 v1, 0x400, v31
	ds_read2_b32 v[25:26], v31 offset1:32
	ds_read2_b32 v[23:24], v31 offset0:64 offset1:96
	ds_read2_b32 v[21:22], v31 offset0:128 offset1:160
	;; [unrolled: 1-line block ×3, first 2 shown]
	ds_read2_b32 v[17:18], v1 offset1:32
	ds_read2_b32 v[15:16], v1 offset0:64 offset1:96
	ds_read2_b32 v[13:14], v1 offset0:128 offset1:160
	;; [unrolled: 1-line block ×3, first 2 shown]
	v_add_u32_e32 v1, 0x800, v31
	ds_read2_b32 v[9:10], v1 offset1:32
	ds_read2_b32 v[7:8], v1 offset0:64 offset1:96
	ds_read2_b32 v[5:6], v1 offset0:128 offset1:160
	;; [unrolled: 1-line block ×3, first 2 shown]
	v_add_u32_e32 v1, 0xc00, v31
	s_lshl_b32 s8, s8, 7
	ds_read2_b32 v[1:2], v1 offset1:32
	v_add_u32_e32 v27, s8, v33
	ds_read_b32 v29, v31 offset:3328
	ds_read_b32 v28, v27
	s_andn2_b64 vcc, exec, s[4:5]
	s_cbranch_vccnz .LBB36_25
; %bb.23:
	v_mov_b32_e32 v30, 0x1000
	v_lshl_or_b32 v30, v0, 2, v30
	s_mov_b32 s4, s6
	s_mov_b32 s5, s7
.LBB36_24:                              ; =>This Inner Loop Header: Depth=1
	v_mov_b32_e32 v32, s5
	ds_read2_b32 v[90:91], v30 offset1:32
	ds_read2_b64 v[34:37], v32 offset1:16
	ds_read2_b64 v[38:41], v32 offset0:32 offset1:48
	ds_read2_b64 v[42:45], v32 offset0:64 offset1:80
	;; [unrolled: 1-line block ×7, first 2 shown]
	v_add_u32_e32 v32, 0x800, v32
	ds_read2_b64 v[66:69], v32 offset1:16
	ds_read2_b64 v[70:73], v32 offset0:32 offset1:48
	ds_read2_b64 v[74:77], v32 offset0:64 offset1:80
	;; [unrolled: 1-line block ×5, first 2 shown]
	s_add_i32 s5, s5, 8
	s_add_i32 s4, s4, -2
	s_waitcnt lgkmcnt(13)
	v_fma_f32 v25, -v90, v34, v25
	v_fma_f32 v26, -v90, v36, v26
	s_waitcnt lgkmcnt(12)
	v_fma_f32 v23, -v90, v38, v23
	v_fma_f32 v24, -v90, v40, v24
	;; [unrolled: 3-line block ×14, first 2 shown]
	v_add_u32_e32 v30, 0x100, v30
	s_cmp_lg_u32 s4, 0
	v_fma_f32 v25, -v91, v35, v25
	v_fma_f32 v26, -v91, v37, v26
	;; [unrolled: 1-line block ×28, first 2 shown]
	s_cbranch_scc1 .LBB36_24
.LBB36_25:
	s_lshl_b32 s4, s6, 2
	s_add_i32 s5, s4, s7
	v_mov_b32_e32 v30, s5
	ds_read2_b32 v[41:42], v30 offset1:132
	s_or_b32 s5, s7, 0x80
	s_add_i32 s9, s4, s5
	v_mov_b32_e32 v32, s9
	s_or_b32 s9, s7, 0x100
	s_waitcnt lgkmcnt(0)
	v_mul_f32_e32 v25, v25, v41
	s_add_i32 s12, s4, s9
	ds_read_b64 v[37:38], v32
	ds_write_b32 v31, v25
	v_mov_b32_e32 v31, s12
	ds_read_b96 v[34:36], v31
	v_add_u32_e32 v31, s5, v33
	s_waitcnt lgkmcnt(2)
	v_fma_f32 v26, -v25, v37, v26
	v_mul_f32_e32 v26, v26, v38
	s_or_b32 s5, s7, 0x180
	s_waitcnt lgkmcnt(0)
	v_fma_f32 v23, -v25, v34, v23
	v_fma_f32 v23, -v26, v35, v23
	ds_write_b32 v31, v26
	v_mul_f32_e32 v23, v23, v36
	v_add_u32_e32 v31, s9, v33
	s_add_i32 s9, s4, s5
	ds_write_b32 v31, v23
	v_mov_b32_e32 v31, s9
	ds_read_b128 v[34:37], v31
	s_or_b32 s9, s7, 0x200
	s_add_i32 s12, s4, s9
	v_mov_b32_e32 v31, s12
	ds_read_b128 v[38:41], v31
	s_waitcnt lgkmcnt(1)
	v_fma_f32 v24, -v25, v34, v24
	v_fma_f32 v24, -v26, v35, v24
	;; [unrolled: 1-line block ×3, first 2 shown]
	v_add_u32_e32 v31, s5, v33
	s_or_b32 s5, s7, 0x280
	v_mul_f32_e32 v24, v24, v37
	s_add_i32 s12, s4, s5
	ds_write_b32 v31, v24
	s_waitcnt lgkmcnt(1)
	v_fma_f32 v21, -v25, v38, v21
	v_mov_b32_e32 v31, s12
	v_fma_f32 v21, -v26, v39, v21
	ds_read_b128 v[34:37], v31
	v_fma_f32 v21, -v23, v40, v21
	v_fma_f32 v21, -v24, v41, v21
	v_mul_f32_e32 v21, v21, v42
	v_add_u32_e32 v32, s9, v33
	ds_write_b32 v32, v21
	ds_read_b64 v[31:32], v31 offset:16
	s_waitcnt lgkmcnt(2)
	v_fma_f32 v22, -v25, v34, v22
	v_fma_f32 v22, -v26, v35, v22
	;; [unrolled: 1-line block ×3, first 2 shown]
	s_or_b32 s9, s7, 0x300
	v_fma_f32 v22, -v24, v37, v22
	s_add_i32 s12, s4, s9
	s_waitcnt lgkmcnt(0)
	v_fma_f32 v22, -v21, v31, v22
	v_mov_b32_e32 v31, s12
	ds_read_b128 v[34:37], v31
	ds_read_b96 v[38:40], v31 offset:16
	v_mul_f32_e32 v22, v22, v32
	v_add_u32_e32 v32, s5, v33
	s_or_b32 s5, s7, 0x380
	s_waitcnt lgkmcnt(1)
	v_fma_f32 v19, -v25, v34, v19
	v_fma_f32 v19, -v26, v35, v19
	s_add_i32 s12, s4, s5
	v_fma_f32 v19, -v23, v36, v19
	v_mov_b32_e32 v31, s12
	v_fma_f32 v19, -v24, v37, v19
	ds_read_b128 v[34:37], v31
	s_waitcnt lgkmcnt(1)
	v_fma_f32 v19, -v21, v38, v19
	v_fma_f32 v19, -v22, v39, v19
	v_mul_f32_e32 v19, v19, v40
	ds_read_b128 v[38:41], v31 offset:16
	ds_write_b32 v32, v22
	v_add_u32_e32 v32, s9, v33
	s_waitcnt lgkmcnt(2)
	v_fma_f32 v20, -v25, v34, v20
	s_or_b32 s9, s7, 0x400
	v_fma_f32 v20, -v26, v35, v20
	s_add_i32 s12, s4, s9
	v_fma_f32 v20, -v23, v36, v20
	v_mov_b32_e32 v31, s12
	v_fma_f32 v20, -v24, v37, v20
	ds_read_b128 v[34:37], v31
	s_waitcnt lgkmcnt(2)
	v_fma_f32 v20, -v21, v38, v20
	v_fma_f32 v20, -v22, v39, v20
	;; [unrolled: 1-line block ×3, first 2 shown]
	v_mul_f32_e32 v20, v20, v41
	ds_read_b128 v[38:41], v31 offset:16
	s_waitcnt lgkmcnt(1)
	v_fma_f32 v17, -v25, v34, v17
	v_fma_f32 v17, -v26, v35, v17
	ds_write_b32 v32, v19
	v_add_u32_e32 v32, s5, v33
	v_fma_f32 v17, -v23, v36, v17
	v_add_u32_e32 v31, 0x400, v30
	ds_write_b32 v32, v20
	v_fma_f32 v17, -v24, v37, v17
	ds_read2_b32 v[31:32], v31 offset0:8 offset1:140
	s_waitcnt lgkmcnt(3)
	v_fma_f32 v17, -v21, v38, v17
	v_fma_f32 v17, -v22, v39, v17
	;; [unrolled: 1-line block ×3, first 2 shown]
	s_or_b32 s5, s7, 0x480
	v_fma_f32 v17, -v20, v41, v17
	s_add_i32 s12, s4, s5
	s_waitcnt lgkmcnt(0)
	v_mul_f32_e32 v17, v17, v31
	v_mov_b32_e32 v31, s12
	ds_read_b128 v[34:37], v31
	v_add_u32_e32 v38, s9, v33
	ds_write_b32 v38, v17
	ds_read_b128 v[38:41], v31 offset:16
	ds_read_b64 v[42:43], v31 offset:32
	s_or_b32 s9, s7, 0x500
	s_waitcnt lgkmcnt(3)
	v_fma_f32 v18, -v25, v34, v18
	v_fma_f32 v18, -v26, v35, v18
	;; [unrolled: 1-line block ×4, first 2 shown]
	s_waitcnt lgkmcnt(1)
	v_fma_f32 v18, -v21, v38, v18
	s_add_i32 s12, s4, s9
	v_fma_f32 v18, -v22, v39, v18
	v_mov_b32_e32 v31, s12
	v_fma_f32 v18, -v19, v40, v18
	ds_read_b128 v[34:37], v31
	v_fma_f32 v18, -v20, v41, v18
	s_waitcnt lgkmcnt(1)
	v_fma_f32 v18, -v17, v42, v18
	v_mul_f32_e32 v18, v18, v43
	v_add_u32_e32 v38, s5, v33
	ds_write_b32 v38, v18
	ds_read_b128 v[38:41], v31 offset:16
	ds_read_b96 v[42:44], v31 offset:32
	s_waitcnt lgkmcnt(3)
	v_fma_f32 v15, -v25, v34, v15
	v_fma_f32 v15, -v26, v35, v15
	;; [unrolled: 1-line block ×4, first 2 shown]
	s_waitcnt lgkmcnt(1)
	v_fma_f32 v15, -v21, v38, v15
	s_or_b32 s5, s7, 0x580
	v_fma_f32 v15, -v22, v39, v15
	s_add_i32 s12, s4, s5
	v_fma_f32 v15, -v19, v40, v15
	v_mov_b32_e32 v31, s12
	v_fma_f32 v15, -v20, v41, v15
	ds_read_b128 v[34:37], v31
	s_waitcnt lgkmcnt(1)
	v_fma_f32 v15, -v17, v42, v15
	v_fma_f32 v15, -v18, v43, v15
	v_mul_f32_e32 v15, v15, v44
	v_add_u32_e32 v38, s9, v33
	ds_write_b32 v38, v15
	ds_read_b128 v[38:41], v31 offset:16
	ds_read_b128 v[42:45], v31 offset:32
	s_waitcnt lgkmcnt(3)
	v_fma_f32 v16, -v25, v34, v16
	v_fma_f32 v16, -v26, v35, v16
	;; [unrolled: 1-line block ×4, first 2 shown]
	s_waitcnt lgkmcnt(1)
	v_fma_f32 v16, -v21, v38, v16
	v_fma_f32 v16, -v22, v39, v16
	s_or_b32 s9, s7, 0x600
	v_fma_f32 v16, -v19, v40, v16
	s_add_i32 s12, s4, s9
	v_fma_f32 v16, -v20, v41, v16
	v_mov_b32_e32 v31, s12
	ds_read_b128 v[34:37], v31
	s_waitcnt lgkmcnt(1)
	v_fma_f32 v16, -v17, v42, v16
	v_fma_f32 v16, -v18, v43, v16
	;; [unrolled: 1-line block ×3, first 2 shown]
	v_mul_f32_e32 v16, v16, v45
	v_add_u32_e32 v38, s5, v33
	ds_write_b32 v38, v16
	ds_read_b128 v[38:41], v31 offset:16
	ds_read_b128 v[42:45], v31 offset:32
	s_waitcnt lgkmcnt(3)
	v_fma_f32 v13, -v25, v34, v13
	v_fma_f32 v13, -v26, v35, v13
	;; [unrolled: 1-line block ×4, first 2 shown]
	s_waitcnt lgkmcnt(1)
	v_fma_f32 v13, -v21, v38, v13
	v_fma_f32 v13, -v22, v39, v13
	;; [unrolled: 1-line block ×4, first 2 shown]
	s_waitcnt lgkmcnt(0)
	v_fma_f32 v13, -v17, v42, v13
	v_fma_f32 v13, -v18, v43, v13
	v_fma_f32 v13, -v15, v44, v13
	s_or_b32 s5, s7, 0x680
	v_fma_f32 v13, -v16, v45, v13
	v_add_u32_e32 v31, s9, v33
	s_add_i32 s9, s4, s5
	v_mul_f32_e32 v13, v13, v32
	v_mov_b32_e32 v32, s9
	ds_read_b128 v[34:37], v32
	ds_write_b32 v31, v13
	ds_read_b128 v[38:41], v32 offset:16
	ds_read_b128 v[42:45], v32 offset:32
	ds_read_b64 v[31:32], v32 offset:48
	s_or_b32 s6, s6, 28
	s_waitcnt lgkmcnt(4)
	v_fma_f32 v14, -v25, v34, v14
	v_fma_f32 v14, -v26, v35, v14
	v_fma_f32 v14, -v23, v36, v14
	v_fma_f32 v14, -v24, v37, v14
	s_waitcnt lgkmcnt(2)
	v_fma_f32 v14, -v21, v38, v14
	v_fma_f32 v14, -v22, v39, v14
	v_fma_f32 v14, -v19, v40, v14
	v_fma_f32 v14, -v20, v41, v14
	;; [unrolled: 5-line block ×3, first 2 shown]
	s_waitcnt lgkmcnt(0)
	v_fma_f32 v14, -v13, v31, v14
	v_add_u32_e32 v31, s5, v33
	s_or_b32 s5, s7, 0x700
	s_add_i32 s9, s4, s5
	v_mul_f32_e32 v14, v14, v32
	v_mov_b32_e32 v32, s9
	ds_read_b128 v[34:37], v32
	ds_write_b32 v31, v14
	ds_read_b128 v[38:41], v32 offset:16
	ds_read_b128 v[42:45], v32 offset:32
	ds_read_b96 v[46:48], v32 offset:48
	s_waitcnt lgkmcnt(4)
	v_fma_f32 v11, -v25, v34, v11
	v_fma_f32 v11, -v26, v35, v11
	v_fma_f32 v11, -v23, v36, v11
	v_fma_f32 v11, -v24, v37, v11
	s_waitcnt lgkmcnt(2)
	v_fma_f32 v11, -v21, v38, v11
	v_fma_f32 v11, -v22, v39, v11
	v_fma_f32 v11, -v19, v40, v11
	v_fma_f32 v11, -v20, v41, v11
	;; [unrolled: 5-line block ×3, first 2 shown]
	s_waitcnt lgkmcnt(0)
	v_fma_f32 v11, -v13, v46, v11
	v_fma_f32 v11, -v14, v47, v11
	v_mul_f32_e32 v50, v11, v48
	v_add_u32_e32 v11, s5, v33
	s_or_b32 s5, s7, 0x780
	s_add_i32 s9, s4, s5
	v_mov_b32_e32 v31, s9
	ds_read_b128 v[34:37], v31
	ds_write_b32 v11, v50
	ds_read_b128 v[38:41], v31 offset:16
	ds_read_b128 v[42:45], v31 offset:32
	;; [unrolled: 1-line block ×3, first 2 shown]
	s_waitcnt lgkmcnt(4)
	v_fma_f32 v11, -v25, v34, v12
	v_fma_f32 v11, -v26, v35, v11
	v_fma_f32 v11, -v23, v36, v11
	v_fma_f32 v11, -v24, v37, v11
	s_waitcnt lgkmcnt(2)
	v_fma_f32 v11, -v21, v38, v11
	v_fma_f32 v11, -v22, v39, v11
	v_fma_f32 v11, -v19, v40, v11
	v_fma_f32 v11, -v20, v41, v11
	;; [unrolled: 5-line block ×3, first 2 shown]
	s_waitcnt lgkmcnt(0)
	v_fma_f32 v11, -v13, v46, v11
	v_fma_f32 v11, -v14, v47, v11
	;; [unrolled: 1-line block ×3, first 2 shown]
	v_mul_f32_e32 v51, v11, v49
	v_add_u32_e32 v11, s5, v33
	s_or_b32 s5, s7, 0x800
	s_add_i32 s9, s4, s5
	v_mov_b32_e32 v12, s9
	ds_read_b128 v[34:37], v12
	ds_write_b32 v11, v51
	ds_read_b128 v[38:41], v12 offset:16
	ds_read_b128 v[42:45], v12 offset:32
	;; [unrolled: 1-line block ×3, first 2 shown]
	v_add_u32_e32 v11, 0x800, v30
	ds_read2_b32 v[31:32], v11 offset0:16 offset1:148
	s_waitcnt lgkmcnt(5)
	v_fma_f32 v9, -v25, v34, v9
	v_fma_f32 v9, -v26, v35, v9
	v_fma_f32 v9, -v23, v36, v9
	v_fma_f32 v9, -v24, v37, v9
	s_waitcnt lgkmcnt(3)
	v_fma_f32 v9, -v21, v38, v9
	v_fma_f32 v9, -v22, v39, v9
	v_fma_f32 v9, -v19, v40, v9
	v_fma_f32 v9, -v20, v41, v9
	;; [unrolled: 5-line block ×4, first 2 shown]
	s_waitcnt lgkmcnt(0)
	v_mul_f32_e32 v52, v9, v31
	v_add_u32_e32 v9, s5, v33
	s_or_b32 s5, s7, 0x880
	s_add_i32 s9, s4, s5
	v_mov_b32_e32 v11, s9
	ds_read_b128 v[34:37], v11
	ds_write_b32 v9, v52
	ds_read_b128 v[38:41], v11 offset:16
	ds_read_b128 v[42:45], v11 offset:32
	;; [unrolled: 1-line block ×3, first 2 shown]
	s_or_b32 s9, s7, 0x900
	s_add_i32 s12, s4, s9
	s_waitcnt lgkmcnt(4)
	v_fma_f32 v9, -v25, v34, v10
	v_fma_f32 v9, -v26, v35, v9
	v_fma_f32 v9, -v23, v36, v9
	v_fma_f32 v9, -v24, v37, v9
	s_waitcnt lgkmcnt(2)
	v_fma_f32 v9, -v21, v38, v9
	v_fma_f32 v9, -v22, v39, v9
	v_fma_f32 v9, -v19, v40, v9
	v_fma_f32 v9, -v20, v41, v9
	;; [unrolled: 5-line block ×3, first 2 shown]
	s_waitcnt lgkmcnt(0)
	v_fma_f32 v9, -v13, v46, v9
	v_fma_f32 v9, -v14, v47, v9
	ds_read_b64 v[34:35], v11 offset:64
	v_fma_f32 v9, -v50, v48, v9
	v_mov_b32_e32 v46, s12
	v_fma_f32 v31, -v51, v49, v9
	ds_read_b128 v[9:12], v46
	s_waitcnt lgkmcnt(1)
	v_fma_f32 v31, -v52, v34, v31
	v_mul_f32_e32 v47, v31, v35
	v_add_u32_e32 v31, s5, v33
	ds_write_b32 v31, v47
	s_waitcnt lgkmcnt(1)
	v_fma_f32 v7, -v25, v9, v7
	ds_read_b128 v[34:37], v46 offset:16
	ds_read_b128 v[38:41], v46 offset:32
	;; [unrolled: 1-line block ×3, first 2 shown]
	v_fma_f32 v7, -v26, v10, v7
	v_fma_f32 v7, -v23, v11, v7
	;; [unrolled: 1-line block ×3, first 2 shown]
	s_waitcnt lgkmcnt(2)
	v_fma_f32 v7, -v21, v34, v7
	v_fma_f32 v7, -v22, v35, v7
	;; [unrolled: 1-line block ×4, first 2 shown]
	s_waitcnt lgkmcnt(1)
	v_fma_f32 v7, -v17, v38, v7
	v_fma_f32 v7, -v18, v39, v7
	;; [unrolled: 1-line block ×4, first 2 shown]
	ds_read_b96 v[9:11], v46 offset:64
	s_waitcnt lgkmcnt(1)
	v_fma_f32 v7, -v13, v42, v7
	v_fma_f32 v7, -v14, v43, v7
	;; [unrolled: 1-line block ×4, first 2 shown]
	s_waitcnt lgkmcnt(0)
	v_fma_f32 v7, -v52, v9, v7
	v_fma_f32 v7, -v47, v10, v7
	s_or_b32 s5, s7, 0x980
	v_mul_f32_e32 v46, v7, v11
	v_add_u32_e32 v7, s9, v33
	s_add_i32 s9, s4, s5
	v_mov_b32_e32 v31, s9
	ds_read_b128 v[9:12], v31
	ds_write_b32 v7, v46
	ds_read_b128 v[34:37], v31 offset:16
	ds_read_b128 v[38:41], v31 offset:32
	;; [unrolled: 1-line block ×3, first 2 shown]
	s_or_b32 s9, s7, 0xa00
	s_add_i32 s12, s4, s9
	s_waitcnt lgkmcnt(4)
	v_fma_f32 v7, -v25, v9, v8
	v_fma_f32 v7, -v26, v10, v7
	v_fma_f32 v7, -v23, v11, v7
	v_fma_f32 v7, -v24, v12, v7
	s_waitcnt lgkmcnt(2)
	v_fma_f32 v7, -v21, v34, v7
	v_fma_f32 v7, -v22, v35, v7
	v_fma_f32 v7, -v19, v36, v7
	v_fma_f32 v7, -v20, v37, v7
	;; [unrolled: 5-line block ×4, first 2 shown]
	ds_read_b128 v[7:10], v31 offset:64
	v_mov_b32_e32 v12, s12
	ds_read_b128 v[34:37], v12
	s_waitcnt lgkmcnt(1)
	v_fma_f32 v7, -v52, v7, v11
	v_fma_f32 v7, -v47, v8, v7
	;; [unrolled: 1-line block ×3, first 2 shown]
	v_mul_f32_e32 v48, v7, v10
	v_add_u32_e32 v7, s5, v33
	ds_write_b32 v7, v48
	s_waitcnt lgkmcnt(1)
	v_fma_f32 v5, -v25, v34, v5
	ds_read_b128 v[7:10], v12 offset:16
	ds_read_b128 v[38:41], v12 offset:32
	;; [unrolled: 1-line block ×3, first 2 shown]
	v_fma_f32 v5, -v26, v35, v5
	v_fma_f32 v5, -v23, v36, v5
	;; [unrolled: 1-line block ×3, first 2 shown]
	s_waitcnt lgkmcnt(2)
	v_fma_f32 v5, -v21, v7, v5
	v_fma_f32 v5, -v22, v8, v5
	;; [unrolled: 1-line block ×4, first 2 shown]
	s_waitcnt lgkmcnt(1)
	v_fma_f32 v5, -v17, v38, v5
	v_fma_f32 v5, -v18, v39, v5
	;; [unrolled: 1-line block ×4, first 2 shown]
	ds_read_b128 v[7:10], v12 offset:64
	s_waitcnt lgkmcnt(1)
	v_fma_f32 v5, -v13, v42, v5
	v_fma_f32 v5, -v14, v43, v5
	;; [unrolled: 1-line block ×4, first 2 shown]
	s_waitcnt lgkmcnt(0)
	v_fma_f32 v5, -v52, v7, v5
	v_fma_f32 v5, -v47, v8, v5
	;; [unrolled: 1-line block ×4, first 2 shown]
	s_or_b32 s5, s7, 0xa80
	v_mul_f32_e32 v49, v5, v32
	v_add_u32_e32 v5, s9, v33
	s_add_i32 s9, s4, s5
	v_mov_b32_e32 v11, s9
	ds_read_b128 v[7:10], v11
	ds_write_b32 v5, v49
	ds_read_b128 v[34:37], v11 offset:16
	ds_read_b128 v[38:41], v11 offset:32
	;; [unrolled: 1-line block ×3, first 2 shown]
	s_waitcnt lgkmcnt(4)
	v_fma_f32 v5, -v25, v7, v6
	v_fma_f32 v5, -v26, v8, v5
	v_fma_f32 v5, -v23, v9, v5
	v_fma_f32 v5, -v24, v10, v5
	s_waitcnt lgkmcnt(2)
	v_fma_f32 v5, -v21, v34, v5
	v_fma_f32 v5, -v22, v35, v5
	v_fma_f32 v5, -v19, v36, v5
	v_fma_f32 v5, -v20, v37, v5
	;; [unrolled: 5-line block ×3, first 2 shown]
	s_waitcnt lgkmcnt(0)
	v_fma_f32 v9, -v13, v42, v5
	ds_read_b128 v[5:8], v11 offset:64
	v_fma_f32 v9, -v14, v43, v9
	v_fma_f32 v9, -v50, v44, v9
	;; [unrolled: 1-line block ×3, first 2 shown]
	ds_read_b64 v[9:10], v11 offset:80
	s_waitcnt lgkmcnt(1)
	v_fma_f32 v5, -v52, v5, v12
	v_fma_f32 v5, -v47, v6, v5
	;; [unrolled: 1-line block ×4, first 2 shown]
	s_waitcnt lgkmcnt(0)
	v_fma_f32 v5, -v49, v9, v5
	v_add_u32_e32 v9, s5, v33
	s_or_b32 s5, s7, 0xb00
	s_add_i32 s9, s4, s5
	v_mov_b32_e32 v31, s9
	v_mul_f32_e32 v42, v5, v10
	ds_read_b128 v[5:8], v31
	ds_write_b32 v9, v42
	ds_read_b128 v[9:12], v31 offset:16
	ds_read_b128 v[34:37], v31 offset:32
	;; [unrolled: 1-line block ×3, first 2 shown]
	s_waitcnt lgkmcnt(4)
	v_fma_f32 v3, -v25, v5, v3
	v_fma_f32 v3, -v26, v6, v3
	v_fma_f32 v3, -v23, v7, v3
	v_fma_f32 v3, -v24, v8, v3
	s_waitcnt lgkmcnt(2)
	v_fma_f32 v3, -v21, v9, v3
	v_fma_f32 v3, -v22, v10, v3
	v_fma_f32 v3, -v19, v11, v3
	v_fma_f32 v3, -v20, v12, v3
	;; [unrolled: 5-line block ×3, first 2 shown]
	ds_read_b128 v[5:8], v31 offset:64
	ds_read_b96 v[9:11], v31 offset:80
	s_waitcnt lgkmcnt(2)
	v_fma_f32 v3, -v13, v38, v3
	v_fma_f32 v3, -v14, v39, v3
	;; [unrolled: 1-line block ×4, first 2 shown]
	s_waitcnt lgkmcnt(1)
	v_fma_f32 v3, -v52, v5, v3
	v_fma_f32 v3, -v47, v6, v3
	;; [unrolled: 1-line block ×4, first 2 shown]
	s_waitcnt lgkmcnt(0)
	v_fma_f32 v3, -v49, v9, v3
	v_fma_f32 v3, -v42, v10, v3
	v_mul_f32_e32 v43, v3, v11
	v_add_u32_e32 v3, s5, v33
	s_or_b32 s5, s7, 0xb80
	s_add_i32 s9, s4, s5
	v_mov_b32_e32 v31, s9
	ds_read_b128 v[5:8], v31
	ds_write_b32 v3, v43
	ds_read_b128 v[9:12], v31 offset:16
	ds_read_b128 v[34:37], v31 offset:32
	;; [unrolled: 1-line block ×3, first 2 shown]
	s_waitcnt lgkmcnt(4)
	v_fma_f32 v3, -v25, v5, v4
	v_fma_f32 v3, -v26, v6, v3
	v_fma_f32 v3, -v23, v7, v3
	v_fma_f32 v3, -v24, v8, v3
	s_waitcnt lgkmcnt(2)
	v_fma_f32 v3, -v21, v9, v3
	v_fma_f32 v3, -v22, v10, v3
	v_fma_f32 v3, -v19, v11, v3
	v_fma_f32 v3, -v20, v12, v3
	;; [unrolled: 5-line block ×3, first 2 shown]
	s_waitcnt lgkmcnt(0)
	v_fma_f32 v7, -v13, v38, v3
	ds_read_b128 v[3:6], v31 offset:64
	v_fma_f32 v7, -v14, v39, v7
	v_fma_f32 v7, -v50, v40, v7
	;; [unrolled: 1-line block ×3, first 2 shown]
	ds_read_b128 v[7:10], v31 offset:80
	s_waitcnt lgkmcnt(1)
	v_fma_f32 v3, -v52, v3, v11
	v_fma_f32 v3, -v47, v4, v3
	;; [unrolled: 1-line block ×4, first 2 shown]
	s_waitcnt lgkmcnt(0)
	v_fma_f32 v3, -v49, v7, v3
	v_add_u32_e32 v7, s5, v33
	s_or_b32 s5, s7, 0xc00
	v_fma_f32 v3, -v42, v8, v3
	s_add_i32 s9, s4, s5
	v_fma_f32 v3, -v43, v9, v3
	v_mov_b32_e32 v11, s9
	v_mul_f32_e32 v44, v3, v10
	ds_read_b128 v[3:6], v11
	ds_write_b32 v7, v44
	ds_read_b128 v[7:10], v11 offset:16
	ds_read_b128 v[34:37], v11 offset:32
	;; [unrolled: 1-line block ×3, first 2 shown]
	s_waitcnt lgkmcnt(4)
	v_fma_f32 v1, -v25, v3, v1
	v_fma_f32 v1, -v26, v4, v1
	v_fma_f32 v1, -v23, v5, v1
	v_fma_f32 v1, -v24, v6, v1
	s_waitcnt lgkmcnt(2)
	v_fma_f32 v1, -v21, v7, v1
	v_fma_f32 v1, -v22, v8, v1
	v_fma_f32 v1, -v19, v9, v1
	v_fma_f32 v1, -v20, v10, v1
	;; [unrolled: 5-line block ×3, first 2 shown]
	ds_read_b128 v[3:6], v11 offset:64
	ds_read_b128 v[7:10], v11 offset:80
	s_waitcnt lgkmcnt(2)
	v_fma_f32 v1, -v13, v38, v1
	v_fma_f32 v1, -v14, v39, v1
	;; [unrolled: 1-line block ×4, first 2 shown]
	s_waitcnt lgkmcnt(1)
	v_fma_f32 v1, -v52, v3, v1
	v_fma_f32 v1, -v47, v4, v1
	;; [unrolled: 1-line block ×4, first 2 shown]
	ds_read_b32 v3, v30 offset:3168
	s_waitcnt lgkmcnt(1)
	v_fma_f32 v1, -v49, v7, v1
	v_fma_f32 v1, -v42, v8, v1
	v_fma_f32 v1, -v43, v9, v1
	v_fma_f32 v1, -v44, v10, v1
	s_waitcnt lgkmcnt(0)
	v_mul_f32_e32 v45, v1, v3
	v_add_u32_e32 v1, s5, v33
	s_or_b32 s5, s7, 0xc80
	s_add_i32 s9, s4, s5
	v_mov_b32_e32 v11, s9
	ds_read_b128 v[3:6], v11
	ds_write_b32 v1, v45
	ds_read_b128 v[7:10], v11 offset:16
	ds_read_b128 v[34:37], v11 offset:32
	;; [unrolled: 1-line block ×3, first 2 shown]
	s_or_b32 s7, s7, 0xd00
	s_add_i32 s9, s4, s7
	s_waitcnt lgkmcnt(4)
	v_fma_f32 v1, -v25, v3, v2
	v_fma_f32 v1, -v26, v4, v1
	v_fma_f32 v1, -v23, v5, v1
	v_fma_f32 v1, -v24, v6, v1
	s_waitcnt lgkmcnt(2)
	v_fma_f32 v1, -v21, v7, v1
	v_fma_f32 v1, -v22, v8, v1
	v_fma_f32 v1, -v19, v9, v1
	v_fma_f32 v1, -v20, v10, v1
	;; [unrolled: 5-line block ×3, first 2 shown]
	s_waitcnt lgkmcnt(0)
	v_fma_f32 v5, -v13, v38, v1
	ds_read_b128 v[1:4], v11 offset:64
	v_fma_f32 v5, -v14, v39, v5
	v_fma_f32 v5, -v50, v40, v5
	;; [unrolled: 1-line block ×3, first 2 shown]
	ds_read_b128 v[5:8], v11 offset:80
	s_waitcnt lgkmcnt(1)
	v_fma_f32 v1, -v52, v1, v9
	v_fma_f32 v1, -v47, v2, v1
	;; [unrolled: 1-line block ×4, first 2 shown]
	s_waitcnt lgkmcnt(0)
	v_fma_f32 v1, -v49, v5, v1
	v_fma_f32 v1, -v42, v6, v1
	ds_read_b64 v[5:6], v11 offset:96
	v_fma_f32 v1, -v43, v7, v1
	v_mov_b32_e32 v30, s9
	v_fma_f32 v7, -v44, v8, v1
	ds_read_b128 v[1:4], v30
	s_waitcnt lgkmcnt(1)
	v_fma_f32 v5, -v45, v5, v7
	v_mul_f32_e32 v38, v5, v6
	v_add_u32_e32 v5, s5, v33
	ds_write_b32 v5, v38
	s_waitcnt lgkmcnt(1)
	v_fma_f32 v1, -v25, v1, v29
	ds_read_b128 v[5:8], v30 offset:16
	ds_read_b128 v[9:12], v30 offset:32
	;; [unrolled: 1-line block ×3, first 2 shown]
	v_fma_f32 v1, -v26, v2, v1
	v_fma_f32 v1, -v23, v3, v1
	v_fma_f32 v1, -v24, v4, v1
	s_waitcnt lgkmcnt(2)
	v_fma_f32 v1, -v21, v5, v1
	v_fma_f32 v1, -v22, v6, v1
	v_fma_f32 v1, -v19, v7, v1
	v_fma_f32 v1, -v20, v8, v1
	s_waitcnt lgkmcnt(1)
	v_fma_f32 v1, -v17, v9, v1
	v_fma_f32 v1, -v18, v10, v1
	;; [unrolled: 1-line block ×4, first 2 shown]
	ds_read_b128 v[1:4], v30 offset:64
	s_waitcnt lgkmcnt(1)
	v_fma_f32 v5, -v13, v34, v5
	v_fma_f32 v5, -v14, v35, v5
	v_fma_f32 v5, -v50, v36, v5
	v_fma_f32 v5, -v51, v37, v5
	s_waitcnt lgkmcnt(0)
	v_fma_f32 v1, -v52, v1, v5
	ds_read_b128 v[5:8], v30 offset:80
	v_fma_f32 v1, -v47, v2, v1
	v_fma_f32 v1, -v46, v3, v1
	;; [unrolled: 1-line block ×3, first 2 shown]
	ds_read_b96 v[1:3], v30 offset:96
	s_waitcnt lgkmcnt(1)
	v_fma_f32 v4, -v49, v5, v4
	v_fma_f32 v4, -v42, v6, v4
	;; [unrolled: 1-line block ×4, first 2 shown]
	s_waitcnt lgkmcnt(0)
	v_fma_f32 v1, -v45, v1, v4
	s_add_i32 s4, s4, s8
	v_fma_f32 v1, -v38, v2, v1
	v_mov_b32_e32 v35, s4
	v_mul_f32_e32 v34, v1, v3
	ds_read_b128 v[1:4], v35
	v_add_u32_e32 v5, s7, v33
	ds_write_b32 v5, v34
	ds_read_b128 v[5:8], v35 offset:16
	ds_read_b128 v[9:12], v35 offset:32
	;; [unrolled: 1-line block ×3, first 2 shown]
	s_waitcnt lgkmcnt(4)
	v_fma_f32 v1, -v25, v1, v28
	v_fma_f32 v1, -v26, v2, v1
	v_fma_f32 v1, -v23, v3, v1
	v_fma_f32 v1, -v24, v4, v1
	s_waitcnt lgkmcnt(2)
	v_fma_f32 v1, -v21, v5, v1
	v_fma_f32 v1, -v22, v6, v1
	v_fma_f32 v1, -v19, v7, v1
	v_fma_f32 v1, -v20, v8, v1
	;; [unrolled: 5-line block ×3, first 2 shown]
	s_waitcnt lgkmcnt(0)
	v_fma_f32 v5, -v13, v29, v1
	ds_read_b128 v[1:4], v35 offset:64
	v_fma_f32 v5, -v14, v30, v5
	v_fma_f32 v5, -v50, v31, v5
	;; [unrolled: 1-line block ×3, first 2 shown]
	ds_read_b128 v[5:8], v35 offset:80
	s_waitcnt lgkmcnt(1)
	v_fma_f32 v1, -v52, v1, v9
	v_fma_f32 v1, -v47, v2, v1
	;; [unrolled: 1-line block ×4, first 2 shown]
	ds_read_b128 v[1:4], v35 offset:96
	s_waitcnt lgkmcnt(1)
	v_fma_f32 v5, -v49, v5, v9
	v_fma_f32 v5, -v42, v6, v5
	v_fma_f32 v5, -v43, v7, v5
	v_fma_f32 v5, -v44, v8, v5
	s_waitcnt lgkmcnt(0)
	v_fma_f32 v1, -v45, v1, v5
	v_fma_f32 v1, -v38, v2, v1
	v_fma_f32 v1, -v34, v3, v1
	v_mul_f32_e32 v1, v1, v4
	ds_write_b32 v27, v1
.LBB36_26:
	s_cmp_ge_i32 s6, s16
	s_cbranch_scc1 .LBB36_31
; %bb.27:
	v_mov_b32_e32 v1, 0x1000
	s_lshl_b32 s4, s6, 7
	v_lshl_or_b32 v1, v0, 2, v1
	s_branch .LBB36_29
.LBB36_28:                              ;   in Loop: Header=BB36_29 Depth=1
	s_mul_i32 s5, s6, 0x84
	v_mov_b32_e32 v4, s5
	ds_read_b32 v4, v4
	s_add_i32 s6, s6, 1
	s_addk_i32 s4, 0x80
	s_cmp_ge_i32 s6, s16
	s_waitcnt lgkmcnt(0)
	v_mul_f32_e32 v3, v3, v4
	ds_write_b32 v2, v3
	s_cbranch_scc1 .LBB36_31
.LBB36_29:                              ; =>This Loop Header: Depth=1
                                        ;     Child Loop BB36_30 Depth 2
	s_lshl_b32 s5, s6, 7
	v_add_u32_e32 v2, s5, v33
	ds_read_b32 v3, v2
	s_cmp_eq_u32 s6, 0
	v_mov_b32_e32 v4, v1
	s_mov_b32 s5, s6
	s_mov_b32 s7, s4
	s_cbranch_scc1 .LBB36_28
.LBB36_30:                              ;   Parent Loop BB36_29 Depth=1
                                        ; =>  This Inner Loop Header: Depth=2
	v_mov_b32_e32 v6, s7
	ds_read_b32 v5, v4
	ds_read_b32 v6, v6
	s_add_i32 s7, s7, 4
	s_add_i32 s5, s5, -1
	v_add_u32_e32 v4, 0x80, v4
	s_cmp_lg_u32 s5, 0
	s_waitcnt lgkmcnt(0)
	v_fma_f32 v3, -v5, v6, v3
	s_cbranch_scc1 .LBB36_30
	s_branch .LBB36_28
.LBB36_31:
	s_mov_b64 s[4:5], 0
.LBB36_32:
	s_and_b64 vcc, exec, s[4:5]
	s_cbranch_vccz .LBB36_66
; %bb.33:
	s_add_i32 s12, s16, -1
	s_cmp_gt_i32 s10, 31
	s_cbranch_scc0 .LBB36_43
; %bb.34:
	v_add_u32_e32 v1, 0xc00, v33
	ds_read2_b32 v[2:3], v1 offset0:192 offset1:224
	ds_read2_b32 v[4:5], v1 offset0:128 offset1:160
	ds_read2_b32 v[6:7], v1 offset0:64 offset1:96
	ds_read2_b32 v[8:9], v1 offset1:32
	v_add_u32_e32 v1, 0x800, v33
	ds_read2_b32 v[10:11], v1 offset0:192 offset1:224
	ds_read2_b32 v[12:13], v1 offset0:128 offset1:160
	ds_read2_b32 v[14:15], v1 offset0:64 offset1:96
	ds_read2_b32 v[16:17], v1 offset1:32
	;; [unrolled: 5-line block ×3, first 2 shown]
	ds_read2_b32 v[26:27], v33 offset0:192 offset1:224
	ds_read2_b32 v[28:29], v33 offset0:128 offset1:160
	;; [unrolled: 1-line block ×3, first 2 shown]
	ds_read2_b32 v[34:35], v33 offset1:32
	s_waitcnt lgkmcnt(14)
	v_mov_b32_e32 v1, v3
	v_mov_b32_e32 v3, v5
	s_waitcnt lgkmcnt(13)
	v_mov_b32_e32 v5, v7
	s_waitcnt lgkmcnt(12)
	;; [unrolled: 2-line block ×14, first 2 shown]
	v_mov_b32_e32 v31, v35
	v_mov_b32_e32 v32, v34
	s_movk_i32 s10, 0xffc
	s_mov_b64 s[4:5], 0
	s_movk_i32 s13, 0xff8
.LBB36_35:                              ; =>This Loop Header: Depth=1
                                        ;     Child Loop BB36_37 Depth 2
                                        ;     Child Loop BB36_40 Depth 2
	s_cmp_eq_u32 s4, 0
	s_cbranch_scc1 .LBB36_38
; %bb.36:                               ;   in Loop: Header=BB36_35 Depth=1
	s_mov_b64 s[6:7], s[4:5]
	s_sub_i32 s17, 31, s4
	s_mov_b64 s[8:9], 0
	s_mov_b32 s7, s10
.LBB36_37:                              ;   Parent Loop BB36_35 Depth=1
                                        ; =>  This Inner Loop Header: Depth=2
	v_mov_b32_e32 v35, s7
	s_set_gpr_idx_on s8, gpr_idx(SRC0)
	v_mov_b32_e32 v34, v1
	s_set_gpr_idx_off
	ds_read_b32 v35, v35
	s_addk_i32 s7, 0xff80
	s_add_u32 s8, s8, 1
	s_addc_u32 s9, s9, 0
	s_set_gpr_idx_on s4, gpr_idx(SRC0)
	v_mov_b32_e32 v36, v1
	s_set_gpr_idx_off
	s_cmp_eq_u32 s4, s8
	s_waitcnt lgkmcnt(0)
	v_fma_f32 v34, -v34, v35, v36
	s_set_gpr_idx_on s4, gpr_idx(DST)
	v_mov_b32_e32 v1, v34
	s_set_gpr_idx_off
	s_cbranch_scc0 .LBB36_37
	s_branch .LBB36_39
.LBB36_38:                              ;   in Loop: Header=BB36_35 Depth=1
	s_mov_b32 s17, 31
	s_mov_b64 s[6:7], 0
.LBB36_39:                              ;   in Loop: Header=BB36_35 Depth=1
	s_mul_i32 s7, s17, 0x84
	v_mov_b32_e32 v34, s7
	ds_read_b32 v34, v34
	s_set_gpr_idx_on s6, gpr_idx(SRC0)
	v_mov_b32_e32 v36, v1
	s_set_gpr_idx_off
	v_lshl_add_u32 v35, s17, 7, v33
	s_or_b32 s8, s4, 1
	s_add_u32 s9, s4, 1
	s_waitcnt lgkmcnt(0)
	v_mul_f32_e32 v34, v36, v34
	ds_write_b32 v35, v34
	s_set_gpr_idx_on s6, gpr_idx(DST)
	v_mov_b32_e32 v1, v34
	s_set_gpr_idx_off
	s_mov_b64 s[6:7], 0
	s_mov_b32 s17, s13
.LBB36_40:                              ;   Parent Loop BB36_35 Depth=1
                                        ; =>  This Inner Loop Header: Depth=2
	v_mov_b32_e32 v35, s17
	s_set_gpr_idx_on s6, gpr_idx(SRC0)
	v_mov_b32_e32 v34, v1
	s_set_gpr_idx_off
	ds_read_b32 v35, v35
	s_add_u32 s6, s6, 1
	s_set_gpr_idx_on s8, gpr_idx(SRC0)
	v_mov_b32_e32 v36, v1
	s_set_gpr_idx_off
	s_addc_u32 s7, s7, 0
	s_addk_i32 s17, 0xff80
	s_waitcnt lgkmcnt(0)
	v_fma_f32 v34, -v34, v35, v36
	s_cmp_lg_u32 s9, s6
	s_set_gpr_idx_on s8, gpr_idx(DST)
	v_mov_b32_e32 v1, v34
	s_set_gpr_idx_off
	s_cbranch_scc1 .LBB36_40
; %bb.41:                               ;   in Loop: Header=BB36_35 Depth=1
	s_sub_i32 s6, 31, s8
	s_mul_i32 s7, s6, 0x84
	v_mov_b32_e32 v35, s7
	ds_read_b32 v35, v35
	s_add_u32 s4, s4, 2
	s_addc_u32 s5, s5, 0
	s_add_i32 s10, s10, -8
	s_add_i32 s13, s13, -8
	v_lshl_add_u32 v36, s6, 7, v33
	s_waitcnt lgkmcnt(0)
	v_mul_f32_e32 v34, v34, v35
	s_cmp_eq_u32 s4, 32
	s_set_gpr_idx_on s8, gpr_idx(DST)
	v_mov_b32_e32 v1, v34
	s_set_gpr_idx_off
	ds_write_b32 v36, v34
	s_cbranch_scc0 .LBB36_35
; %bb.42:
	s_mov_b32 s4, -1
	s_cmp_gt_i32 s4, -1
	s_cbranch_scc1 .LBB36_44
	s_branch .LBB36_66
.LBB36_43:
	s_mov_b32 s4, s12
	s_cmp_gt_i32 s4, -1
	s_cbranch_scc0 .LBB36_66
.LBB36_44:
	s_cmp_lt_u32 s4, 27
	s_cbranch_scc1 .LBB36_49
; %bb.45:
	s_lshl_b32 s5, s4, 7
	v_add_u32_e32 v5, s5, v33
	v_add_u32_e32 v1, 0xffffff80, v5
	v_add_u32_e32 v8, 0xfffffe00, v5
	v_add_u32_e32 v9, 0xfffffd80, v5
	v_add_u32_e32 v10, 0xfffffd00, v5
	v_add_u32_e32 v11, 0xfffffc80, v5
	v_add_u32_e32 v2, 0xffffff00, v5
	v_add_u32_e32 v3, 0xfffffe80, v5
	ds_read_b32 v4, v5
	ds_read_b32 v29, v1
	ds_read_b32 v6, v2
	ds_read_b32 v7, v3
	ds_read_b32 v8, v8
	ds_read_b32 v9, v9
	ds_read_b32 v10, v10
	ds_read_b32 v11, v11
	v_add_u32_e32 v1, 0xfffffc00, v5
	v_add_u32_e32 v13, 0xfffffa00, v5
	v_add_u32_e32 v17, 0xfffff980, v5
	v_add_u32_e32 v2, 0xfffffb80, v5
	v_add_u32_e32 v3, 0xfffffb00, v5
	v_add_u32_e32 v12, 0xfffffa80, v5
	v_add_u32_e32 v19, 0xfffff900, v5
	v_add_u32_e32 v22, 0xfffff880, v5
	ds_read_b32 v14, v1
	ds_read_b32 v15, v2
	ds_read_b32 v16, v3
	ds_read_b32 v18, v12
	ds_read_b32 v20, v13
	ds_read_b32 v21, v17
	ds_read_b32 v24, v19
	ds_read_b32 v25, v22
	;; [unrolled: 16-line block ×3, first 2 shown]
	v_add_u32_e32 v1, 0xfffff400, v5
	v_add_u32_e32 v2, 0xfffff380, v5
	;; [unrolled: 1-line block ×4, first 2 shown]
	ds_read_b32 v12, v1
	ds_read_b32 v3, v2
	;; [unrolled: 1-line block ×4, first 2 shown]
	s_cmp_le_i32 s12, s4
	s_cbranch_scc1 .LBB36_48
; %bb.46:
	s_lshl_b32 s6, s16, 7
	s_lshl_b32 s7, s4, 2
	v_lshl_or_b32 v30, v0, 2, s6
	s_add_i32 s6, s6, s7
	v_add_u32_e32 v30, 0xf80, v30
	s_addk_i32 s6, 0xff14
	s_mov_b32 s7, s12
.LBB36_47:                              ; =>This Inner Loop Header: Depth=1
	v_mov_b32_e32 v58, s6
	ds_read_b32 v60, v30
	ds_read2_b32 v[31:32], v58 offset0:26 offset1:27
	ds_read2_b32 v[34:35], v58 offset0:24 offset1:25
	;; [unrolled: 1-line block ×13, first 2 shown]
	ds_read2_b32 v[58:59], v58 offset1:1
	s_add_i32 s7, s7, -1
	s_addk_i32 s6, 0xff80
	v_add_u32_e32 v30, 0xffffff80, v30
	s_cmp_gt_i32 s7, s4
	s_waitcnt lgkmcnt(13)
	v_fma_f32 v4, -v60, v32, v4
	v_fma_f32 v29, -v60, v31, v29
	s_waitcnt lgkmcnt(12)
	v_fma_f32 v6, -v60, v35, v6
	v_fma_f32 v7, -v60, v34, v7
	;; [unrolled: 3-line block ×14, first 2 shown]
	s_cbranch_scc1 .LBB36_47
.LBB36_48:
	s_add_i32 s6, s4, -1
	s_lshl_b32 s7, s6, 2
	s_add_i32 s8, s7, s5
	v_mov_b32_e32 v30, s8
	s_lshl_b32 s8, s6, 7
	s_add_i32 s6, s7, s8
	s_add_i32 s7, s4, -3
	ds_read2_b32 v[30:31], v30 offset1:1
	s_lshl_b32 s9, s7, 2
	v_mov_b32_e32 v32, s6
	s_add_i32 s6, s9, s5
	v_mov_b32_e32 v34, s6
	s_add_i32 s6, s9, s8
	v_mov_b32_e32 v36, s6
	ds_read_b32 v32, v32
	ds_read2_b32 v[34:35], v34 offset1:1
	ds_read2_b32 v[36:37], v36 offset1:1
	s_waitcnt lgkmcnt(3)
	v_mul_f32_e32 v4, v4, v31
	ds_write_b32 v5, v4
	v_fma_f32 v5, -v4, v30, v29
	s_add_i32 s6, s5, 0xffffff00
	s_waitcnt lgkmcnt(3)
	v_mul_f32_e32 v5, v5, v32
	v_add_u32_e32 v29, s8, v33
	s_add_i32 s10, s9, s6
	ds_write_b32 v29, v5
	v_mov_b32_e32 v29, s10
	ds_read2_b32 v[29:30], v29 offset1:1
	s_lshl_b32 s7, s7, 7
	s_add_i32 s10, s4, -5
	s_add_i32 s9, s9, s7
	s_lshl_b32 s13, s10, 2
	v_mov_b32_e32 v31, s9
	s_add_i32 s9, s13, s5
	s_waitcnt lgkmcnt(4)
	v_fma_f32 v6, -v4, v35, v6
	v_mov_b32_e32 v32, s9
	s_add_i32 s9, s13, s8
	s_waitcnt lgkmcnt(3)
	v_fma_f32 v6, -v5, v37, v6
	v_mov_b32_e32 v35, s9
	ds_read_b32 v39, v31
	ds_read2_b32 v[31:32], v32 offset1:1
	ds_read2_b32 v[37:38], v35 offset1:1
	v_fma_f32 v7, -v4, v34, v7
	s_waitcnt lgkmcnt(3)
	v_mul_f32_e32 v6, v6, v30
	v_fma_f32 v7, -v5, v36, v7
	v_fma_f32 v7, -v6, v29, v7
	s_waitcnt lgkmcnt(2)
	v_mul_f32_e32 v7, v7, v39
	v_add_u32_e32 v29, s7, v33
	s_add_i32 s9, s13, s6
	ds_write_b32 v29, v7
	v_mov_b32_e32 v29, s9
	s_add_i32 s9, s13, s7
	v_add_u32_e32 v30, s6, v33
	s_waitcnt lgkmcnt(2)
	v_fma_f32 v8, -v4, v32, v8
	v_mov_b32_e32 v32, s9
	s_add_i32 s9, s5, 0xfffffe00
	ds_write_b32 v30, v6
	s_add_i32 s17, s13, s9
	s_lshl_b32 s10, s10, 7
	s_waitcnt lgkmcnt(2)
	v_fma_f32 v8, -v5, v38, v8
	v_mov_b32_e32 v36, s17
	ds_read2_b32 v[29:30], v29 offset1:1
	ds_read2_b32 v[34:35], v32 offset1:1
	;; [unrolled: 1-line block ×3, first 2 shown]
	s_add_i32 s13, s13, s10
	s_add_i32 s17, s4, -7
	v_mov_b32_e32 v32, s13
	v_fma_f32 v9, -v4, v31, v9
	s_lshl_b32 s18, s17, 2
	ds_read_b32 v32, v32
	v_fma_f32 v9, -v5, v37, v9
	s_add_i32 s13, s18, s5
	s_waitcnt lgkmcnt(3)
	v_fma_f32 v8, -v6, v30, v8
	v_fma_f32 v9, -v6, v29, v9
	v_mov_b32_e32 v29, s13
	s_add_i32 s13, s18, s8
	s_waitcnt lgkmcnt(2)
	v_fma_f32 v8, -v7, v35, v8
	v_mov_b32_e32 v31, s13
	s_add_i32 s13, s18, s6
	s_waitcnt lgkmcnt(1)
	v_mul_f32_e32 v8, v8, v39
	v_add_u32_e32 v30, s9, v33
	v_fma_f32 v9, -v7, v34, v9
	v_mov_b32_e32 v34, s13
	s_add_i32 s13, s18, s7
	ds_write_b32 v30, v8
	v_fma_f32 v9, -v8, v38, v9
	v_mov_b32_e32 v36, s13
	s_waitcnt lgkmcnt(1)
	v_mul_f32_e32 v9, v9, v32
	ds_read2_b32 v[29:30], v29 offset1:1
	ds_read2_b32 v[31:32], v31 offset1:1
	ds_read2_b32 v[34:35], v34 offset1:1
	ds_read2_b32 v[36:37], v36 offset1:1
	s_add_i32 s13, s18, s9
	s_waitcnt lgkmcnt(3)
	v_fma_f32 v10, -v4, v30, v10
	v_mov_b32_e32 v30, s13
	s_add_i32 s13, s18, s10
	v_add_u32_e32 v38, s10, v33
	s_waitcnt lgkmcnt(2)
	v_fma_f32 v10, -v5, v32, v10
	v_mov_b32_e32 v32, s13
	s_add_i32 s13, s5, 0xfffffd00
	ds_write_b32 v38, v9
	s_waitcnt lgkmcnt(2)
	v_fma_f32 v10, -v6, v35, v10
	s_add_i32 s19, s18, s13
	s_lshl_b32 s17, s17, 7
	s_waitcnt lgkmcnt(1)
	v_fma_f32 v10, -v7, v37, v10
	v_mov_b32_e32 v35, s19
	ds_read2_b32 v[37:38], v30 offset1:1
	ds_read2_b32 v[39:40], v32 offset1:1
	;; [unrolled: 1-line block ×3, first 2 shown]
	s_add_i32 s18, s18, s17
	v_fma_f32 v11, -v4, v29, v11
	v_mov_b32_e32 v30, s18
	v_fma_f32 v11, -v5, v31, v11
	ds_read_b32 v30, v30
	v_fma_f32 v11, -v6, v34, v11
	s_waitcnt lgkmcnt(3)
	v_fma_f32 v10, -v8, v38, v10
	v_fma_f32 v11, -v7, v36, v11
	s_waitcnt lgkmcnt(2)
	v_fma_f32 v10, -v9, v40, v10
	v_fma_f32 v11, -v8, v37, v11
	s_waitcnt lgkmcnt(1)
	v_mul_f32_e32 v10, v10, v42
	v_fma_f32 v11, -v9, v39, v11
	s_add_i32 s19, s4, -9
	v_fma_f32 v11, -v10, v41, v11
	s_lshl_b32 s20, s19, 2
	s_waitcnt lgkmcnt(0)
	v_mul_f32_e32 v11, v11, v30
	v_add_u32_e32 v29, s17, v33
	s_add_i32 s18, s20, s5
	ds_write_b32 v29, v11
	v_mov_b32_e32 v29, s18
	s_add_i32 s18, s20, s8
	v_add_u32_e32 v32, s13, v33
	v_mov_b32_e32 v31, s18
	s_add_i32 s18, s20, s6
	ds_write_b32 v32, v10
	v_mov_b32_e32 v34, s18
	ds_read2_b32 v[29:30], v29 offset1:1
	ds_read2_b32 v[31:32], v31 offset1:1
	;; [unrolled: 1-line block ×3, first 2 shown]
	s_add_i32 s18, s20, s7
	v_mov_b32_e32 v36, s18
	s_add_i32 s18, s20, s9
	ds_read2_b32 v[36:37], v36 offset1:1
	s_waitcnt lgkmcnt(3)
	v_fma_f32 v14, -v4, v30, v14
	v_mov_b32_e32 v30, s18
	s_add_i32 s18, s20, s10
	s_waitcnt lgkmcnt(2)
	v_fma_f32 v14, -v5, v32, v14
	v_mov_b32_e32 v32, s18
	s_add_i32 s18, s20, s13
	;; [unrolled: 4-line block ×3, first 2 shown]
	v_mov_b32_e32 v44, s18
	ds_read2_b32 v[38:39], v30 offset1:1
	ds_read2_b32 v[40:41], v32 offset1:1
	;; [unrolled: 1-line block ×4, first 2 shown]
	s_waitcnt lgkmcnt(4)
	v_fma_f32 v14, -v7, v37, v14
	s_waitcnt lgkmcnt(3)
	v_fma_f32 v14, -v8, v39, v14
	s_add_i32 s18, s5, 0xfffffc00
	s_waitcnt lgkmcnt(2)
	v_fma_f32 v14, -v9, v41, v14
	s_add_i32 s21, s20, s18
	v_fma_f32 v15, -v4, v29, v15
	s_waitcnt lgkmcnt(1)
	v_fma_f32 v14, -v10, v43, v14
	v_mov_b32_e32 v30, s21
	v_fma_f32 v15, -v5, v31, v15
	s_waitcnt lgkmcnt(0)
	v_fma_f32 v14, -v11, v45, v14
	ds_read2_b32 v[45:46], v30 offset1:1
	s_lshl_b32 s19, s19, 7
	s_add_i32 s21, s4, -11
	v_fma_f32 v15, -v6, v34, v15
	s_add_i32 s20, s20, s19
	s_lshl_b32 s22, s21, 2
	v_fma_f32 v15, -v7, v36, v15
	v_mov_b32_e32 v30, s20
	s_add_i32 s20, s22, s5
	v_fma_f32 v15, -v8, v38, v15
	v_mov_b32_e32 v32, s20
	s_add_i32 s20, s22, s8
	v_fma_f32 v15, -v9, v40, v15
	v_mov_b32_e32 v35, s20
	ds_read_b32 v30, v30
	ds_read2_b32 v[47:48], v32 offset1:1
	ds_read2_b32 v[49:50], v35 offset1:1
	v_fma_f32 v15, -v10, v42, v15
	s_waitcnt lgkmcnt(3)
	v_mul_f32_e32 v14, v14, v46
	v_fma_f32 v15, -v11, v44, v15
	v_fma_f32 v15, -v14, v45, v15
	s_waitcnt lgkmcnt(2)
	v_mul_f32_e32 v15, v15, v30
	v_add_u32_e32 v29, s19, v33
	s_add_i32 s20, s22, s6
	ds_write_b32 v29, v15
	v_mov_b32_e32 v29, s20
	s_add_i32 s20, s22, s7
	v_add_u32_e32 v32, s18, v33
	v_mov_b32_e32 v31, s20
	s_add_i32 s20, s22, s9
	ds_write_b32 v32, v14
	v_mov_b32_e32 v34, s20
	ds_read2_b32 v[29:30], v29 offset1:1
	ds_read2_b32 v[31:32], v31 offset1:1
	;; [unrolled: 1-line block ×3, first 2 shown]
	s_waitcnt lgkmcnt(6)
	v_fma_f32 v16, -v4, v48, v16
	s_add_i32 s20, s22, s10
	s_waitcnt lgkmcnt(5)
	v_fma_f32 v16, -v5, v50, v16
	v_mov_b32_e32 v36, s20
	s_add_i32 s20, s22, s13
	ds_read2_b32 v[36:37], v36 offset1:1
	s_waitcnt lgkmcnt(3)
	v_fma_f32 v16, -v6, v30, v16
	v_mov_b32_e32 v30, s20
	s_add_i32 s20, s22, s17
	s_waitcnt lgkmcnt(2)
	v_fma_f32 v16, -v7, v32, v16
	v_mov_b32_e32 v32, s20
	s_add_i32 s20, s22, s18
	;; [unrolled: 4-line block ×3, first 2 shown]
	v_mov_b32_e32 v44, s20
	ds_read2_b32 v[38:39], v30 offset1:1
	ds_read2_b32 v[40:41], v32 offset1:1
	;; [unrolled: 1-line block ×4, first 2 shown]
	s_waitcnt lgkmcnt(4)
	v_fma_f32 v16, -v9, v37, v16
	v_fma_f32 v18, -v4, v47, v18
	s_waitcnt lgkmcnt(3)
	v_fma_f32 v16, -v10, v39, v16
	s_add_i32 s20, s5, 0xfffffb00
	v_fma_f32 v18, -v5, v49, v18
	s_waitcnt lgkmcnt(2)
	v_fma_f32 v16, -v11, v41, v16
	s_add_i32 s23, s22, s20
	v_fma_f32 v18, -v6, v29, v18
	s_waitcnt lgkmcnt(1)
	v_fma_f32 v16, -v14, v43, v16
	v_mov_b32_e32 v30, s23
	v_fma_f32 v18, -v7, v31, v18
	s_waitcnt lgkmcnt(0)
	v_fma_f32 v16, -v15, v45, v16
	ds_read2_b32 v[45:46], v30 offset1:1
	s_lshl_b32 s21, s21, 7
	s_add_i32 s23, s4, -13
	v_fma_f32 v18, -v8, v34, v18
	s_add_i32 s22, s22, s21
	s_lshl_b32 s24, s23, 2
	v_fma_f32 v18, -v9, v36, v18
	v_mov_b32_e32 v30, s22
	s_add_i32 s22, s24, s5
	v_fma_f32 v18, -v10, v38, v18
	v_mov_b32_e32 v32, s22
	s_add_i32 s22, s24, s8
	v_fma_f32 v18, -v11, v40, v18
	v_mov_b32_e32 v35, s22
	ds_read_b32 v30, v30
	ds_read2_b32 v[50:51], v32 offset1:1
	ds_read2_b32 v[52:53], v35 offset1:1
	v_fma_f32 v18, -v14, v42, v18
	s_waitcnt lgkmcnt(3)
	v_mul_f32_e32 v16, v16, v46
	v_fma_f32 v18, -v15, v44, v18
	v_fma_f32 v18, -v16, v45, v18
	s_waitcnt lgkmcnt(2)
	v_mul_f32_e32 v18, v18, v30
	v_add_u32_e32 v29, s21, v33
	s_add_i32 s22, s24, s6
	ds_write_b32 v29, v18
	v_mov_b32_e32 v29, s22
	s_add_i32 s22, s24, s7
	v_add_u32_e32 v32, s20, v33
	v_mov_b32_e32 v31, s22
	s_add_i32 s22, s24, s9
	ds_write_b32 v32, v16
	v_mov_b32_e32 v34, s22
	ds_read2_b32 v[29:30], v29 offset1:1
	ds_read2_b32 v[31:32], v31 offset1:1
	;; [unrolled: 1-line block ×3, first 2 shown]
	s_waitcnt lgkmcnt(6)
	v_fma_f32 v20, -v4, v51, v20
	s_add_i32 s22, s24, s10
	s_waitcnt lgkmcnt(5)
	v_fma_f32 v20, -v5, v53, v20
	v_mov_b32_e32 v36, s22
	s_add_i32 s22, s24, s13
	ds_read2_b32 v[36:37], v36 offset1:1
	s_waitcnt lgkmcnt(3)
	v_fma_f32 v20, -v6, v30, v20
	v_mov_b32_e32 v30, s22
	s_add_i32 s22, s24, s17
	s_waitcnt lgkmcnt(2)
	v_fma_f32 v20, -v7, v32, v20
	v_mov_b32_e32 v32, s22
	s_add_i32 s22, s24, s18
	;; [unrolled: 4-line block ×3, first 2 shown]
	v_mov_b32_e32 v44, s22
	v_fma_f32 v21, -v4, v50, v21
	ds_read2_b32 v[38:39], v30 offset1:1
	ds_read2_b32 v[40:41], v32 offset1:1
	;; [unrolled: 1-line block ×4, first 2 shown]
	v_fma_f32 v21, -v5, v52, v21
	s_waitcnt lgkmcnt(4)
	v_fma_f32 v20, -v9, v37, v20
	s_add_i32 s22, s24, s20
	v_fma_f32 v21, -v6, v29, v21
	s_waitcnt lgkmcnt(3)
	v_fma_f32 v20, -v10, v39, v20
	v_mov_b32_e32 v30, s22
	s_add_i32 s22, s24, s21
	v_fma_f32 v21, -v7, v31, v21
	s_waitcnt lgkmcnt(2)
	v_fma_f32 v20, -v11, v41, v20
	v_mov_b32_e32 v32, s22
	s_add_i32 s22, s5, 0xfffffa00
	v_fma_f32 v21, -v8, v34, v21
	s_waitcnt lgkmcnt(1)
	v_fma_f32 v20, -v14, v43, v20
	s_add_i32 s25, s24, s22
	s_lshl_b32 s23, s23, 7
	v_fma_f32 v21, -v9, v36, v21
	s_waitcnt lgkmcnt(0)
	v_fma_f32 v20, -v15, v45, v20
	v_mov_b32_e32 v35, s25
	ds_read2_b32 v[45:46], v30 offset1:1
	ds_read2_b32 v[47:48], v32 offset1:1
	ds_read2_b32 v[53:54], v35 offset1:1
	s_add_i32 s24, s24, s23
	v_fma_f32 v21, -v10, v38, v21
	s_add_i32 s25, s4, -15
	v_mov_b32_e32 v30, s24
	v_fma_f32 v21, -v11, v40, v21
	s_lshl_b32 s26, s25, 2
	ds_read_b32 v30, v30
	v_fma_f32 v21, -v14, v42, v21
	s_add_i32 s24, s26, s5
	s_waitcnt lgkmcnt(3)
	v_fma_f32 v20, -v16, v46, v20
	v_fma_f32 v21, -v15, v44, v21
	v_mov_b32_e32 v29, s24
	s_add_i32 s24, s26, s8
	s_waitcnt lgkmcnt(2)
	v_fma_f32 v20, -v18, v48, v20
	v_fma_f32 v21, -v16, v45, v21
	v_mov_b32_e32 v31, s24
	s_add_i32 s24, s26, s6
	s_waitcnt lgkmcnt(1)
	v_mul_f32_e32 v20, v20, v54
	v_add_u32_e32 v32, s22, v33
	v_fma_f32 v21, -v18, v47, v21
	v_mov_b32_e32 v34, s24
	s_add_i32 s24, s26, s7
	ds_write_b32 v32, v20
	v_fma_f32 v21, -v20, v53, v21
	v_mov_b32_e32 v36, s24
	s_waitcnt lgkmcnt(1)
	v_mul_f32_e32 v21, v21, v30
	ds_read2_b32 v[29:30], v29 offset1:1
	ds_read2_b32 v[31:32], v31 offset1:1
	;; [unrolled: 1-line block ×4, first 2 shown]
	s_add_i32 s24, s26, s9
	s_waitcnt lgkmcnt(3)
	v_fma_f32 v24, -v4, v30, v24
	v_mov_b32_e32 v30, s24
	s_add_i32 s24, s26, s10
	v_add_u32_e32 v38, s23, v33
	s_waitcnt lgkmcnt(2)
	v_fma_f32 v24, -v5, v32, v24
	v_mov_b32_e32 v32, s24
	s_add_i32 s24, s26, s13
	ds_write_b32 v38, v21
	s_waitcnt lgkmcnt(2)
	v_fma_f32 v24, -v6, v35, v24
	v_mov_b32_e32 v35, s24
	s_add_i32 s24, s26, s17
	s_waitcnt lgkmcnt(1)
	v_fma_f32 v24, -v7, v37, v24
	ds_read2_b32 v[37:38], v30 offset1:1
	ds_read2_b32 v[39:40], v32 offset1:1
	;; [unrolled: 1-line block ×3, first 2 shown]
	v_mov_b32_e32 v30, s24
	ds_read2_b32 v[43:44], v30 offset1:1
	s_add_i32 s24, s26, s18
	v_mov_b32_e32 v30, s24
	s_add_i32 s24, s26, s19
	v_fma_f32 v25, -v4, v29, v25
	s_waitcnt lgkmcnt(3)
	v_fma_f32 v24, -v8, v38, v24
	v_mov_b32_e32 v32, s24
	s_add_i32 s24, s26, s20
	v_fma_f32 v25, -v5, v31, v25
	s_waitcnt lgkmcnt(2)
	v_fma_f32 v24, -v9, v40, v24
	;; [unrolled: 5-line block ×3, first 2 shown]
	v_mov_b32_e32 v38, s24
	ds_read2_b32 v[45:46], v30 offset1:1
	ds_read2_b32 v[47:48], v32 offset1:1
	;; [unrolled: 1-line block ×4, first 2 shown]
	v_fma_f32 v25, -v7, v36, v25
	s_waitcnt lgkmcnt(4)
	v_fma_f32 v24, -v11, v44, v24
	s_add_i32 s24, s26, s22
	v_fma_f32 v25, -v8, v37, v25
	s_waitcnt lgkmcnt(3)
	v_fma_f32 v24, -v14, v46, v24
	v_mov_b32_e32 v30, s24
	s_add_i32 s24, s26, s23
	v_fma_f32 v25, -v9, v39, v25
	s_waitcnt lgkmcnt(2)
	v_fma_f32 v24, -v15, v48, v24
	v_mov_b32_e32 v32, s24
	s_add_i32 s24, s5, 0xfffff900
	v_fma_f32 v25, -v10, v41, v25
	s_waitcnt lgkmcnt(1)
	v_fma_f32 v24, -v16, v50, v24
	s_add_i32 s27, s26, s24
	s_lshl_b32 s25, s25, 7
	v_fma_f32 v25, -v11, v43, v25
	s_waitcnt lgkmcnt(0)
	v_fma_f32 v24, -v18, v52, v24
	v_mov_b32_e32 v35, s27
	ds_read2_b32 v[52:53], v30 offset1:1
	ds_read2_b32 v[54:55], v32 offset1:1
	;; [unrolled: 1-line block ×3, first 2 shown]
	s_add_i32 s26, s26, s25
	v_fma_f32 v25, -v14, v45, v25
	v_mov_b32_e32 v30, s26
	v_fma_f32 v25, -v15, v47, v25
	ds_read_b32 v30, v30
	v_fma_f32 v25, -v16, v49, v25
	s_waitcnt lgkmcnt(3)
	v_fma_f32 v24, -v20, v53, v24
	v_fma_f32 v25, -v18, v51, v25
	s_waitcnt lgkmcnt(2)
	v_fma_f32 v24, -v21, v55, v24
	v_fma_f32 v25, -v20, v52, v25
	s_waitcnt lgkmcnt(1)
	v_mul_f32_e32 v24, v24, v57
	v_fma_f32 v25, -v21, v54, v25
	s_sub_i32 s27, s4, 17
	v_fma_f32 v25, -v24, v56, v25
	s_lshl_b32 s28, s27, 2
	s_waitcnt lgkmcnt(0)
	v_mul_f32_e32 v25, v25, v30
	v_add_u32_e32 v29, s25, v33
	s_add_i32 s26, s28, s5
	ds_write_b32 v29, v25
	v_mov_b32_e32 v29, s26
	s_add_i32 s26, s28, s8
	v_add_u32_e32 v32, s24, v33
	v_mov_b32_e32 v31, s26
	s_add_i32 s26, s28, s6
	ds_write_b32 v32, v24
	v_mov_b32_e32 v34, s26
	ds_read2_b32 v[29:30], v29 offset1:1
	ds_read2_b32 v[31:32], v31 offset1:1
	ds_read2_b32 v[34:35], v34 offset1:1
	s_add_i32 s26, s28, s7
	v_mov_b32_e32 v36, s26
	s_add_i32 s26, s28, s9
	ds_read2_b32 v[36:37], v36 offset1:1
	s_waitcnt lgkmcnt(3)
	v_fma_f32 v28, -v4, v30, v28
	v_mov_b32_e32 v30, s26
	s_add_i32 s26, s28, s10
	s_waitcnt lgkmcnt(2)
	v_fma_f32 v28, -v5, v32, v28
	v_mov_b32_e32 v32, s26
	s_add_i32 s26, s28, s13
	;; [unrolled: 4-line block ×3, first 2 shown]
	v_mov_b32_e32 v44, s26
	ds_read2_b32 v[38:39], v30 offset1:1
	ds_read2_b32 v[40:41], v32 offset1:1
	;; [unrolled: 1-line block ×4, first 2 shown]
	s_waitcnt lgkmcnt(4)
	v_fma_f32 v28, -v7, v37, v28
	s_add_i32 s26, s28, s18
	s_waitcnt lgkmcnt(3)
	v_fma_f32 v28, -v8, v39, v28
	v_mov_b32_e32 v30, s26
	s_add_i32 s26, s28, s19
	s_waitcnt lgkmcnt(2)
	v_fma_f32 v28, -v9, v41, v28
	v_mov_b32_e32 v32, s26
	;; [unrolled: 4-line block ×3, first 2 shown]
	s_add_i32 s26, s28, s21
	s_waitcnt lgkmcnt(0)
	v_fma_f32 v28, -v11, v45, v28
	ds_read2_b32 v[45:46], v30 offset1:1
	ds_read2_b32 v[47:48], v32 offset1:1
	ds_read2_b32 v[49:50], v35 offset1:1
	v_mov_b32_e32 v30, s26
	v_fma_f32 v27, -v4, v29, v27
	ds_read2_b32 v[51:52], v30 offset1:1
	s_add_i32 s26, s28, s22
	v_fma_f32 v27, -v5, v31, v27
	v_mov_b32_e32 v30, s26
	s_add_i32 s26, s28, s23
	v_fma_f32 v27, -v6, v34, v27
	s_waitcnt lgkmcnt(3)
	v_fma_f32 v28, -v14, v46, v28
	v_mov_b32_e32 v32, s26
	s_add_i32 s26, s28, s24
	v_fma_f32 v27, -v7, v36, v27
	s_waitcnt lgkmcnt(2)
	v_fma_f32 v28, -v15, v48, v28
	v_mov_b32_e32 v35, s26
	s_add_i32 s26, s28, s25
	v_fma_f32 v27, -v8, v38, v27
	s_waitcnt lgkmcnt(1)
	v_fma_f32 v28, -v16, v50, v28
	v_mov_b32_e32 v37, s26
	ds_read2_b32 v[53:54], v30 offset1:1
	ds_read2_b32 v[55:56], v32 offset1:1
	;; [unrolled: 1-line block ×4, first 2 shown]
	v_fma_f32 v27, -v9, v40, v27
	s_waitcnt lgkmcnt(4)
	v_fma_f32 v28, -v18, v52, v28
	v_fma_f32 v27, -v10, v42, v27
	s_waitcnt lgkmcnt(3)
	v_fma_f32 v28, -v20, v54, v28
	s_add_i32 s26, s5, 0xfffff800
	v_fma_f32 v27, -v11, v44, v27
	s_waitcnt lgkmcnt(2)
	v_fma_f32 v28, -v21, v56, v28
	s_add_i32 s29, s28, s26
	v_fma_f32 v27, -v14, v45, v27
	s_waitcnt lgkmcnt(1)
	v_fma_f32 v28, -v24, v58, v28
	v_mov_b32_e32 v30, s29
	v_fma_f32 v27, -v15, v47, v27
	s_waitcnt lgkmcnt(0)
	v_fma_f32 v28, -v25, v60, v28
	ds_read2_b32 v[60:61], v30 offset1:1
	s_lshl_b32 s27, s27, 7
	s_sub_i32 s29, s4, 19
	v_fma_f32 v27, -v16, v49, v27
	s_add_i32 s28, s28, s27
	s_lshl_b32 s30, s29, 2
	v_fma_f32 v27, -v18, v51, v27
	v_mov_b32_e32 v30, s28
	s_add_i32 s28, s30, s5
	v_fma_f32 v27, -v20, v53, v27
	v_mov_b32_e32 v32, s28
	s_add_i32 s28, s30, s8
	v_fma_f32 v27, -v21, v55, v27
	v_mov_b32_e32 v35, s28
	ds_read_b32 v30, v30
	ds_read2_b32 v[62:63], v32 offset1:1
	ds_read2_b32 v[64:65], v35 offset1:1
	v_fma_f32 v27, -v24, v57, v27
	s_waitcnt lgkmcnt(3)
	v_mul_f32_e32 v28, v28, v61
	v_fma_f32 v27, -v25, v59, v27
	v_fma_f32 v27, -v28, v60, v27
	s_waitcnt lgkmcnt(2)
	v_mul_f32_e32 v27, v27, v30
	v_add_u32_e32 v29, s27, v33
	s_add_i32 s28, s30, s6
	ds_write_b32 v29, v27
	v_mov_b32_e32 v29, s28
	s_add_i32 s28, s30, s7
	v_add_u32_e32 v32, s26, v33
	v_mov_b32_e32 v31, s28
	s_add_i32 s28, s30, s9
	ds_write_b32 v32, v28
	v_mov_b32_e32 v34, s28
	ds_read2_b32 v[29:30], v29 offset1:1
	ds_read2_b32 v[31:32], v31 offset1:1
	;; [unrolled: 1-line block ×3, first 2 shown]
	s_waitcnt lgkmcnt(6)
	v_fma_f32 v26, -v4, v63, v26
	s_add_i32 s28, s30, s10
	s_waitcnt lgkmcnt(5)
	v_fma_f32 v26, -v5, v65, v26
	v_mov_b32_e32 v36, s28
	s_add_i32 s28, s30, s13
	ds_read2_b32 v[36:37], v36 offset1:1
	s_waitcnt lgkmcnt(3)
	v_fma_f32 v26, -v6, v30, v26
	v_mov_b32_e32 v30, s28
	s_add_i32 s28, s30, s17
	s_waitcnt lgkmcnt(2)
	v_fma_f32 v26, -v7, v32, v26
	v_mov_b32_e32 v32, s28
	s_add_i32 s28, s30, s18
	;; [unrolled: 4-line block ×3, first 2 shown]
	v_mov_b32_e32 v44, s28
	ds_read2_b32 v[38:39], v30 offset1:1
	ds_read2_b32 v[40:41], v32 offset1:1
	;; [unrolled: 1-line block ×4, first 2 shown]
	s_waitcnt lgkmcnt(4)
	v_fma_f32 v26, -v9, v37, v26
	s_add_i32 s28, s30, s20
	s_waitcnt lgkmcnt(3)
	v_fma_f32 v26, -v10, v39, v26
	v_mov_b32_e32 v30, s28
	s_add_i32 s28, s30, s21
	s_waitcnt lgkmcnt(2)
	v_fma_f32 v26, -v11, v41, v26
	v_mov_b32_e32 v32, s28
	s_add_i32 s28, s30, s22
	v_fma_f32 v23, -v4, v62, v23
	s_waitcnt lgkmcnt(1)
	v_fma_f32 v26, -v14, v43, v26
	v_mov_b32_e32 v35, s28
	s_add_i32 s28, s30, s23
	v_fma_f32 v23, -v5, v64, v23
	s_waitcnt lgkmcnt(0)
	v_fma_f32 v26, -v15, v45, v26
	ds_read2_b32 v[45:46], v30 offset1:1
	ds_read2_b32 v[47:48], v32 offset1:1
	;; [unrolled: 1-line block ×3, first 2 shown]
	v_mov_b32_e32 v30, s28
	v_fma_f32 v23, -v6, v29, v23
	ds_read2_b32 v[51:52], v30 offset1:1
	s_add_i32 s28, s30, s24
	v_fma_f32 v23, -v7, v31, v23
	v_mov_b32_e32 v30, s28
	s_add_i32 s28, s30, s25
	v_fma_f32 v23, -v8, v34, v23
	s_waitcnt lgkmcnt(3)
	v_fma_f32 v26, -v16, v46, v26
	v_mov_b32_e32 v32, s28
	s_add_i32 s28, s30, s26
	v_fma_f32 v23, -v9, v36, v23
	s_waitcnt lgkmcnt(2)
	;; [unrolled: 5-line block ×3, first 2 shown]
	v_fma_f32 v26, -v20, v50, v26
	v_mov_b32_e32 v37, s28
	ds_read2_b32 v[53:54], v30 offset1:1
	ds_read2_b32 v[55:56], v32 offset1:1
	;; [unrolled: 1-line block ×4, first 2 shown]
	v_fma_f32 v23, -v11, v40, v23
	s_waitcnt lgkmcnt(4)
	v_fma_f32 v26, -v21, v52, v26
	v_fma_f32 v23, -v14, v42, v23
	s_waitcnt lgkmcnt(3)
	v_fma_f32 v26, -v24, v54, v26
	s_add_i32 s28, s5, 0xfffff700
	v_fma_f32 v23, -v15, v44, v23
	s_waitcnt lgkmcnt(2)
	v_fma_f32 v26, -v25, v56, v26
	s_add_i32 s31, s30, s28
	v_fma_f32 v23, -v16, v45, v23
	s_waitcnt lgkmcnt(1)
	v_fma_f32 v26, -v28, v58, v26
	v_mov_b32_e32 v30, s31
	v_fma_f32 v23, -v18, v47, v23
	s_waitcnt lgkmcnt(0)
	v_fma_f32 v26, -v27, v60, v26
	ds_read2_b32 v[60:61], v30 offset1:1
	s_lshl_b32 s29, s29, 7
	s_sub_i32 s31, s4, 21
	v_fma_f32 v23, -v20, v49, v23
	s_add_i32 s30, s30, s29
	s_lshl_b32 s33, s31, 2
	v_fma_f32 v23, -v21, v51, v23
	v_mov_b32_e32 v30, s30
	s_add_i32 s30, s33, s5
	v_fma_f32 v23, -v24, v53, v23
	v_mov_b32_e32 v32, s30
	s_add_i32 s30, s33, s8
	v_fma_f32 v23, -v25, v55, v23
	v_mov_b32_e32 v35, s30
	ds_read_b32 v30, v30
	ds_read2_b32 v[65:66], v32 offset1:1
	ds_read2_b32 v[67:68], v35 offset1:1
	v_fma_f32 v23, -v28, v57, v23
	s_waitcnt lgkmcnt(3)
	v_mul_f32_e32 v26, v26, v61
	v_fma_f32 v23, -v27, v59, v23
	v_fma_f32 v23, -v26, v60, v23
	s_waitcnt lgkmcnt(2)
	v_mul_f32_e32 v23, v23, v30
	v_add_u32_e32 v29, s29, v33
	s_add_i32 s30, s33, s6
	ds_write_b32 v29, v23
	v_mov_b32_e32 v29, s30
	s_add_i32 s30, s33, s7
	v_add_u32_e32 v32, s28, v33
	v_mov_b32_e32 v31, s30
	s_add_i32 s30, s33, s9
	ds_write_b32 v32, v26
	v_mov_b32_e32 v34, s30
	ds_read2_b32 v[29:30], v29 offset1:1
	ds_read2_b32 v[31:32], v31 offset1:1
	;; [unrolled: 1-line block ×3, first 2 shown]
	s_waitcnt lgkmcnt(6)
	v_fma_f32 v22, -v4, v66, v22
	s_add_i32 s30, s33, s10
	s_waitcnt lgkmcnt(5)
	v_fma_f32 v22, -v5, v68, v22
	v_mov_b32_e32 v36, s30
	s_add_i32 s30, s33, s13
	ds_read2_b32 v[36:37], v36 offset1:1
	s_waitcnt lgkmcnt(3)
	v_fma_f32 v22, -v6, v30, v22
	v_mov_b32_e32 v30, s30
	s_add_i32 s30, s33, s17
	s_waitcnt lgkmcnt(2)
	v_fma_f32 v22, -v7, v32, v22
	v_mov_b32_e32 v32, s30
	s_add_i32 s30, s33, s18
	;; [unrolled: 4-line block ×3, first 2 shown]
	v_mov_b32_e32 v44, s30
	ds_read2_b32 v[38:39], v30 offset1:1
	ds_read2_b32 v[40:41], v32 offset1:1
	;; [unrolled: 1-line block ×4, first 2 shown]
	s_waitcnt lgkmcnt(4)
	v_fma_f32 v22, -v9, v37, v22
	s_add_i32 s30, s33, s20
	v_fma_f32 v19, -v4, v65, v19
	s_waitcnt lgkmcnt(3)
	v_fma_f32 v22, -v10, v39, v22
	v_mov_b32_e32 v30, s30
	s_add_i32 s30, s33, s21
	v_fma_f32 v19, -v5, v67, v19
	s_waitcnt lgkmcnt(2)
	v_fma_f32 v22, -v11, v41, v22
	v_mov_b32_e32 v32, s30
	;; [unrolled: 5-line block ×3, first 2 shown]
	s_add_i32 s30, s33, s23
	v_fma_f32 v19, -v7, v31, v19
	s_waitcnt lgkmcnt(0)
	v_fma_f32 v22, -v15, v45, v22
	ds_read2_b32 v[45:46], v30 offset1:1
	ds_read2_b32 v[47:48], v32 offset1:1
	;; [unrolled: 1-line block ×3, first 2 shown]
	v_mov_b32_e32 v30, s30
	v_fma_f32 v19, -v8, v34, v19
	ds_read2_b32 v[51:52], v30 offset1:1
	s_add_i32 s30, s33, s24
	v_fma_f32 v19, -v9, v36, v19
	v_mov_b32_e32 v30, s30
	s_add_i32 s30, s33, s25
	v_fma_f32 v19, -v10, v38, v19
	s_waitcnt lgkmcnt(3)
	v_fma_f32 v22, -v16, v46, v22
	v_mov_b32_e32 v32, s30
	s_add_i32 s30, s33, s26
	v_fma_f32 v19, -v11, v40, v19
	s_waitcnt lgkmcnt(2)
	v_fma_f32 v22, -v18, v48, v22
	v_mov_b32_e32 v35, s30
	s_add_i32 s30, s33, s27
	v_fma_f32 v19, -v14, v42, v19
	s_waitcnt lgkmcnt(1)
	v_fma_f32 v22, -v20, v50, v22
	v_mov_b32_e32 v37, s30
	ds_read2_b32 v[53:54], v30 offset1:1
	ds_read2_b32 v[55:56], v32 offset1:1
	;; [unrolled: 1-line block ×4, first 2 shown]
	v_fma_f32 v19, -v15, v44, v19
	s_waitcnt lgkmcnt(4)
	v_fma_f32 v22, -v21, v52, v22
	s_add_i32 s30, s33, s28
	v_fma_f32 v19, -v16, v45, v19
	s_waitcnt lgkmcnt(3)
	v_fma_f32 v22, -v24, v54, v22
	v_mov_b32_e32 v30, s30
	s_add_i32 s30, s33, s29
	v_fma_f32 v19, -v18, v47, v19
	s_waitcnt lgkmcnt(2)
	v_fma_f32 v22, -v25, v56, v22
	v_mov_b32_e32 v32, s30
	s_add_i32 s30, s5, 0xfffff600
	v_fma_f32 v19, -v20, v49, v19
	s_waitcnt lgkmcnt(1)
	v_fma_f32 v22, -v28, v58, v22
	s_add_i32 s34, s33, s30
	s_lshl_b32 s31, s31, 7
	v_fma_f32 v19, -v21, v51, v19
	s_waitcnt lgkmcnt(0)
	v_fma_f32 v22, -v27, v60, v22
	v_mov_b32_e32 v35, s34
	ds_read2_b32 v[60:61], v30 offset1:1
	ds_read2_b32 v[62:63], v32 offset1:1
	;; [unrolled: 1-line block ×3, first 2 shown]
	s_add_i32 s33, s33, s31
	v_fma_f32 v19, -v24, v53, v19
	s_sub_i32 s34, s4, 23
	v_mov_b32_e32 v30, s33
	v_fma_f32 v19, -v25, v55, v19
	s_lshl_b32 s35, s34, 2
	ds_read_b32 v30, v30
	v_fma_f32 v19, -v28, v57, v19
	s_add_i32 s33, s35, s5
	s_waitcnt lgkmcnt(3)
	v_fma_f32 v22, -v26, v61, v22
	v_fma_f32 v19, -v27, v59, v19
	v_mov_b32_e32 v29, s33
	s_add_i32 s33, s35, s8
	s_waitcnt lgkmcnt(2)
	v_fma_f32 v22, -v23, v63, v22
	v_fma_f32 v19, -v26, v60, v19
	v_mov_b32_e32 v31, s33
	s_add_i32 s33, s35, s6
	s_waitcnt lgkmcnt(1)
	v_mul_f32_e32 v22, v22, v69
	v_add_u32_e32 v32, s30, v33
	v_fma_f32 v19, -v23, v62, v19
	v_mov_b32_e32 v34, s33
	s_add_i32 s33, s35, s7
	ds_write_b32 v32, v22
	v_fma_f32 v19, -v22, v68, v19
	v_mov_b32_e32 v36, s33
	s_waitcnt lgkmcnt(1)
	v_mul_f32_e32 v19, v19, v30
	ds_read2_b32 v[29:30], v29 offset1:1
	ds_read2_b32 v[31:32], v31 offset1:1
	;; [unrolled: 1-line block ×4, first 2 shown]
	s_add_i32 s33, s35, s9
	s_waitcnt lgkmcnt(3)
	v_fma_f32 v17, -v4, v30, v17
	v_mov_b32_e32 v30, s33
	s_add_i32 s33, s35, s10
	v_add_u32_e32 v38, s31, v33
	s_waitcnt lgkmcnt(2)
	v_fma_f32 v17, -v5, v32, v17
	v_mov_b32_e32 v32, s33
	s_add_i32 s33, s35, s13
	ds_write_b32 v38, v19
	s_waitcnt lgkmcnt(2)
	v_fma_f32 v17, -v6, v35, v17
	v_mov_b32_e32 v35, s33
	s_add_i32 s33, s35, s17
	s_waitcnt lgkmcnt(1)
	v_fma_f32 v17, -v7, v37, v17
	ds_read2_b32 v[37:38], v30 offset1:1
	ds_read2_b32 v[39:40], v32 offset1:1
	;; [unrolled: 1-line block ×3, first 2 shown]
	v_mov_b32_e32 v30, s33
	ds_read2_b32 v[43:44], v30 offset1:1
	s_add_i32 s33, s35, s18
	v_mov_b32_e32 v30, s33
	s_add_i32 s33, s35, s19
	s_waitcnt lgkmcnt(3)
	v_fma_f32 v17, -v8, v38, v17
	v_mov_b32_e32 v32, s33
	s_add_i32 s33, s35, s20
	s_waitcnt lgkmcnt(2)
	v_fma_f32 v17, -v9, v40, v17
	v_mov_b32_e32 v35, s33
	s_add_i32 s33, s35, s21
	v_fma_f32 v13, -v4, v29, v13
	s_waitcnt lgkmcnt(1)
	v_fma_f32 v17, -v10, v42, v17
	v_mov_b32_e32 v38, s33
	ds_read2_b32 v[45:46], v30 offset1:1
	ds_read2_b32 v[47:48], v32 offset1:1
	;; [unrolled: 1-line block ×4, first 2 shown]
	v_fma_f32 v13, -v5, v31, v13
	s_waitcnt lgkmcnt(4)
	v_fma_f32 v17, -v11, v44, v17
	s_add_i32 s33, s35, s22
	v_fma_f32 v13, -v6, v34, v13
	s_waitcnt lgkmcnt(3)
	v_fma_f32 v17, -v14, v46, v17
	v_mov_b32_e32 v30, s33
	s_add_i32 s33, s35, s23
	v_fma_f32 v13, -v7, v36, v13
	s_waitcnt lgkmcnt(2)
	v_fma_f32 v17, -v15, v48, v17
	v_mov_b32_e32 v32, s33
	;; [unrolled: 5-line block ×3, first 2 shown]
	s_add_i32 s33, s35, s25
	v_fma_f32 v13, -v9, v39, v13
	s_waitcnt lgkmcnt(0)
	v_fma_f32 v17, -v18, v52, v17
	ds_read2_b32 v[52:53], v30 offset1:1
	ds_read2_b32 v[54:55], v32 offset1:1
	ds_read2_b32 v[56:57], v35 offset1:1
	v_mov_b32_e32 v30, s33
	v_fma_f32 v13, -v10, v41, v13
	ds_read2_b32 v[58:59], v30 offset1:1
	s_add_i32 s33, s35, s26
	v_fma_f32 v13, -v11, v43, v13
	v_mov_b32_e32 v30, s33
	s_add_i32 s33, s35, s27
	v_fma_f32 v13, -v14, v45, v13
	s_waitcnt lgkmcnt(3)
	v_fma_f32 v17, -v20, v53, v17
	v_mov_b32_e32 v32, s33
	s_add_i32 s33, s35, s28
	v_fma_f32 v13, -v15, v47, v13
	s_waitcnt lgkmcnt(2)
	;; [unrolled: 5-line block ×3, first 2 shown]
	v_fma_f32 v17, -v24, v57, v17
	v_mov_b32_e32 v38, s33
	ds_read2_b32 v[60:61], v30 offset1:1
	ds_read2_b32 v[62:63], v32 offset1:1
	;; [unrolled: 1-line block ×4, first 2 shown]
	v_fma_f32 v13, -v18, v51, v13
	s_waitcnt lgkmcnt(4)
	v_fma_f32 v17, -v25, v59, v17
	s_add_i32 s33, s35, s30
	v_fma_f32 v13, -v20, v52, v13
	s_waitcnt lgkmcnt(3)
	v_fma_f32 v17, -v28, v61, v17
	v_mov_b32_e32 v30, s33
	s_add_i32 s33, s35, s31
	v_fma_f32 v13, -v21, v54, v13
	s_waitcnt lgkmcnt(2)
	v_fma_f32 v17, -v27, v63, v17
	v_mov_b32_e32 v32, s33
	s_add_i32 s33, s5, 0xfffff500
	v_fma_f32 v13, -v24, v56, v13
	s_waitcnt lgkmcnt(1)
	v_fma_f32 v17, -v26, v65, v17
	s_add_i32 s36, s35, s33
	s_lshl_b32 s34, s34, 7
	v_fma_f32 v13, -v25, v58, v13
	s_waitcnt lgkmcnt(0)
	v_fma_f32 v17, -v23, v67, v17
	v_mov_b32_e32 v35, s36
	ds_read2_b32 v[67:68], v30 offset1:1
	ds_read2_b32 v[69:70], v32 offset1:1
	;; [unrolled: 1-line block ×3, first 2 shown]
	s_add_i32 s35, s35, s34
	v_fma_f32 v13, -v28, v60, v13
	v_mov_b32_e32 v30, s35
	v_fma_f32 v13, -v27, v62, v13
	ds_read_b32 v30, v30
	v_fma_f32 v13, -v26, v64, v13
	s_waitcnt lgkmcnt(3)
	v_fma_f32 v17, -v22, v68, v17
	v_fma_f32 v13, -v23, v66, v13
	s_waitcnt lgkmcnt(2)
	v_fma_f32 v17, -v19, v70, v17
	v_fma_f32 v13, -v22, v67, v13
	s_waitcnt lgkmcnt(1)
	v_mul_f32_e32 v17, v17, v72
	v_fma_f32 v13, -v19, v69, v13
	s_sub_i32 s37, s4, 25
	v_fma_f32 v13, -v17, v71, v13
	s_lshl_b32 s35, s37, 2
	s_waitcnt lgkmcnt(0)
	v_mul_f32_e32 v79, v13, v30
	v_add_u32_e32 v13, s34, v33
	s_add_i32 s36, s35, s5
	ds_write_b32 v13, v79
	v_mov_b32_e32 v13, s36
	s_add_i32 s36, s35, s8
	v_add_u32_e32 v32, s33, v33
	v_mov_b32_e32 v31, s36
	s_add_i32 s36, s35, s6
	ds_write_b32 v32, v17
	v_mov_b32_e32 v34, s36
	ds_read2_b32 v[29:30], v13 offset1:1
	ds_read2_b32 v[31:32], v31 offset1:1
	ds_read2_b32 v[34:35], v34 offset1:1
	s_add_i32 s36, s35, s7
	v_mov_b32_e32 v13, s36
	s_waitcnt lgkmcnt(2)
	v_fma_f32 v12, -v4, v30, v12
	s_waitcnt lgkmcnt(1)
	v_fma_f32 v12, -v5, v32, v12
	s_add_i32 s36, s35, s9
	ds_read2_b32 v[36:37], v13 offset1:1
	s_waitcnt lgkmcnt(1)
	v_fma_f32 v30, -v6, v35, v12
	v_mov_b32_e32 v12, s36
	s_add_i32 s36, s35, s10
	v_mov_b32_e32 v32, s36
	s_add_i32 s36, s35, s13
	;; [unrolled: 2-line block ×3, first 2 shown]
	v_mov_b32_e32 v42, s36
	ds_read2_b32 v[12:13], v12 offset1:1
	ds_read2_b32 v[38:39], v32 offset1:1
	ds_read2_b32 v[40:41], v35 offset1:1
	ds_read2_b32 v[42:43], v42 offset1:1
	s_waitcnt lgkmcnt(4)
	v_fma_f32 v30, -v7, v37, v30
	s_add_i32 s36, s35, s18
	s_waitcnt lgkmcnt(3)
	v_fma_f32 v13, -v8, v13, v30
	v_mov_b32_e32 v30, s36
	s_add_i32 s36, s35, s19
	s_waitcnt lgkmcnt(2)
	v_fma_f32 v13, -v9, v39, v13
	v_mov_b32_e32 v32, s36
	;; [unrolled: 4-line block ×3, first 2 shown]
	s_add_i32 s36, s35, s21
	s_waitcnt lgkmcnt(0)
	v_fma_f32 v13, -v11, v43, v13
	ds_read2_b32 v[43:44], v30 offset1:1
	ds_read2_b32 v[45:46], v32 offset1:1
	;; [unrolled: 1-line block ×3, first 2 shown]
	v_mov_b32_e32 v30, s36
	ds_read2_b32 v[49:50], v30 offset1:1
	s_add_i32 s36, s35, s22
	v_mov_b32_e32 v30, s36
	s_add_i32 s36, s35, s23
	s_waitcnt lgkmcnt(3)
	v_fma_f32 v13, -v14, v44, v13
	v_mov_b32_e32 v32, s36
	s_add_i32 s36, s35, s24
	s_waitcnt lgkmcnt(2)
	v_fma_f32 v13, -v15, v46, v13
	v_mov_b32_e32 v35, s36
	s_add_i32 s36, s35, s25
	v_fma_f32 v3, -v4, v29, v3
	s_waitcnt lgkmcnt(1)
	v_fma_f32 v13, -v16, v48, v13
	v_mov_b32_e32 v37, s36
	ds_read2_b32 v[51:52], v30 offset1:1
	ds_read2_b32 v[53:54], v32 offset1:1
	;; [unrolled: 1-line block ×4, first 2 shown]
	v_fma_f32 v3, -v5, v31, v3
	s_waitcnt lgkmcnt(4)
	v_fma_f32 v13, -v18, v50, v13
	s_add_i32 s36, s35, s26
	v_fma_f32 v3, -v6, v34, v3
	s_waitcnt lgkmcnt(3)
	v_fma_f32 v13, -v20, v52, v13
	v_mov_b32_e32 v30, s36
	s_add_i32 s36, s35, s27
	v_fma_f32 v3, -v7, v36, v3
	s_waitcnt lgkmcnt(2)
	v_fma_f32 v13, -v21, v54, v13
	v_mov_b32_e32 v32, s36
	;; [unrolled: 5-line block ×3, first 2 shown]
	s_add_i32 s36, s35, s29
	v_fma_f32 v3, -v9, v38, v3
	s_waitcnt lgkmcnt(0)
	v_fma_f32 v13, -v25, v58, v13
	ds_read2_b32 v[58:59], v30 offset1:1
	ds_read2_b32 v[60:61], v32 offset1:1
	;; [unrolled: 1-line block ×3, first 2 shown]
	v_mov_b32_e32 v30, s36
	v_fma_f32 v3, -v10, v40, v3
	ds_read2_b32 v[64:65], v30 offset1:1
	s_add_i32 s36, s35, s30
	v_fma_f32 v3, -v11, v42, v3
	v_mov_b32_e32 v30, s36
	s_add_i32 s36, s35, s31
	v_fma_f32 v3, -v14, v43, v3
	s_waitcnt lgkmcnt(3)
	v_fma_f32 v13, -v28, v59, v13
	v_mov_b32_e32 v32, s36
	s_add_i32 s36, s35, s33
	v_fma_f32 v3, -v15, v45, v3
	s_waitcnt lgkmcnt(2)
	;; [unrolled: 5-line block ×3, first 2 shown]
	v_fma_f32 v13, -v26, v63, v13
	v_mov_b32_e32 v37, s36
	ds_read2_b32 v[66:67], v30 offset1:1
	ds_read2_b32 v[68:69], v32 offset1:1
	;; [unrolled: 1-line block ×4, first 2 shown]
	v_fma_f32 v3, -v18, v49, v3
	s_waitcnt lgkmcnt(4)
	v_fma_f32 v13, -v23, v65, v13
	v_fma_f32 v3, -v20, v51, v3
	s_waitcnt lgkmcnt(3)
	v_fma_f32 v13, -v22, v67, v13
	s_add_i32 s38, s5, 0xfffff400
	v_fma_f32 v3, -v21, v53, v3
	s_waitcnt lgkmcnt(2)
	v_fma_f32 v13, -v19, v69, v13
	s_add_i32 s35, s35, s38
	s_mul_i32 s36, s4, 0x84
	v_fma_f32 v3, -v24, v55, v3
	s_waitcnt lgkmcnt(1)
	v_fma_f32 v13, -v17, v71, v13
	v_mov_b32_e32 v30, s35
	s_add_i32 s35, s36, 0xfffff31c
	v_fma_f32 v3, -v25, v57, v3
	s_waitcnt lgkmcnt(0)
	v_fma_f32 v13, -v79, v73, v13
	ds_read2_b32 v[73:74], v30 offset1:1
	v_mov_b32_e32 v30, s35
	s_sub_i32 s35, s4, 27
	v_fma_f32 v3, -v28, v58, v3
	s_lshl_b32 s39, s35, 2
	v_fma_f32 v3, -v27, v60, v3
	s_add_i32 s40, s39, s5
	s_add_i32 s8, s39, s8
	v_fma_f32 v3, -v26, v62, v3
	v_mov_b32_e32 v32, s40
	v_mov_b32_e32 v35, s8
	ds_read_b32 v30, v30
	ds_read2_b32 v[75:76], v32 offset1:1
	ds_read2_b32 v[77:78], v35 offset1:1
	v_fma_f32 v3, -v23, v64, v3
	v_fma_f32 v3, -v22, v66, v3
	;; [unrolled: 1-line block ×4, first 2 shown]
	s_add_i32 s6, s39, s6
	s_waitcnt lgkmcnt(3)
	v_mul_f32_e32 v74, v13, v74
	v_fma_f32 v3, -v79, v72, v3
	s_waitcnt lgkmcnt(1)
	v_fma_f32 v34, -v4, v76, v2
	v_mov_b32_e32 v2, s6
	s_add_i32 s6, s39, s7
	v_fma_f32 v3, -v74, v73, v3
	s_lshl_b32 s8, s37, 7
	v_mov_b32_e32 v12, s6
	s_add_i32 s6, s39, s9
	v_add_u32_e32 v13, s38, v33
	v_mul_f32_e32 v80, v3, v30
	v_add_u32_e32 v3, s8, v33
	v_mov_b32_e32 v29, s6
	s_add_i32 s6, s39, s10
	ds_write_b32 v13, v74
	ds_write_b32 v3, v80
	v_mov_b32_e32 v31, s6
	ds_read2_b32 v[2:3], v2 offset1:1
	ds_read2_b32 v[12:13], v12 offset1:1
	;; [unrolled: 1-line block ×4, first 2 shown]
	s_waitcnt lgkmcnt(6)
	v_fma_f32 v34, -v5, v78, v34
	s_waitcnt lgkmcnt(3)
	v_fma_f32 v3, -v6, v3, v34
	s_add_i32 s6, s39, s13
	s_waitcnt lgkmcnt(2)
	v_fma_f32 v3, -v7, v13, v3
	v_mov_b32_e32 v13, s6
	s_add_i32 s6, s39, s17
	s_waitcnt lgkmcnt(1)
	v_fma_f32 v3, -v8, v30, v3
	v_mov_b32_e32 v30, s6
	;; [unrolled: 4-line block ×3, first 2 shown]
	s_add_i32 s6, s39, s19
	ds_read2_b32 v[34:35], v13 offset1:1
	ds_read2_b32 v[36:37], v30 offset1:1
	;; [unrolled: 1-line block ×3, first 2 shown]
	v_mov_b32_e32 v13, s6
	ds_read2_b32 v[40:41], v13 offset1:1
	s_add_i32 s6, s39, s20
	v_mov_b32_e32 v13, s6
	s_add_i32 s6, s39, s21
	v_fma_f32 v1, -v4, v75, v1
	s_waitcnt lgkmcnt(3)
	v_fma_f32 v3, -v10, v35, v3
	v_mov_b32_e32 v30, s6
	s_add_i32 s6, s39, s22
	v_fma_f32 v1, -v5, v77, v1
	s_waitcnt lgkmcnt(2)
	v_fma_f32 v3, -v11, v37, v3
	;; [unrolled: 5-line block ×3, first 2 shown]
	v_mov_b32_e32 v35, s6
	ds_read2_b32 v[42:43], v13 offset1:1
	ds_read2_b32 v[44:45], v30 offset1:1
	;; [unrolled: 1-line block ×4, first 2 shown]
	v_fma_f32 v1, -v7, v12, v1
	s_waitcnt lgkmcnt(4)
	v_fma_f32 v3, -v15, v41, v3
	s_add_i32 s6, s39, s24
	v_fma_f32 v1, -v8, v29, v1
	s_waitcnt lgkmcnt(3)
	v_fma_f32 v3, -v16, v43, v3
	v_mov_b32_e32 v13, s6
	s_add_i32 s6, s39, s25
	v_fma_f32 v1, -v9, v31, v1
	s_waitcnt lgkmcnt(2)
	v_fma_f32 v3, -v18, v45, v3
	v_mov_b32_e32 v30, s6
	;; [unrolled: 5-line block ×3, first 2 shown]
	s_add_i32 s6, s39, s27
	v_fma_f32 v1, -v11, v36, v1
	s_waitcnt lgkmcnt(0)
	v_fma_f32 v3, -v21, v49, v3
	ds_read2_b32 v[49:50], v13 offset1:1
	ds_read2_b32 v[51:52], v30 offset1:1
	;; [unrolled: 1-line block ×3, first 2 shown]
	v_mov_b32_e32 v13, s6
	v_fma_f32 v1, -v14, v38, v1
	ds_read2_b32 v[55:56], v13 offset1:1
	s_add_i32 s6, s39, s28
	v_fma_f32 v1, -v15, v40, v1
	v_mov_b32_e32 v13, s6
	s_add_i32 s6, s39, s29
	v_fma_f32 v1, -v16, v42, v1
	s_waitcnt lgkmcnt(3)
	v_fma_f32 v3, -v24, v50, v3
	v_mov_b32_e32 v30, s6
	s_add_i32 s6, s39, s30
	v_fma_f32 v1, -v18, v44, v1
	s_waitcnt lgkmcnt(2)
	;; [unrolled: 5-line block ×3, first 2 shown]
	v_fma_f32 v3, -v28, v54, v3
	v_mov_b32_e32 v35, s6
	ds_read2_b32 v[57:58], v13 offset1:1
	ds_read2_b32 v[59:60], v30 offset1:1
	;; [unrolled: 1-line block ×4, first 2 shown]
	v_fma_f32 v1, -v21, v48, v1
	s_waitcnt lgkmcnt(4)
	v_fma_f32 v3, -v27, v56, v3
	s_add_i32 s6, s39, s33
	v_fma_f32 v1, -v24, v49, v1
	s_waitcnt lgkmcnt(3)
	v_fma_f32 v3, -v26, v58, v3
	v_mov_b32_e32 v13, s6
	s_add_i32 s6, s39, s34
	v_fma_f32 v1, -v25, v51, v1
	s_waitcnt lgkmcnt(2)
	v_fma_f32 v3, -v23, v60, v3
	v_mov_b32_e32 v30, s6
	;; [unrolled: 5-line block ×3, first 2 shown]
	s_add_i32 s6, s39, s8
	s_addk_i32 s5, 0xf300
	v_fma_f32 v1, -v27, v55, v1
	s_waitcnt lgkmcnt(0)
	v_fma_f32 v3, -v19, v64, v3
	ds_read2_b32 v[64:65], v13 offset1:1
	ds_read2_b32 v[66:67], v30 offset1:1
	;; [unrolled: 1-line block ×3, first 2 shown]
	v_mov_b32_e32 v13, s6
	s_add_i32 s6, s39, s5
	v_fma_f32 v1, -v26, v57, v1
	ds_read2_b32 v[70:71], v13 offset1:1
	v_mov_b32_e32 v13, s6
	v_fma_f32 v1, -v23, v59, v1
	ds_read2_b32 v[72:73], v13 offset1:1
	s_add_i32 s6, s36, 0xfffff214
	v_fma_f32 v1, -v22, v61, v1
	s_waitcnt lgkmcnt(4)
	v_fma_f32 v3, -v17, v65, v3
	v_mov_b32_e32 v13, s6
	v_fma_f32 v1, -v19, v63, v1
	s_waitcnt lgkmcnt(3)
	v_fma_f32 v3, -v79, v67, v3
	ds_read_b32 v13, v13
	v_fma_f32 v1, -v17, v64, v1
	s_waitcnt lgkmcnt(3)
	v_fma_f32 v3, -v74, v69, v3
	v_fma_f32 v1, -v79, v66, v1
	s_waitcnt lgkmcnt(2)
	v_fma_f32 v3, -v80, v71, v3
	v_fma_f32 v1, -v74, v68, v1
	s_waitcnt lgkmcnt(1)
	v_mul_f32_e32 v3, v3, v73
	v_fma_f32 v1, -v80, v70, v1
	v_fma_f32 v1, -v3, v72, v1
	v_add_u32_e32 v30, s5, v33
	s_waitcnt lgkmcnt(0)
	v_mul_f32_e32 v1, v1, v13
	v_lshl_add_u32 v2, s35, 7, v33
	s_sub_i32 s4, s4, 28
	ds_write_b32 v30, v3
	ds_write_b32 v2, v1
.LBB36_49:
	s_cmp_lt_i32 s4, 0
	s_cbranch_scc1 .LBB36_66
; %bb.50:
	s_and_b32 s5, s4, 3
	s_cmp_eq_u32 s5, 3
	s_mov_b32 s5, s4
	s_cbranch_scc1 .LBB36_55
; %bb.51:
	s_add_i32 s5, s4, 1
	s_and_b32 s6, s5, 3
	s_lshl_b32 s5, s16, 7
	s_lshl_b32 s7, s4, 2
	s_add_i32 s7, s5, s7
	v_lshl_or_b32 v1, v0, 2, s5
	s_addk_i32 s7, 0xff80
	v_add_u32_e32 v1, 0xf80, v1
	s_mov_b32 s8, 0
	s_mov_b32 s5, s4
	s_branch .LBB36_53
.LBB36_52:                              ;   in Loop: Header=BB36_53 Depth=1
	s_mul_i32 s9, s5, 0x84
	v_mov_b32_e32 v4, s9
	ds_read_b32 v4, v4
	s_add_i32 s5, s5, -1
	s_add_i32 s8, s8, 1
	s_add_i32 s7, s7, -4
	s_cmp_lg_u32 s8, s6
	s_waitcnt lgkmcnt(0)
	v_mul_f32_e32 v3, v3, v4
	ds_write_b32 v2, v3
	s_cbranch_scc0 .LBB36_55
.LBB36_53:                              ; =>This Loop Header: Depth=1
                                        ;     Child Loop BB36_54 Depth 2
	s_lshl_b32 s9, s5, 7
	v_add_u32_e32 v2, s9, v33
	ds_read_b32 v3, v2
	s_cmp_le_i32 s12, s5
	v_mov_b32_e32 v4, v1
	s_mov_b32 s9, s7
	s_mov_b32 s10, s12
	s_cbranch_scc1 .LBB36_52
.LBB36_54:                              ;   Parent Loop BB36_53 Depth=1
                                        ; =>  This Inner Loop Header: Depth=2
	v_mov_b32_e32 v6, s9
	ds_read_b32 v5, v4
	ds_read_b32 v6, v6
	s_add_i32 s10, s10, -1
	s_addk_i32 s9, 0xff80
	v_add_u32_e32 v4, 0xffffff80, v4
	s_cmp_gt_i32 s10, s5
	s_waitcnt lgkmcnt(0)
	v_fma_f32 v3, -v5, v6, v3
	s_cbranch_scc1 .LBB36_54
	s_branch .LBB36_52
.LBB36_55:
	s_cmp_lt_u32 s4, 3
	s_cbranch_scc1 .LBB36_66
; %bb.56:
	s_lshl_b32 s6, s16, 7
	s_lshl_b32 s4, s5, 2
	s_add_i32 s8, s6, s4
	v_lshl_or_b32 v1, v0, 2, s6
	s_add_i32 s4, s8, 0xffffff80
	v_add_u32_e32 v1, 0xf80, v1
	s_add_i32 s6, s8, 0xffffff7c
	s_add_i32 s7, s8, 0xffffff78
	s_addk_i32 s8, 0xff74
	s_branch .LBB36_58
.LBB36_57:                              ;   in Loop: Header=BB36_58 Depth=1
	s_addk_i32 s9, 0xff7c
	v_mov_b32_e32 v3, s9
	ds_read_b32 v3, v3
	s_add_i32 s9, s5, -4
	s_add_i32 s4, s4, -16
	;; [unrolled: 1-line block ×5, first 2 shown]
	s_waitcnt lgkmcnt(0)
	v_mul_f32_e32 v3, v5, v3
	s_cmp_lt_i32 s5, 4
	s_mov_b32 s5, s9
	ds_write_b32 v2, v3
	s_cbranch_scc1 .LBB36_66
.LBB36_58:                              ; =>This Loop Header: Depth=1
                                        ;     Child Loop BB36_59 Depth 2
                                        ;     Child Loop BB36_61 Depth 2
	;; [unrolled: 1-line block ×4, first 2 shown]
	s_lshl_b32 s10, s5, 7
	v_add_u32_e32 v3, s10, v33
	ds_read_b32 v4, v3
	s_cmp_le_i32 s12, s5
	v_mov_b32_e32 v2, v1
	s_mov_b32 s9, s4
	s_mov_b32 s13, s12
	s_cbranch_scc1 .LBB36_60
.LBB36_59:                              ;   Parent Loop BB36_58 Depth=1
                                        ; =>  This Inner Loop Header: Depth=2
	v_mov_b32_e32 v6, s9
	ds_read_b32 v5, v2
	ds_read_b32 v6, v6
	s_add_i32 s13, s13, -1
	s_addk_i32 s9, 0xff80
	v_add_u32_e32 v2, 0xffffff80, v2
	s_cmp_gt_i32 s13, s5
	s_waitcnt lgkmcnt(0)
	v_fma_f32 v4, -v5, v6, v4
	s_cbranch_scc1 .LBB36_59
.LBB36_60:                              ;   in Loop: Header=BB36_58 Depth=1
	s_mul_i32 s9, s5, 0x84
	v_mov_b32_e32 v2, s9
	ds_read_b32 v6, v2
	s_addk_i32 s10, 0xff80
	v_add_u32_e32 v2, s10, v33
	ds_read_b32 v5, v2
	s_cmp_le_i32 s16, s5
	s_waitcnt lgkmcnt(1)
	v_mul_f32_e32 v4, v4, v6
	ds_write_b32 v3, v4
	v_mov_b32_e32 v3, v1
	s_mov_b32 s10, s6
	s_mov_b32 s13, s16
	s_cbranch_scc1 .LBB36_62
.LBB36_61:                              ;   Parent Loop BB36_58 Depth=1
                                        ; =>  This Inner Loop Header: Depth=2
	v_mov_b32_e32 v6, s10
	ds_read_b32 v4, v3
	ds_read_b32 v6, v6
	s_add_i32 s13, s13, -1
	s_addk_i32 s10, 0xff80
	v_add_u32_e32 v3, 0xffffff80, v3
	s_cmp_gt_i32 s13, s5
	s_waitcnt lgkmcnt(0)
	v_fma_f32 v5, -v4, v6, v5
	s_cbranch_scc1 .LBB36_61
.LBB36_62:                              ;   in Loop: Header=BB36_58 Depth=1
	s_addk_i32 s9, 0xff7c
	v_mov_b32_e32 v3, s9
	s_add_i32 s10, s5, -2
	ds_read_b32 v6, v3
	s_lshl_b32 s13, s10, 7
	v_add_u32_e32 v3, s13, v33
	ds_read_b32 v4, v3
	s_cmp_le_i32 s12, s10
	s_waitcnt lgkmcnt(1)
	v_mul_f32_e32 v5, v5, v6
	ds_write_b32 v2, v5
	v_mov_b32_e32 v2, v1
	s_mov_b32 s13, s7
	s_mov_b32 s17, s12
	s_cbranch_scc1 .LBB36_64
.LBB36_63:                              ;   Parent Loop BB36_58 Depth=1
                                        ; =>  This Inner Loop Header: Depth=2
	v_mov_b32_e32 v6, s13
	ds_read_b32 v5, v2
	ds_read_b32 v6, v6
	s_add_i32 s17, s17, -1
	s_addk_i32 s13, 0xff80
	v_add_u32_e32 v2, 0xffffff80, v2
	s_cmp_gt_i32 s17, s10
	s_waitcnt lgkmcnt(0)
	v_fma_f32 v4, -v5, v6, v4
	s_cbranch_scc1 .LBB36_63
.LBB36_64:                              ;   in Loop: Header=BB36_58 Depth=1
	s_addk_i32 s9, 0xff7c
	v_mov_b32_e32 v2, s9
	s_add_i32 s10, s5, -3
	ds_read_b32 v6, v2
	s_lshl_b32 s13, s10, 7
	v_add_u32_e32 v2, s13, v33
	ds_read_b32 v5, v2
	s_cmp_le_i32 s12, s10
	s_waitcnt lgkmcnt(1)
	v_mul_f32_e32 v4, v4, v6
	ds_write_b32 v3, v4
	v_mov_b32_e32 v3, v1
	s_mov_b32 s13, s8
	s_mov_b32 s17, s12
	s_cbranch_scc1 .LBB36_57
.LBB36_65:                              ;   Parent Loop BB36_58 Depth=1
                                        ; =>  This Inner Loop Header: Depth=2
	v_mov_b32_e32 v6, s13
	ds_read_b32 v4, v3
	ds_read_b32 v6, v6
	s_add_i32 s17, s17, -1
	s_addk_i32 s13, 0xff80
	v_add_u32_e32 v3, 0xffffff80, v3
	s_cmp_gt_i32 s17, s10
	s_waitcnt lgkmcnt(0)
	v_fma_f32 v5, -v4, v6, v5
	s_cbranch_scc1 .LBB36_65
	s_branch .LBB36_57
.LBB36_66:
	s_waitcnt lgkmcnt(0)
	; wave barrier
	s_and_saveexec_b64 s[4:5], s[0:1]
	s_cbranch_execz .LBB36_70
; %bb.67:
	s_andn2_b64 vcc, exec, s[2:3]
	s_cbranch_vccnz .LBB36_70
; %bb.68:
	v_mad_i64_i32 v[1:2], s[0:1], s14, v0, 0
	v_mov_b32_e32 v3, s15
	v_lshlrev_b64 v[1:2], 2, v[1:2]
	v_add_co_u32_e32 v1, vcc, s11, v1
	v_addc_co_u32_e32 v2, vcc, v3, v2, vcc
	v_mov_b32_e32 v3, 0x1000
	v_lshl_or_b32 v0, v0, 2, v3
.LBB36_69:                              ; =>This Inner Loop Header: Depth=1
	ds_read_b32 v3, v0
	s_add_i32 s16, s16, -1
	v_add_u32_e32 v0, 0x80, v0
	s_cmp_lg_u32 s16, 0
	s_waitcnt lgkmcnt(0)
	global_store_dword v[1:2], v3, off
	v_add_co_u32_e32 v1, vcc, 4, v1
	v_addc_co_u32_e32 v2, vcc, 0, v2, vcc
	s_cbranch_scc1 .LBB36_69
.LBB36_70:
	s_endpgm
	.section	.rodata,"a",@progbits
	.p2align	6, 0x0
	.amdhsa_kernel _ZL38rocblas_trsm_small_left_device_sharedBILi32ELi32ELb0EffPKfPfEv13rocblas_fill_18rocblas_operation_17rocblas_diagonal_iiT3_T4_lilT5_lili
		.amdhsa_group_segment_fixed_size 8192
		.amdhsa_private_segment_fixed_size 0
		.amdhsa_kernarg_size 352
		.amdhsa_user_sgpr_count 6
		.amdhsa_user_sgpr_private_segment_buffer 1
		.amdhsa_user_sgpr_dispatch_ptr 0
		.amdhsa_user_sgpr_queue_ptr 0
		.amdhsa_user_sgpr_kernarg_segment_ptr 1
		.amdhsa_user_sgpr_dispatch_id 0
		.amdhsa_user_sgpr_flat_scratch_init 0
		.amdhsa_user_sgpr_private_segment_size 0
		.amdhsa_uses_dynamic_stack 0
		.amdhsa_system_sgpr_private_segment_wavefront_offset 0
		.amdhsa_system_sgpr_workgroup_id_x 1
		.amdhsa_system_sgpr_workgroup_id_y 0
		.amdhsa_system_sgpr_workgroup_id_z 1
		.amdhsa_system_sgpr_workgroup_info 0
		.amdhsa_system_vgpr_workitem_id 0
		.amdhsa_next_free_vgpr 92
		.amdhsa_next_free_sgpr 98
		.amdhsa_reserve_vcc 1
		.amdhsa_reserve_flat_scratch 0
		.amdhsa_float_round_mode_32 0
		.amdhsa_float_round_mode_16_64 0
		.amdhsa_float_denorm_mode_32 3
		.amdhsa_float_denorm_mode_16_64 3
		.amdhsa_dx10_clamp 1
		.amdhsa_ieee_mode 1
		.amdhsa_fp16_overflow 0
		.amdhsa_exception_fp_ieee_invalid_op 0
		.amdhsa_exception_fp_denorm_src 0
		.amdhsa_exception_fp_ieee_div_zero 0
		.amdhsa_exception_fp_ieee_overflow 0
		.amdhsa_exception_fp_ieee_underflow 0
		.amdhsa_exception_fp_ieee_inexact 0
		.amdhsa_exception_int_div_zero 0
	.end_amdhsa_kernel
	.section	.text._ZL38rocblas_trsm_small_left_device_sharedBILi32ELi32ELb0EffPKfPfEv13rocblas_fill_18rocblas_operation_17rocblas_diagonal_iiT3_T4_lilT5_lili,"axG",@progbits,_ZL38rocblas_trsm_small_left_device_sharedBILi32ELi32ELb0EffPKfPfEv13rocblas_fill_18rocblas_operation_17rocblas_diagonal_iiT3_T4_lilT5_lili,comdat
.Lfunc_end36:
	.size	_ZL38rocblas_trsm_small_left_device_sharedBILi32ELi32ELb0EffPKfPfEv13rocblas_fill_18rocblas_operation_17rocblas_diagonal_iiT3_T4_lilT5_lili, .Lfunc_end36-_ZL38rocblas_trsm_small_left_device_sharedBILi32ELi32ELb0EffPKfPfEv13rocblas_fill_18rocblas_operation_17rocblas_diagonal_iiT3_T4_lilT5_lili
                                        ; -- End function
	.set _ZL38rocblas_trsm_small_left_device_sharedBILi32ELi32ELb0EffPKfPfEv13rocblas_fill_18rocblas_operation_17rocblas_diagonal_iiT3_T4_lilT5_lili.num_vgpr, 92
	.set _ZL38rocblas_trsm_small_left_device_sharedBILi32ELi32ELb0EffPKfPfEv13rocblas_fill_18rocblas_operation_17rocblas_diagonal_iiT3_T4_lilT5_lili.num_agpr, 0
	.set _ZL38rocblas_trsm_small_left_device_sharedBILi32ELi32ELb0EffPKfPfEv13rocblas_fill_18rocblas_operation_17rocblas_diagonal_iiT3_T4_lilT5_lili.numbered_sgpr, 41
	.set _ZL38rocblas_trsm_small_left_device_sharedBILi32ELi32ELb0EffPKfPfEv13rocblas_fill_18rocblas_operation_17rocblas_diagonal_iiT3_T4_lilT5_lili.num_named_barrier, 0
	.set _ZL38rocblas_trsm_small_left_device_sharedBILi32ELi32ELb0EffPKfPfEv13rocblas_fill_18rocblas_operation_17rocblas_diagonal_iiT3_T4_lilT5_lili.private_seg_size, 0
	.set _ZL38rocblas_trsm_small_left_device_sharedBILi32ELi32ELb0EffPKfPfEv13rocblas_fill_18rocblas_operation_17rocblas_diagonal_iiT3_T4_lilT5_lili.uses_vcc, 1
	.set _ZL38rocblas_trsm_small_left_device_sharedBILi32ELi32ELb0EffPKfPfEv13rocblas_fill_18rocblas_operation_17rocblas_diagonal_iiT3_T4_lilT5_lili.uses_flat_scratch, 0
	.set _ZL38rocblas_trsm_small_left_device_sharedBILi32ELi32ELb0EffPKfPfEv13rocblas_fill_18rocblas_operation_17rocblas_diagonal_iiT3_T4_lilT5_lili.has_dyn_sized_stack, 0
	.set _ZL38rocblas_trsm_small_left_device_sharedBILi32ELi32ELb0EffPKfPfEv13rocblas_fill_18rocblas_operation_17rocblas_diagonal_iiT3_T4_lilT5_lili.has_recursion, 0
	.set _ZL38rocblas_trsm_small_left_device_sharedBILi32ELi32ELb0EffPKfPfEv13rocblas_fill_18rocblas_operation_17rocblas_diagonal_iiT3_T4_lilT5_lili.has_indirect_call, 0
	.section	.AMDGPU.csdata,"",@progbits
; Kernel info:
; codeLenInByte = 17960
; TotalNumSgprs: 45
; NumVgprs: 92
; ScratchSize: 0
; MemoryBound: 0
; FloatMode: 240
; IeeeMode: 1
; LDSByteSize: 8192 bytes/workgroup (compile time only)
; SGPRBlocks: 12
; VGPRBlocks: 22
; NumSGPRsForWavesPerEU: 102
; NumVGPRsForWavesPerEU: 92
; Occupancy: 2
; WaveLimiterHint : 0
; COMPUTE_PGM_RSRC2:SCRATCH_EN: 0
; COMPUTE_PGM_RSRC2:USER_SGPR: 6
; COMPUTE_PGM_RSRC2:TRAP_HANDLER: 0
; COMPUTE_PGM_RSRC2:TGID_X_EN: 1
; COMPUTE_PGM_RSRC2:TGID_Y_EN: 0
; COMPUTE_PGM_RSRC2:TGID_Z_EN: 1
; COMPUTE_PGM_RSRC2:TIDIG_COMP_CNT: 0
	.section	.text._ZL30rocblas_trsm_small_left_deviceILi32ELi32ELb0EffPKfPfEv13rocblas_fill_18rocblas_operation_17rocblas_diagonal_iiT3_T4_lilT5_lili,"axG",@progbits,_ZL30rocblas_trsm_small_left_deviceILi32ELi32ELb0EffPKfPfEv13rocblas_fill_18rocblas_operation_17rocblas_diagonal_iiT3_T4_lilT5_lili,comdat
	.globl	_ZL30rocblas_trsm_small_left_deviceILi32ELi32ELb0EffPKfPfEv13rocblas_fill_18rocblas_operation_17rocblas_diagonal_iiT3_T4_lilT5_lili ; -- Begin function _ZL30rocblas_trsm_small_left_deviceILi32ELi32ELb0EffPKfPfEv13rocblas_fill_18rocblas_operation_17rocblas_diagonal_iiT3_T4_lilT5_lili
	.p2align	8
	.type	_ZL30rocblas_trsm_small_left_deviceILi32ELi32ELb0EffPKfPfEv13rocblas_fill_18rocblas_operation_17rocblas_diagonal_iiT3_T4_lilT5_lili,@function
_ZL30rocblas_trsm_small_left_deviceILi32ELi32ELb0EffPKfPfEv13rocblas_fill_18rocblas_operation_17rocblas_diagonal_iiT3_T4_lilT5_lili: ; @_ZL30rocblas_trsm_small_left_deviceILi32ELi32ELb0EffPKfPfEv13rocblas_fill_18rocblas_operation_17rocblas_diagonal_iiT3_T4_lilT5_lili
; %bb.0:
	s_load_dwordx4 s[0:3], s[4:5], 0x4
	s_load_dword s18, s[4:5], 0x14
	s_load_dwordx4 s[8:11], s[4:5], 0x30
	s_load_dwordx2 s[12:13], s[4:5], 0x40
	s_waitcnt lgkmcnt(0)
	s_min_i32 s19, s2, 32
	v_cmp_gt_i32_e32 vcc, s19, v0
	s_and_saveexec_b64 s[14:15], vcc
	s_cbranch_execz .LBB37_6
; %bb.1:
	s_load_dword s16, s[4:5], 0x28
	s_load_dwordx4 s[20:23], s[4:5], 0x18
	s_mul_i32 s9, s9, s7
	s_mul_hi_u32 s17, s8, s7
	s_add_i32 s9, s17, s9
	s_mul_i32 s8, s8, s7
	s_waitcnt lgkmcnt(0)
	s_ashr_i32 s17, s16, 31
	s_lshl_b64 s[8:9], s[8:9], 2
	s_add_u32 s20, s20, s8
	s_addc_u32 s21, s21, s9
	s_lshl_b64 s[8:9], s[22:23], 2
	s_add_u32 s8, s20, s8
	s_addc_u32 s9, s21, s9
	v_lshlrev_b32_e32 v3, 2, v0
	v_mov_b32_e32 v2, s9
	v_add_co_u32_e32 v1, vcc, s8, v3
	s_lshl_b64 s[8:9], s[16:17], 2
	v_addc_co_u32_e32 v2, vcc, 0, v2, vcc
	v_mov_b32_e32 v4, s9
	v_mov_b32_e32 v5, v3
	s_mov_b32 s9, s19
.LBB37_2:                               ; =>This Inner Loop Header: Depth=1
	global_load_dword v6, v[1:2], off
	v_add_co_u32_e32 v1, vcc, s8, v1
	s_add_i32 s9, s9, -1
	v_addc_co_u32_e32 v2, vcc, v2, v4, vcc
	s_cmp_eq_u32 s9, 0
	s_waitcnt vmcnt(0)
	ds_write_b32 v5, v6
	v_add_u32_e32 v5, 0x80, v5
	s_cbranch_scc0 .LBB37_2
; %bb.3:
	v_lshlrev_b32_e32 v1, 7, v0
	s_cmpk_lg_i32 s1, 0x84
	v_mov_b32_e32 v2, 1.0
	v_add_u32_e32 v1, v3, v1
	s_cbranch_scc0 .LBB37_5
; %bb.4:
	ds_read_b32 v2, v1
	s_waitcnt lgkmcnt(0)
	v_div_scale_f32 v3, s[8:9], v2, v2, 1.0
	v_div_scale_f32 v4, vcc, 1.0, v2, 1.0
	v_rcp_f32_e32 v5, v3
	v_fma_f32 v6, -v3, v5, 1.0
	v_fmac_f32_e32 v5, v6, v5
	v_mul_f32_e32 v6, v4, v5
	v_fma_f32 v7, -v3, v6, v4
	v_fmac_f32_e32 v6, v7, v5
	v_fma_f32 v3, -v3, v6, v4
	v_div_fmas_f32 v3, v3, v5, v6
	v_div_fixup_f32 v2, v3, v2, 1.0
.LBB37_5:
	ds_write_b32 v1, v2
.LBB37_6:
	s_or_b64 exec, exec, s[14:15]
	s_load_dword s1, s[4:5], 0x60
	s_waitcnt lgkmcnt(0)
	; wave barrier
	s_add_i32 s8, s1, -1
	s_lshl_b32 s1, s6, 5
	s_sub_i32 s3, s3, s1
	s_cmp_ge_u32 s6, s8
	s_cselect_b32 s3, s3, 32
	v_cmp_gt_i32_e32 vcc, s3, v0
	s_and_saveexec_b64 s[8:9], vcc
	s_cbranch_execz .LBB37_67
; %bb.7:
	s_load_dwordx2 s[8:9], s[4:5], 0x50
	s_load_dword s3, s[4:5], 0x48
	v_add_u32_e32 v0, s1, v0
	s_waitcnt lgkmcnt(0)
	s_mul_i32 s1, s9, s7
	s_mul_hi_u32 s5, s8, s7
	s_mul_i32 s4, s8, s7
	s_add_i32 s5, s5, s1
	v_mad_i64_i32 v[0:1], s[6:7], s3, v0, 0
	s_lshl_b64 s[4:5], s[4:5], 2
	s_add_u32 s1, s10, s4
	s_addc_u32 s8, s11, s5
	s_lshl_b64 s[6:7], s[12:13], 2
	s_add_u32 s1, s1, s6
	v_lshlrev_b64 v[34:35], 2, v[0:1]
	s_addc_u32 s3, s8, s7
	v_mov_b32_e32 v0, s3
	v_add_co_u32_e32 v32, vcc, s1, v34
	v_addc_co_u32_e32 v33, vcc, v0, v35, vcc
	s_cmpk_eq_i32 s0, 0x6f
	s_mov_b64 s[0:1], -1
	s_cbranch_scc1 .LBB37_33
; %bb.8:
	s_cmp_lt_i32 s2, 32
	s_cselect_b64 s[8:9], -1, 0
	s_cmp_gt_i32 s2, 31
	s_cbranch_scc0 .LBB37_18
; %bb.9:
	global_load_dwordx4 v[0:3], v[32:33], off
	global_load_dwordx4 v[4:7], v[32:33], off offset:16
	global_load_dwordx4 v[8:11], v[32:33], off offset:32
	;; [unrolled: 1-line block ×7, first 2 shown]
	s_mov_b64 s[0:1], 0
	s_mov_b32 s13, 0
	s_mov_b32 s3, 0
	s_waitcnt vmcnt(7)
	v_mul_f32_e32 v0, s18, v0
	v_mul_f32_e32 v1, s18, v1
	v_mul_f32_e32 v2, s18, v2
	v_mul_f32_e32 v3, s18, v3
	s_waitcnt vmcnt(6)
	v_mul_f32_e32 v4, s18, v4
	v_mul_f32_e32 v5, s18, v5
	v_mul_f32_e32 v6, s18, v6
	v_mul_f32_e32 v7, s18, v7
	;; [unrolled: 5-line block ×8, first 2 shown]
.LBB37_10:                              ; =>This Loop Header: Depth=1
                                        ;     Child Loop BB37_12 Depth 2
                                        ;     Child Loop BB37_15 Depth 2
	s_cmp_eq_u32 s0, 0
	s_cbranch_scc1 .LBB37_13
; %bb.11:                               ;   in Loop: Header=BB37_10 Depth=1
	s_mov_b32 s12, s0
	s_mov_b64 s[16:17], 0
	s_mov_b64 s[14:15], s[12:13]
	s_mov_b32 s20, s3
.LBB37_12:                              ;   Parent Loop BB37_10 Depth=1
                                        ; =>  This Inner Loop Header: Depth=2
	v_mov_b32_e32 v37, s20
	s_set_gpr_idx_on s16, gpr_idx(SRC0)
	v_mov_b32_e32 v36, v0
	s_set_gpr_idx_off
	ds_read_b32 v37, v37
	s_add_u32 s16, s16, 1
	s_addc_u32 s17, s17, 0
	s_add_i32 s20, s20, 4
	s_set_gpr_idx_on s12, gpr_idx(SRC0)
	v_mov_b32_e32 v38, v0
	s_set_gpr_idx_off
	s_cmp_eq_u32 s0, s16
	s_waitcnt lgkmcnt(0)
	v_fma_f32 v36, -v36, v37, v38
	s_set_gpr_idx_on s12, gpr_idx(DST)
	v_mov_b32_e32 v0, v36
	s_set_gpr_idx_off
	s_cbranch_scc0 .LBB37_12
	s_branch .LBB37_14
.LBB37_13:                              ;   in Loop: Header=BB37_10 Depth=1
	s_mov_b64 s[14:15], 0
.LBB37_14:                              ;   in Loop: Header=BB37_10 Depth=1
	s_mul_i32 s12, s0, 0x84
	v_mov_b32_e32 v36, s12
	ds_read_b32 v36, v36
	s_lshl_b64 s[16:17], s[14:15], 2
	s_set_gpr_idx_on s14, gpr_idx(SRC0)
	v_mov_b32_e32 v38, v0
	s_set_gpr_idx_off
	v_mov_b32_e32 v37, s17
	s_add_u32 s17, s0, 1
	s_waitcnt lgkmcnt(0)
	v_mul_f32_e32 v38, v38, v36
	v_add_co_u32_e32 v36, vcc, s16, v32
	v_addc_co_u32_e32 v37, vcc, v33, v37, vcc
	global_store_dword v[36:37], v38, off
	s_or_b32 s16, s0, 1
	s_set_gpr_idx_on s14, gpr_idx(DST)
	v_mov_b32_e32 v0, v38
	s_set_gpr_idx_off
	s_mov_b64 s[14:15], 0
	s_movk_i32 s20, 0x80
.LBB37_15:                              ;   Parent Loop BB37_10 Depth=1
                                        ; =>  This Inner Loop Header: Depth=2
	s_add_i32 s21, s3, s20
	v_mov_b32_e32 v39, s21
	s_set_gpr_idx_on s14, gpr_idx(SRC0)
	v_mov_b32_e32 v38, v0
	s_set_gpr_idx_off
	ds_read_b32 v39, v39
	s_add_u32 s14, s14, 1
	s_set_gpr_idx_on s16, gpr_idx(SRC0)
	v_mov_b32_e32 v40, v0
	s_set_gpr_idx_off
	s_addc_u32 s15, s15, 0
	s_add_i32 s20, s20, 4
	s_cmp_lg_u32 s17, s14
	s_waitcnt lgkmcnt(0)
	v_fma_f32 v38, -v38, v39, v40
	s_set_gpr_idx_on s16, gpr_idx(DST)
	v_mov_b32_e32 v0, v38
	s_set_gpr_idx_off
	s_cbranch_scc1 .LBB37_15
; %bb.16:                               ;   in Loop: Header=BB37_10 Depth=1
	v_mov_b32_e32 v39, s12
	ds_read_b32 v39, v39 offset:132
	s_add_u32 s0, s0, 2
	s_addc_u32 s1, s1, 0
	s_addk_i32 s3, 0x100
	s_cmp_eq_u32 s0, 32
	s_waitcnt lgkmcnt(0)
	v_mul_f32_e32 v38, v38, v39
	s_set_gpr_idx_on s16, gpr_idx(DST)
	v_mov_b32_e32 v0, v38
	s_set_gpr_idx_off
	global_store_dword v[36:37], v38, off offset:4
	s_cbranch_scc0 .LBB37_10
; %bb.17:
	s_mov_b32 s0, 32
	s_cmp_lt_i32 s0, s19
	s_cbranch_scc1 .LBB37_19
	s_branch .LBB37_32
.LBB37_18:
	s_mov_b32 s0, 0
	s_cmp_lt_i32 s0, s19
	s_cbranch_scc0 .LBB37_32
.LBB37_19:
	s_or_b32 s13, s0, 27
	s_cmp_ge_u32 s13, s19
	s_cbranch_scc1 .LBB37_27
; %bb.20:
	s_lshl_b32 s1, s0, 2
	v_add_co_u32_e32 v16, vcc, s1, v32
	v_addc_co_u32_e32 v17, vcc, 0, v33, vcc
	global_load_dwordx4 v[0:3], v[16:17], off
	global_load_dwordx4 v[4:7], v[16:17], off offset:16
	global_load_dwordx4 v[8:11], v[16:17], off offset:32
	;; [unrolled: 1-line block ×6, first 2 shown]
	s_andn2_b64 vcc, exec, s[8:9]
	s_waitcnt vmcnt(6)
	v_mul_f32_e32 v37, s18, v0
	v_mul_f32_e32 v36, s18, v1
	v_mul_f32_e32 v2, s18, v2
	v_mul_f32_e32 v3, s18, v3
	s_waitcnt vmcnt(5)
	v_mul_f32_e32 v4, s18, v4
	v_mul_f32_e32 v5, s18, v5
	v_mul_f32_e32 v6, s18, v6
	v_mul_f32_e32 v7, s18, v7
	s_waitcnt vmcnt(4)
	v_mul_f32_e32 v8, s18, v8
	v_mul_f32_e32 v9, s18, v9
	v_mul_f32_e32 v10, s18, v10
	v_mul_f32_e32 v11, s18, v11
	s_waitcnt vmcnt(3)
	v_mul_f32_e32 v12, s18, v12
	v_mul_f32_e32 v13, s18, v13
	v_mul_f32_e32 v14, s18, v14
	v_mul_f32_e32 v15, s18, v15
	s_waitcnt vmcnt(2)
	v_mul_f32_e32 v31, s18, v18
	v_mul_f32_e32 v30, s18, v19
	v_mul_f32_e32 v28, s18, v20
	v_mul_f32_e32 v27, s18, v21
	s_waitcnt vmcnt(1)
	v_mul_f32_e32 v25, s18, v38
	v_mul_f32_e32 v24, s18, v39
	v_mul_f32_e32 v23, s18, v40
	v_mul_f32_e32 v22, s18, v41
	s_waitcnt vmcnt(0)
	v_mul_f32_e32 v21, s18, v42
	v_mul_f32_e32 v20, s18, v43
	v_mul_f32_e32 v19, s18, v44
	v_mul_f32_e32 v18, s18, v45
	s_cbranch_vccnz .LBB37_22
; %bb.21:
	s_lshl_b32 s12, s0, 7
	s_lshl_b32 s3, s13, 7
	s_mov_b64 s[8:9], 0
	s_branch .LBB37_23
.LBB37_22:
	s_mov_b64 s[8:9], -1
                                        ; implicit-def: $sgpr12
                                        ; implicit-def: $sgpr3
.LBB37_23:
	s_andn2_b64 vcc, exec, s[8:9]
	s_cbranch_vccnz .LBB37_26
; %bb.24:
	s_lshl_b32 s12, s0, 7
	s_lshl_b32 s3, s13, 7
	s_add_u32 s6, s10, s6
	s_addc_u32 s7, s11, s7
	s_add_u32 s4, s6, s4
	s_addc_u32 s5, s7, s5
	v_mov_b32_e32 v0, s5
	v_add_co_u32_e32 v1, vcc, s4, v34
	v_addc_co_u32_e32 v26, vcc, v0, v35, vcc
	v_add_co_u32_e32 v0, vcc, 4, v1
	v_addc_co_u32_e32 v1, vcc, 0, v26, vcc
	s_mov_b32 s4, s0
	s_mov_b32 s5, s12
.LBB37_25:                              ; =>This Inner Loop Header: Depth=1
	global_load_dwordx2 v[34:35], v[0:1], off offset:-4
	v_mov_b32_e32 v26, s5
	ds_read2_b64 v[38:41], v26 offset1:16
	ds_read2_b64 v[42:45], v26 offset0:32 offset1:48
	ds_read2_b64 v[46:49], v26 offset0:64 offset1:80
	;; [unrolled: 1-line block ×4, first 2 shown]
	s_add_i32 s5, s5, 8
	v_add_co_u32_e32 v0, vcc, 8, v0
	s_add_i32 s4, s4, -2
	v_addc_co_u32_e32 v1, vcc, 0, v1, vcc
	s_cmp_lg_u32 s4, 0
	s_waitcnt vmcnt(0) lgkmcnt(4)
	v_fma_f32 v29, -v34, v38, v37
	v_fma_f32 v36, -v34, v40, v36
	s_waitcnt lgkmcnt(3)
	v_fma_f32 v2, -v34, v42, v2
	v_fma_f32 v3, -v34, v44, v3
	s_waitcnt lgkmcnt(2)
	v_fma_f32 v4, -v34, v46, v4
	v_fma_f32 v5, -v34, v48, v5
	;; [unrolled: 1-line block ×4, first 2 shown]
	ds_read2_b64 v[38:41], v26 offset0:160 offset1:176
	v_fma_f32 v2, -v35, v43, v2
	v_fma_f32 v3, -v35, v45, v3
	ds_read2_b64 v[42:45], v26 offset0:192 offset1:208
	v_fma_f32 v4, -v35, v47, v4
	v_fma_f32 v5, -v35, v49, v5
	ds_read2_b64 v[46:49], v26 offset0:224 offset1:240
	v_add_u32_e32 v26, 0x800, v26
	s_waitcnt lgkmcnt(4)
	v_fma_f32 v6, -v34, v50, v6
	v_fma_f32 v7, -v34, v52, v7
	;; [unrolled: 1-line block ×4, first 2 shown]
	ds_read2_b64 v[50:53], v26 offset1:16
	s_waitcnt lgkmcnt(4)
	v_fma_f32 v8, -v34, v54, v8
	v_fma_f32 v9, -v34, v56, v9
	s_waitcnt lgkmcnt(3)
	v_fma_f32 v10, -v34, v38, v10
	v_fma_f32 v11, -v34, v40, v11
	;; [unrolled: 3-line block ×5, first 2 shown]
	v_fma_f32 v8, -v35, v55, v8
	v_fma_f32 v9, -v35, v57, v9
	ds_read2_b64 v[54:57], v26 offset0:32 offset1:48
	v_fma_f32 v10, -v35, v39, v10
	v_fma_f32 v11, -v35, v41, v11
	ds_read2_b64 v[38:41], v26 offset0:64 offset1:80
	;; [unrolled: 3-line block ×5, first 2 shown]
	s_waitcnt lgkmcnt(4)
	v_fma_f32 v26, -v34, v54, v28
	v_fma_f32 v27, -v34, v56, v27
	s_waitcnt lgkmcnt(3)
	v_fma_f32 v25, -v34, v38, v25
	v_fma_f32 v24, -v34, v40, v24
	s_waitcnt lgkmcnt(2)
	v_fma_f32 v23, -v34, v42, v23
	v_fma_f32 v22, -v34, v44, v22
	s_waitcnt lgkmcnt(1)
	v_fma_f32 v21, -v34, v46, v21
	v_fma_f32 v20, -v34, v48, v20
	s_waitcnt lgkmcnt(0)
	v_fma_f32 v19, -v34, v50, v19
	v_fma_f32 v18, -v34, v52, v18
	v_fma_f32 v28, -v35, v55, v26
	v_fma_f32 v27, -v35, v57, v27
	v_fma_f32 v25, -v35, v39, v25
	v_fma_f32 v24, -v35, v41, v24
	v_fma_f32 v23, -v35, v43, v23
	v_fma_f32 v22, -v35, v45, v22
	v_fma_f32 v21, -v35, v47, v21
	v_fma_f32 v20, -v35, v49, v20
	v_fma_f32 v19, -v35, v51, v19
	v_fma_f32 v18, -v35, v53, v18
	s_cbranch_scc1 .LBB37_25
.LBB37_26:
	s_add_i32 s4, s1, s12
	v_mov_b32_e32 v29, s4
	s_lshl_b32 s4, s0, 7
	ds_read2_b32 v[45:46], v29 offset1:132
	s_add_i32 s4, s1, s4
	v_mov_b32_e32 v26, s4
	ds_read2_b64 v[38:41], v26 offset0:16 offset1:82
	ds_read_b96 v[42:44], v26 offset:256
	s_add_i32 s1, s1, s3
	s_waitcnt lgkmcnt(2)
	v_mul_f32_e32 v0, v37, v45
	s_or_b32 s0, s0, 28
	s_waitcnt lgkmcnt(1)
	v_fma_f32 v1, -v0, v38, v36
	ds_read_b128 v[34:37], v26 offset:384
	v_mul_f32_e32 v1, v1, v39
	s_waitcnt lgkmcnt(1)
	v_fma_f32 v2, -v0, v42, v2
	v_fma_f32 v2, -v1, v43, v2
	v_mul_f32_e32 v2, v2, v44
	ds_read_b128 v[42:45], v26 offset:512
	s_waitcnt lgkmcnt(1)
	v_fma_f32 v3, -v0, v34, v3
	v_fma_f32 v3, -v1, v35, v3
	;; [unrolled: 1-line block ×3, first 2 shown]
	v_mul_f32_e32 v3, v3, v37
	ds_read_b128 v[34:37], v26 offset:640
	s_waitcnt lgkmcnt(1)
	v_fma_f32 v4, -v0, v42, v4
	v_fma_f32 v4, -v1, v43, v4
	;; [unrolled: 1-line block ×4, first 2 shown]
	ds_read_b128 v[42:45], v26 offset:768
	s_waitcnt lgkmcnt(1)
	v_fma_f32 v5, -v0, v34, v5
	v_fma_f32 v5, -v1, v35, v5
	;; [unrolled: 1-line block ×3, first 2 shown]
	v_mul_f32_e32 v4, v4, v46
	v_fma_f32 v5, -v3, v37, v5
	v_fma_f32 v5, -v4, v40, v5
	ds_read_b96 v[38:40], v26 offset:784
	ds_read_b128 v[34:37], v26 offset:896
	s_waitcnt lgkmcnt(2)
	v_fma_f32 v6, -v0, v42, v6
	v_fma_f32 v6, -v1, v43, v6
	;; [unrolled: 1-line block ×4, first 2 shown]
	v_mul_f32_e32 v5, v5, v41
	s_waitcnt lgkmcnt(1)
	v_fma_f32 v6, -v4, v38, v6
	v_fma_f32 v6, -v5, v39, v6
	v_mul_f32_e32 v6, v6, v40
	ds_read_b128 v[38:41], v26 offset:912
	s_waitcnt lgkmcnt(1)
	v_fma_f32 v7, -v0, v34, v7
	v_fma_f32 v7, -v1, v35, v7
	;; [unrolled: 1-line block ×4, first 2 shown]
	ds_read_b128 v[34:37], v26 offset:1024
	s_waitcnt lgkmcnt(1)
	v_fma_f32 v7, -v4, v38, v7
	v_fma_f32 v7, -v5, v39, v7
	;; [unrolled: 1-line block ×3, first 2 shown]
	v_mul_f32_e32 v7, v7, v41
	ds_read_b128 v[38:41], v26 offset:1040
	s_waitcnt lgkmcnt(1)
	v_fma_f32 v8, -v0, v34, v8
	v_fma_f32 v8, -v1, v35, v8
	;; [unrolled: 1-line block ×3, first 2 shown]
	v_add_u32_e32 v34, 0x400, v29
	v_fma_f32 v8, -v3, v37, v8
	ds_read2_b32 v[49:50], v34 offset0:8 offset1:140
	ds_read_b128 v[34:37], v26 offset:1152
	s_waitcnt lgkmcnt(2)
	v_fma_f32 v8, -v4, v38, v8
	v_fma_f32 v8, -v5, v39, v8
	v_fma_f32 v8, -v6, v40, v8
	v_fma_f32 v8, -v7, v41, v8
	ds_read_b128 v[38:41], v26 offset:1168
	ds_read_b128 v[42:45], v26 offset:1280
	s_waitcnt lgkmcnt(2)
	v_fma_f32 v9, -v0, v34, v9
	v_fma_f32 v9, -v1, v35, v9
	;; [unrolled: 1-line block ×4, first 2 shown]
	s_waitcnt lgkmcnt(1)
	v_fma_f32 v9, -v4, v38, v9
	v_fma_f32 v9, -v5, v39, v9
	;; [unrolled: 1-line block ×4, first 2 shown]
	ds_read_b128 v[38:41], v26 offset:1296
	ds_read_b96 v[46:48], v26 offset:1312
	s_waitcnt lgkmcnt(2)
	v_fma_f32 v10, -v0, v42, v10
	v_fma_f32 v10, -v1, v43, v10
	;; [unrolled: 1-line block ×4, first 2 shown]
	ds_read_b128 v[42:45], v26 offset:1408
	s_waitcnt lgkmcnt(2)
	v_fma_f32 v10, -v4, v38, v10
	v_fma_f32 v10, -v5, v39, v10
	;; [unrolled: 1-line block ×4, first 2 shown]
	ds_read_b128 v[38:41], v26 offset:1424
	s_waitcnt lgkmcnt(1)
	v_fma_f32 v11, -v0, v42, v11
	ds_read2_b64 v[34:37], v26 offset0:148 offset1:214
	v_fma_f32 v11, -v1, v43, v11
	v_fma_f32 v11, -v2, v44, v11
	;; [unrolled: 1-line block ×3, first 2 shown]
	ds_read_b128 v[42:45], v26 offset:1440
	s_waitcnt lgkmcnt(2)
	v_fma_f32 v11, -v4, v38, v11
	v_mul_f32_e32 v8, v8, v49
	v_fma_f32 v11, -v5, v39, v11
	s_waitcnt lgkmcnt(1)
	v_fma_f32 v9, -v8, v34, v9
	v_fma_f32 v11, -v6, v40, v11
	v_mul_f32_e32 v9, v9, v35
	v_fma_f32 v10, -v8, v46, v10
	v_fma_f32 v11, -v7, v41, v11
	v_fma_f32 v10, -v9, v47, v10
	ds_read_b128 v[38:41], v26 offset:1536
	s_waitcnt lgkmcnt(1)
	v_fma_f32 v11, -v8, v42, v11
	v_mul_f32_e32 v10, v10, v48
	v_fma_f32 v11, -v9, v43, v11
	v_fma_f32 v11, -v10, v44, v11
	v_mul_f32_e32 v11, v11, v45
	global_store_dwordx4 v[16:17], v[0:3], off
	global_store_dwordx4 v[16:17], v[4:7], off offset:16
	global_store_dwordx4 v[16:17], v[8:11], off offset:32
	ds_read_b128 v[42:45], v26 offset:1552
	ds_read_b128 v[46:49], v26 offset:1568
	s_waitcnt lgkmcnt(2)
	v_fma_f32 v12, -v0, v38, v12
	v_fma_f32 v12, -v1, v39, v12
	v_fma_f32 v12, -v2, v40, v12
	v_fma_f32 v12, -v3, v41, v12
	ds_read_b128 v[38:41], v26 offset:1664
	s_waitcnt lgkmcnt(2)
	v_fma_f32 v12, -v4, v42, v12
	v_fma_f32 v12, -v5, v43, v12
	v_fma_f32 v12, -v6, v44, v12
	v_fma_f32 v12, -v7, v45, v12
	;; [unrolled: 6-line block ×4, first 2 shown]
	v_fma_f32 v13, -v7, v45, v13
	v_fma_f32 v12, -v9, v47, v12
	ds_read_b128 v[42:45], v26 offset:1792
	s_waitcnt lgkmcnt(1)
	v_fma_f32 v13, -v8, v38, v13
	v_fma_f32 v12, -v10, v48, v12
	;; [unrolled: 1-line block ×5, first 2 shown]
	v_mul_f32_e32 v12, v12, v50
	v_fma_f32 v13, -v11, v41, v13
	v_fma_f32 v13, -v12, v36, v13
	v_mul_f32_e32 v13, v13, v37
	ds_read_b128 v[34:37], v26 offset:1808
	ds_read_b128 v[38:41], v26 offset:1824
	s_waitcnt lgkmcnt(2)
	v_fma_f32 v14, -v0, v42, v14
	v_fma_f32 v14, -v1, v43, v14
	;; [unrolled: 1-line block ×4, first 2 shown]
	s_waitcnt lgkmcnt(1)
	v_fma_f32 v14, -v4, v34, v14
	v_fma_f32 v14, -v5, v35, v14
	v_fma_f32 v14, -v6, v36, v14
	v_fma_f32 v14, -v7, v37, v14
	ds_read_b96 v[42:44], v26 offset:1840
	ds_read_b128 v[34:37], v26 offset:1920
	s_waitcnt lgkmcnt(2)
	v_fma_f32 v14, -v8, v38, v14
	v_fma_f32 v14, -v9, v39, v14
	v_fma_f32 v14, -v10, v40, v14
	v_fma_f32 v14, -v11, v41, v14
	ds_read_b128 v[38:41], v26 offset:1936
	s_waitcnt lgkmcnt(1)
	v_fma_f32 v15, -v0, v34, v15
	v_fma_f32 v15, -v1, v35, v15
	v_fma_f32 v15, -v2, v36, v15
	v_fma_f32 v15, -v3, v37, v15
	;; [unrolled: 6-line block ×4, first 2 shown]
	v_fma_f32 v15, -v11, v37, v15
	ds_read_b128 v[34:37], v26 offset:2048
	v_fma_f32 v14, -v13, v43, v14
	s_waitcnt lgkmcnt(1)
	v_fma_f32 v15, -v12, v38, v15
	v_mul_f32_e32 v14, v14, v44
	v_fma_f32 v15, -v13, v39, v15
	v_fma_f32 v15, -v14, v40, v15
	v_mul_f32_e32 v15, v15, v41
	global_store_dwordx4 v[16:17], v[12:15], off offset:48
	s_waitcnt lgkmcnt(0)
	v_fma_f32 v31, -v0, v34, v31
	ds_read_b128 v[38:41], v26 offset:2064
	ds_read_b128 v[42:45], v26 offset:2080
	;; [unrolled: 1-line block ×3, first 2 shown]
	v_fma_f32 v31, -v1, v35, v31
	v_fma_f32 v31, -v2, v36, v31
	;; [unrolled: 1-line block ×3, first 2 shown]
	v_add_u32_e32 v34, 0x800, v29
	s_waitcnt lgkmcnt(2)
	v_fma_f32 v31, -v4, v38, v31
	ds_read2_b32 v[57:58], v34 offset0:16 offset1:148
	ds_read_b128 v[34:37], v26 offset:2176
	v_fma_f32 v31, -v5, v39, v31
	v_fma_f32 v31, -v6, v40, v31
	;; [unrolled: 1-line block ×3, first 2 shown]
	s_waitcnt lgkmcnt(3)
	v_fma_f32 v31, -v8, v42, v31
	ds_read_b128 v[39:42], v26 offset:2192
	s_waitcnt lgkmcnt(1)
	v_fma_f32 v30, -v0, v34, v30
	v_fma_f32 v30, -v1, v35, v30
	;; [unrolled: 1-line block ×4, first 2 shown]
	ds_read_b128 v[34:37], v26 offset:2208
	v_fma_f32 v31, -v9, v43, v31
	s_waitcnt lgkmcnt(1)
	v_fma_f32 v30, -v4, v39, v30
	v_fma_f32 v31, -v10, v44, v31
	;; [unrolled: 1-line block ×7, first 2 shown]
	ds_read_b128 v[39:42], v26 offset:2224
	ds_read_b128 v[43:46], v26 offset:2304
	s_waitcnt lgkmcnt(2)
	v_fma_f32 v30, -v8, v34, v30
	v_fma_f32 v31, -v13, v47, v31
	;; [unrolled: 1-line block ×7, first 2 shown]
	ds_read_b128 v[47:50], v26 offset:2320
	s_waitcnt lgkmcnt(2)
	v_fma_f32 v30, -v12, v39, v30
	s_waitcnt lgkmcnt(1)
	v_fma_f32 v28, -v0, v43, v28
	v_fma_f32 v30, -v13, v40, v30
	;; [unrolled: 1-line block ×7, first 2 shown]
	ds_read_b128 v[40:43], v26 offset:2336
	s_waitcnt lgkmcnt(1)
	v_fma_f32 v28, -v4, v47, v28
	v_fma_f32 v28, -v5, v48, v28
	;; [unrolled: 1-line block ×4, first 2 shown]
	ds_read_b128 v[44:47], v26 offset:2352
	s_waitcnt lgkmcnt(1)
	v_fma_f32 v28, -v8, v40, v28
	v_fma_f32 v28, -v9, v41, v28
	;; [unrolled: 1-line block ×4, first 2 shown]
	ds_read_b96 v[48:50], v26 offset:2368
	s_waitcnt lgkmcnt(1)
	v_fma_f32 v28, -v12, v44, v28
	ds_read_b128 v[41:44], v26 offset:2432
	v_fma_f32 v28, -v13, v45, v28
	v_fma_f32 v28, -v14, v46, v28
	v_mul_f32_e32 v38, v31, v57
	v_fma_f32 v28, -v15, v47, v28
	s_waitcnt lgkmcnt(1)
	v_fma_f32 v28, -v38, v48, v28
	ds_read_b128 v[45:48], v26 offset:2448
	s_waitcnt lgkmcnt(1)
	v_fma_f32 v27, -v0, v41, v27
	v_fma_f32 v27, -v1, v42, v27
	;; [unrolled: 1-line block ×4, first 2 shown]
	ds_read_b128 v[41:44], v26 offset:2464
	s_waitcnt lgkmcnt(1)
	v_fma_f32 v27, -v4, v45, v27
	v_fma_f32 v27, -v5, v46, v27
	;; [unrolled: 1-line block ×4, first 2 shown]
	ds_read_b128 v[45:48], v26 offset:2480
	v_add_u32_e32 v31, 0x800, v26
	s_waitcnt lgkmcnt(1)
	v_fma_f32 v27, -v8, v41, v27
	ds_read2_b64 v[34:37], v31 offset0:24 offset1:90
	v_fma_f32 v27, -v9, v42, v27
	v_fma_f32 v27, -v10, v43, v27
	;; [unrolled: 1-line block ×3, first 2 shown]
	ds_read_b128 v[41:44], v26 offset:2496
	s_waitcnt lgkmcnt(2)
	v_fma_f32 v27, -v12, v45, v27
	v_fma_f32 v27, -v13, v46, v27
	s_waitcnt lgkmcnt(1)
	v_fma_f32 v30, -v38, v34, v30
	v_fma_f32 v27, -v14, v47, v27
	v_mul_f32_e32 v39, v30, v35
	v_fma_f32 v27, -v15, v48, v27
	v_fma_f32 v28, -v39, v49, v28
	s_waitcnt lgkmcnt(0)
	v_fma_f32 v27, -v38, v41, v27
	v_mul_f32_e32 v40, v28, v50
	v_fma_f32 v27, -v39, v42, v27
	v_fma_f32 v27, -v40, v43, v27
	v_mul_f32_e32 v41, v27, v44
	ds_read_b128 v[42:45], v26 offset:2560
	global_store_dwordx4 v[16:17], v[38:41], off offset:64
	ds_read_b128 v[46:49], v26 offset:2576
	ds_read_b128 v[50:53], v26 offset:2592
	;; [unrolled: 1-line block ×3, first 2 shown]
	s_waitcnt lgkmcnt(3)
	v_fma_f32 v25, -v0, v42, v25
	v_fma_f32 v25, -v1, v43, v25
	v_fma_f32 v25, -v2, v44, v25
	v_fma_f32 v25, -v3, v45, v25
	s_waitcnt lgkmcnt(2)
	v_fma_f32 v25, -v4, v46, v25
	v_fma_f32 v25, -v5, v47, v25
	v_fma_f32 v25, -v6, v48, v25
	v_fma_f32 v25, -v7, v49, v25
	;; [unrolled: 5-line block ×3, first 2 shown]
	ds_read_b128 v[42:45], v26 offset:2624
	ds_read_b128 v[46:49], v26 offset:2688
	s_waitcnt lgkmcnt(2)
	v_fma_f32 v25, -v12, v54, v25
	v_fma_f32 v25, -v13, v55, v25
	;; [unrolled: 1-line block ×4, first 2 shown]
	s_waitcnt lgkmcnt(1)
	v_fma_f32 v25, -v38, v42, v25
	v_fma_f32 v25, -v39, v43, v25
	v_fma_f32 v25, -v40, v44, v25
	v_fma_f32 v25, -v41, v45, v25
	ds_read_b128 v[42:45], v26 offset:2704
	s_waitcnt lgkmcnt(1)
	v_fma_f32 v24, -v0, v46, v24
	v_fma_f32 v24, -v1, v47, v24
	v_fma_f32 v24, -v2, v48, v24
	v_fma_f32 v24, -v3, v49, v24
	ds_read_b128 v[46:49], v26 offset:2720
	;; [unrolled: 6-line block ×9, first 2 shown]
	s_waitcnt lgkmcnt(1)
	v_fma_f32 v23, -v12, v46, v23
	v_fma_f32 v23, -v13, v47, v23
	v_mul_f32_e32 v34, v25, v58
	v_fma_f32 v23, -v14, v48, v23
	v_fma_f32 v24, -v34, v36, v24
	;; [unrolled: 1-line block ×3, first 2 shown]
	v_mul_f32_e32 v35, v24, v37
	ds_read_b96 v[23:25], v26 offset:2896
	s_waitcnt lgkmcnt(1)
	v_fma_f32 v27, -v38, v42, v27
	v_fma_f32 v27, -v39, v43, v27
	;; [unrolled: 1-line block ×4, first 2 shown]
	ds_read_b128 v[42:45], v26 offset:2944
	ds_read_b128 v[46:49], v26 offset:2960
	s_waitcnt lgkmcnt(2)
	v_fma_f32 v23, -v34, v23, v27
	v_fma_f32 v23, -v35, v24, v23
	v_mul_f32_e32 v36, v23, v25
	s_waitcnt lgkmcnt(1)
	v_fma_f32 v22, -v0, v42, v22
	v_fma_f32 v22, -v1, v43, v22
	;; [unrolled: 1-line block ×4, first 2 shown]
	s_waitcnt lgkmcnt(0)
	v_fma_f32 v27, -v4, v46, v22
	ds_read_b128 v[22:25], v26 offset:2976
	ds_read_b128 v[42:45], v26 offset:2992
	v_fma_f32 v27, -v5, v47, v27
	v_fma_f32 v27, -v6, v48, v27
	;; [unrolled: 1-line block ×3, first 2 shown]
	s_waitcnt lgkmcnt(1)
	v_fma_f32 v22, -v8, v22, v27
	v_fma_f32 v22, -v9, v23, v22
	;; [unrolled: 1-line block ×4, first 2 shown]
	s_waitcnt lgkmcnt(0)
	v_fma_f32 v27, -v12, v42, v22
	ds_read_b128 v[22:25], v26 offset:3008
	v_fma_f32 v27, -v13, v43, v27
	v_fma_f32 v27, -v14, v44, v27
	;; [unrolled: 1-line block ×3, first 2 shown]
	ds_read_b128 v[42:45], v26 offset:3024
	s_waitcnt lgkmcnt(1)
	v_fma_f32 v22, -v38, v22, v27
	v_fma_f32 v22, -v39, v23, v22
	;; [unrolled: 1-line block ×4, first 2 shown]
	s_waitcnt lgkmcnt(0)
	v_fma_f32 v22, -v34, v42, v22
	v_fma_f32 v22, -v35, v43, v22
	;; [unrolled: 1-line block ×3, first 2 shown]
	v_mul_f32_e32 v37, v22, v45
	ds_read_b128 v[22:25], v26 offset:3072
	global_store_dwordx4 v[16:17], v[34:37], off offset:80
	ds_read_b128 v[42:45], v26 offset:3088
	ds_read_b128 v[46:49], v26 offset:3104
	;; [unrolled: 1-line block ×3, first 2 shown]
	s_waitcnt lgkmcnt(3)
	v_fma_f32 v21, -v0, v22, v21
	v_fma_f32 v21, -v1, v23, v21
	v_fma_f32 v21, -v2, v24, v21
	v_fma_f32 v21, -v3, v25, v21
	s_waitcnt lgkmcnt(2)
	v_fma_f32 v21, -v4, v42, v21
	v_fma_f32 v21, -v5, v43, v21
	v_fma_f32 v21, -v6, v44, v21
	v_fma_f32 v21, -v7, v45, v21
	;; [unrolled: 5-line block ×3, first 2 shown]
	s_waitcnt lgkmcnt(0)
	v_fma_f32 v25, -v12, v50, v21
	ds_read_b128 v[21:24], v26 offset:3136
	ds_read_b128 v[42:45], v26 offset:3152
	v_fma_f32 v25, -v13, v51, v25
	v_fma_f32 v25, -v14, v52, v25
	;; [unrolled: 1-line block ×3, first 2 shown]
	s_waitcnt lgkmcnt(1)
	v_fma_f32 v21, -v38, v21, v25
	v_fma_f32 v21, -v39, v22, v21
	;; [unrolled: 1-line block ×4, first 2 shown]
	s_waitcnt lgkmcnt(0)
	v_fma_f32 v21, -v34, v42, v21
	v_fma_f32 v27, -v35, v43, v21
	ds_read_b128 v[21:24], v26 offset:3200
	ds_read_b32 v25, v29 offset:3168
	ds_read_b128 v[28:31], v26 offset:3216
	v_fma_f32 v27, -v36, v44, v27
	v_fma_f32 v27, -v37, v45, v27
	s_waitcnt lgkmcnt(2)
	v_fma_f32 v20, -v0, v21, v20
	v_fma_f32 v20, -v1, v22, v20
	;; [unrolled: 1-line block ×4, first 2 shown]
	s_waitcnt lgkmcnt(0)
	v_fma_f32 v24, -v4, v28, v20
	ds_read_b128 v[20:23], v26 offset:3232
	v_fma_f32 v24, -v5, v29, v24
	v_fma_f32 v24, -v6, v30, v24
	;; [unrolled: 1-line block ×3, first 2 shown]
	ds_read_b128 v[28:31], v26 offset:3248
	s_waitcnt lgkmcnt(1)
	v_fma_f32 v20, -v8, v20, v24
	v_fma_f32 v20, -v9, v21, v20
	;; [unrolled: 1-line block ×4, first 2 shown]
	s_waitcnt lgkmcnt(0)
	v_fma_f32 v24, -v12, v28, v20
	ds_read_b128 v[20:23], v26 offset:3264
	v_fma_f32 v24, -v13, v29, v24
	v_fma_f32 v24, -v14, v30, v24
	v_fma_f32 v24, -v15, v31, v24
	ds_read_b128 v[28:31], v26 offset:3280
	s_waitcnt lgkmcnt(1)
	v_fma_f32 v20, -v38, v20, v24
	v_fma_f32 v20, -v39, v21, v20
	;; [unrolled: 1-line block ×4, first 2 shown]
	s_waitcnt lgkmcnt(0)
	v_fma_f32 v20, -v34, v28, v20
	v_mul_f32_e32 v27, v27, v25
	ds_read_b64 v[24:25], v26 offset:3296
	v_fma_f32 v28, -v35, v29, v20
	ds_read_b128 v[20:23], v26 offset:3328
	ds_read_b128 v[42:45], v26 offset:3344
	v_fma_f32 v28, -v36, v30, v28
	v_fma_f32 v28, -v37, v31, v28
	s_waitcnt lgkmcnt(2)
	v_fma_f32 v24, -v27, v24, v28
	s_waitcnt lgkmcnt(1)
	v_fma_f32 v19, -v0, v20, v19
	v_fma_f32 v19, -v1, v21, v19
	v_fma_f32 v19, -v2, v22, v19
	v_fma_f32 v23, -v3, v23, v19
	ds_read_b128 v[19:22], v26 offset:3360
	s_waitcnt lgkmcnt(1)
	v_fma_f32 v23, -v4, v42, v23
	v_fma_f32 v23, -v5, v43, v23
	v_fma_f32 v23, -v6, v44, v23
	v_fma_f32 v23, -v7, v45, v23
	ds_read_b128 v[42:45], v26 offset:3376
	;; [unrolled: 6-line block ×4, first 2 shown]
	s_waitcnt lgkmcnt(1)
	v_fma_f32 v19, -v38, v19, v23
	v_fma_f32 v19, -v39, v20, v19
	;; [unrolled: 1-line block ×4, first 2 shown]
	ds_read_b96 v[21:23], v26 offset:3424
	s_waitcnt lgkmcnt(1)
	v_fma_f32 v19, -v34, v42, v19
	v_fma_f32 v19, -v35, v43, v19
	v_fma_f32 v19, -v36, v44, v19
	v_fma_f32 v19, -v37, v45, v19
	v_mul_f32_e32 v28, v24, v25
	s_waitcnt lgkmcnt(0)
	v_fma_f32 v19, -v27, v21, v19
	v_mov_b32_e32 v30, s1
	v_fma_f32 v24, -v28, v22, v19
	ds_read_b128 v[19:22], v30
	v_mul_f32_e32 v29, v24, v23
	ds_read_b128 v[23:26], v30 offset:16
	ds_read_b128 v[42:45], v30 offset:32
	;; [unrolled: 1-line block ×3, first 2 shown]
	s_waitcnt lgkmcnt(3)
	v_fma_f32 v0, -v0, v19, v18
	v_fma_f32 v0, -v1, v20, v0
	v_fma_f32 v0, -v2, v21, v0
	v_fma_f32 v0, -v3, v22, v0
	s_waitcnt lgkmcnt(2)
	v_fma_f32 v0, -v4, v23, v0
	v_fma_f32 v0, -v5, v24, v0
	v_fma_f32 v0, -v6, v25, v0
	v_fma_f32 v0, -v7, v26, v0
	;; [unrolled: 5-line block ×3, first 2 shown]
	s_waitcnt lgkmcnt(0)
	v_fma_f32 v4, -v12, v46, v0
	ds_read_b128 v[0:3], v30 offset:64
	v_fma_f32 v4, -v13, v47, v4
	v_fma_f32 v4, -v14, v48, v4
	;; [unrolled: 1-line block ×3, first 2 shown]
	ds_read_b128 v[4:7], v30 offset:80
	s_waitcnt lgkmcnt(1)
	v_fma_f32 v0, -v38, v0, v8
	v_fma_f32 v0, -v39, v1, v0
	;; [unrolled: 1-line block ×4, first 2 shown]
	ds_read_b128 v[0:3], v30 offset:96
	s_waitcnt lgkmcnt(1)
	v_fma_f32 v4, -v34, v4, v8
	v_fma_f32 v4, -v35, v5, v4
	;; [unrolled: 1-line block ×4, first 2 shown]
	s_waitcnt lgkmcnt(0)
	v_fma_f32 v0, -v27, v0, v4
	v_fma_f32 v0, -v28, v1, v0
	;; [unrolled: 1-line block ×3, first 2 shown]
	v_mul_f32_e32 v30, v0, v3
	global_store_dwordx4 v[16:17], v[27:30], off offset:96
.LBB37_27:
	s_cmp_ge_i32 s0, s19
	s_cbranch_scc1 .LBB37_32
; %bb.28:
	s_lshl_b32 s3, s0, 7
	s_branch .LBB37_30
.LBB37_29:                              ;   in Loop: Header=BB37_30 Depth=1
	s_mul_i32 s1, s0, 0x84
	v_mov_b32_e32 v2, s1
	ds_read_b32 v2, v2
	s_add_i32 s0, s0, 1
	s_addk_i32 s3, 0x80
	s_cmp_ge_i32 s0, s19
	s_waitcnt lgkmcnt(0)
	v_mul_f32_e32 v2, v4, v2
	global_store_dword v[0:1], v2, off
	s_cbranch_scc1 .LBB37_32
.LBB37_30:                              ; =>This Loop Header: Depth=1
                                        ;     Child Loop BB37_31 Depth 2
	s_ashr_i32 s1, s0, 31
	s_lshl_b64 s[4:5], s[0:1], 2
	v_mov_b32_e32 v1, s5
	v_add_co_u32_e32 v0, vcc, s4, v32
	v_addc_co_u32_e32 v1, vcc, v33, v1, vcc
	global_load_dword v4, v[0:1], off
	v_mov_b32_e32 v2, v32
	v_mov_b32_e32 v3, v33
	s_mov_b32 s1, s0
	s_cmp_eq_u32 s0, 0
	s_mov_b32 s4, s3
	s_waitcnt vmcnt(0)
	v_mul_f32_e32 v4, s18, v4
	s_cbranch_scc1 .LBB37_29
.LBB37_31:                              ;   Parent Loop BB37_30 Depth=1
                                        ; =>  This Inner Loop Header: Depth=2
	global_load_dword v5, v[2:3], off
	v_mov_b32_e32 v6, s4
	ds_read_b32 v6, v6
	s_add_i32 s4, s4, 4
	s_add_i32 s1, s1, -1
	v_add_co_u32_e32 v2, vcc, 4, v2
	v_addc_co_u32_e32 v3, vcc, 0, v3, vcc
	s_cmp_lg_u32 s1, 0
	s_waitcnt vmcnt(0) lgkmcnt(0)
	v_fma_f32 v4, -v5, v6, v4
	s_cbranch_scc1 .LBB37_31
	s_branch .LBB37_29
.LBB37_32:
	s_mov_b64 s[0:1], 0
.LBB37_33:
	s_and_b64 vcc, exec, s[0:1]
	s_cbranch_vccz .LBB37_67
; %bb.34:
	s_add_i32 s8, s19, -1
	s_cmp_gt_i32 s2, 31
	s_mov_b32 s1, 0
	s_cbranch_scc0 .LBB37_44
; %bb.35:
	global_load_dwordx4 v[3:6], v[32:33], off offset:112
	global_load_dwordx4 v[7:10], v[32:33], off offset:96
	;; [unrolled: 1-line block ×7, first 2 shown]
	global_load_dwordx4 v[34:37], v[32:33], off
	s_movk_i32 s9, 0xffc
	s_mov_b64 s[2:3], 0
	s_movk_i32 s10, 0xff8
	s_waitcnt vmcnt(7)
	v_mul_f32_e32 v0, s18, v6
	v_mul_f32_e32 v1, s18, v5
	v_mul_f32_e32 v2, s18, v4
	v_mul_f32_e32 v3, s18, v3
	s_waitcnt vmcnt(6)
	v_mul_f32_e32 v4, s18, v10
	v_mul_f32_e32 v5, s18, v9
	v_mul_f32_e32 v6, s18, v8
	v_mul_f32_e32 v7, s18, v7
	s_waitcnt vmcnt(5)
	v_mul_f32_e32 v8, s18, v14
	v_mul_f32_e32 v9, s18, v13
	v_mul_f32_e32 v10, s18, v12
	v_mul_f32_e32 v11, s18, v11
	s_waitcnt vmcnt(4)
	v_mul_f32_e32 v12, s18, v18
	v_mul_f32_e32 v13, s18, v17
	v_mul_f32_e32 v14, s18, v16
	v_mul_f32_e32 v15, s18, v15
	s_waitcnt vmcnt(3)
	v_mul_f32_e32 v16, s18, v22
	v_mul_f32_e32 v17, s18, v21
	v_mul_f32_e32 v18, s18, v20
	v_mul_f32_e32 v19, s18, v19
	s_waitcnt vmcnt(2)
	v_mul_f32_e32 v20, s18, v26
	v_mul_f32_e32 v21, s18, v25
	v_mul_f32_e32 v22, s18, v24
	v_mul_f32_e32 v23, s18, v23
	s_waitcnt vmcnt(1)
	v_mul_f32_e32 v24, s18, v30
	v_mul_f32_e32 v25, s18, v29
	v_mul_f32_e32 v26, s18, v28
	v_mul_f32_e32 v27, s18, v27
	s_waitcnt vmcnt(0)
	v_mul_f32_e32 v28, s18, v37
	v_mul_f32_e32 v29, s18, v36
	v_mul_f32_e32 v30, s18, v35
	v_mul_f32_e32 v31, s18, v34
.LBB37_36:                              ; =>This Loop Header: Depth=1
                                        ;     Child Loop BB37_38 Depth 2
                                        ;     Child Loop BB37_41 Depth 2
	s_cmp_eq_u32 s2, 0
	s_cbranch_scc1 .LBB37_39
; %bb.37:                               ;   in Loop: Header=BB37_36 Depth=1
	s_mov_b64 s[4:5], s[2:3]
	s_sub_i32 s0, 31, s2
	s_mov_b64 s[6:7], 0
	s_mov_b32 s5, s9
.LBB37_38:                              ;   Parent Loop BB37_36 Depth=1
                                        ; =>  This Inner Loop Header: Depth=2
	v_mov_b32_e32 v35, s5
	s_set_gpr_idx_on s6, gpr_idx(SRC0)
	v_mov_b32_e32 v34, v0
	s_set_gpr_idx_off
	ds_read_b32 v35, v35
	s_addk_i32 s5, 0xff80
	s_add_u32 s6, s6, 1
	s_addc_u32 s7, s7, 0
	s_set_gpr_idx_on s2, gpr_idx(SRC0)
	v_mov_b32_e32 v36, v0
	s_set_gpr_idx_off
	s_cmp_eq_u32 s2, s6
	s_waitcnt lgkmcnt(0)
	v_fma_f32 v34, -v34, v35, v36
	s_set_gpr_idx_on s2, gpr_idx(DST)
	v_mov_b32_e32 v0, v34
	s_set_gpr_idx_off
	s_cbranch_scc0 .LBB37_38
	s_branch .LBB37_40
.LBB37_39:                              ;   in Loop: Header=BB37_36 Depth=1
	s_mov_b32 s0, 31
	s_mov_b64 s[4:5], 0
.LBB37_40:                              ;   in Loop: Header=BB37_36 Depth=1
	s_mul_i32 s5, s0, 0x84
	v_mov_b32_e32 v34, s5
	ds_read_b32 v34, v34
	s_lshl_b32 s0, s0, 2
	s_set_gpr_idx_on s4, gpr_idx(SRC0)
	v_mov_b32_e32 v35, v0
	s_set_gpr_idx_off
	s_add_u32 s6, s2, 1
	s_mov_b32 s7, s10
	s_waitcnt lgkmcnt(0)
	v_mul_f32_e32 v36, v35, v34
	v_add_co_u32_e32 v34, vcc, s0, v32
	v_addc_co_u32_e32 v35, vcc, 0, v33, vcc
	global_store_dword v[34:35], v36, off
	s_or_b32 s0, s2, 1
	s_set_gpr_idx_on s4, gpr_idx(DST)
	v_mov_b32_e32 v0, v36
	s_set_gpr_idx_off
	s_mov_b64 s[4:5], 0
.LBB37_41:                              ;   Parent Loop BB37_36 Depth=1
                                        ; =>  This Inner Loop Header: Depth=2
	v_mov_b32_e32 v35, s7
	s_set_gpr_idx_on s4, gpr_idx(SRC0)
	v_mov_b32_e32 v34, v0
	s_set_gpr_idx_off
	ds_read_b32 v35, v35
	s_add_u32 s4, s4, 1
	s_set_gpr_idx_on s0, gpr_idx(SRC0)
	v_mov_b32_e32 v36, v0
	s_set_gpr_idx_off
	s_addc_u32 s5, s5, 0
	s_addk_i32 s7, 0xff80
	s_waitcnt lgkmcnt(0)
	v_fma_f32 v34, -v34, v35, v36
	s_cmp_lg_u32 s6, s4
	s_set_gpr_idx_on s0, gpr_idx(DST)
	v_mov_b32_e32 v0, v34
	s_set_gpr_idx_off
	s_cbranch_scc1 .LBB37_41
; %bb.42:                               ;   in Loop: Header=BB37_36 Depth=1
	s_sub_i32 s4, 31, s0
	s_mulk_i32 s4, 0x84
	v_mov_b32_e32 v35, s4
	ds_read_b32 v35, v35
	s_bfe_i64 s[4:5], s[0:1], 0x200000
	s_lshl_b64 s[4:5], s[4:5], 2
	s_add_u32 s2, s2, 2
	v_mov_b32_e32 v36, s5
	s_waitcnt lgkmcnt(0)
	v_mul_f32_e32 v37, v34, v35
	v_subrev_co_u32_e32 v34, vcc, s4, v32
	s_addc_u32 s3, s3, 0
	s_add_i32 s9, s9, -8
	s_add_i32 s10, s10, -8
	v_subb_co_u32_e32 v35, vcc, v33, v36, vcc
	s_cmp_eq_u32 s2, 32
	s_set_gpr_idx_on s0, gpr_idx(DST)
	v_mov_b32_e32 v0, v37
	s_set_gpr_idx_off
	global_store_dword v[34:35], v37, off offset:124
	s_cbranch_scc0 .LBB37_36
; %bb.43:
	s_mov_b32 s0, -1
	s_cmp_gt_i32 s0, -1
	s_cbranch_scc1 .LBB37_45
	s_branch .LBB37_67
.LBB37_44:
	s_mov_b32 s0, s8
	s_cmp_gt_i32 s0, -1
	s_cbranch_scc0 .LBB37_67
.LBB37_45:
	s_cmp_lt_u32 s0, 27
	s_cbranch_scc1 .LBB37_50
; %bb.46:
	s_mov_b32 s3, 0
	s_mov_b32 s1, s3
	s_lshl_b64 s[4:5], s[0:1], 2
	v_mov_b32_e32 v1, s5
	v_add_co_u32_e32 v0, vcc, s4, v32
	v_addc_co_u32_e32 v1, vcc, v33, v1, vcc
	global_load_dwordx4 v[2:5], v[0:1], off offset:-12
	global_load_dwordx4 v[9:12], v[0:1], off offset:-28
	;; [unrolled: 1-line block ×7, first 2 shown]
	s_cmp_le_i32 s8, s0
	s_waitcnt vmcnt(6)
	v_mul_f32_e32 v5, s18, v5
	v_mul_f32_e32 v29, s18, v4
	v_mul_f32_e32 v28, s18, v3
	v_mul_f32_e32 v6, s18, v2
	s_waitcnt vmcnt(5)
	v_mul_f32_e32 v7, s18, v12
	v_mul_f32_e32 v8, s18, v11
	v_mul_f32_e32 v10, s18, v10
	v_mul_f32_e32 v11, s18, v9
	;; [unrolled: 5-line block ×7, first 2 shown]
	s_cbranch_scc1 .LBB37_49
; %bb.47:
	s_lshl_b32 s1, s19, 7
	s_lshl_b32 s2, s0, 2
	s_add_i32 s1, s1, s2
	s_addk_i32 s1, 0xff14
	s_mov_b32 s2, s8
.LBB37_48:                              ; =>This Inner Loop Header: Depth=1
	s_lshl_b64 s[4:5], s[2:3], 2
	v_mov_b32_e32 v31, s5
	v_add_co_u32_e32 v30, vcc, s4, v32
	v_addc_co_u32_e32 v31, vcc, v33, v31, vcc
	global_load_dword v60, v[30:31], off
	v_mov_b32_e32 v58, s1
	ds_read2_b32 v[30:31], v58 offset0:26 offset1:27
	ds_read2_b32 v[34:35], v58 offset0:24 offset1:25
	ds_read2_b32 v[36:37], v58 offset0:22 offset1:23
	ds_read2_b32 v[38:39], v58 offset0:20 offset1:21
	ds_read2_b32 v[40:41], v58 offset0:18 offset1:19
	ds_read2_b32 v[42:43], v58 offset0:16 offset1:17
	ds_read2_b32 v[44:45], v58 offset0:14 offset1:15
	ds_read2_b32 v[46:47], v58 offset0:12 offset1:13
	ds_read2_b32 v[48:49], v58 offset0:10 offset1:11
	ds_read2_b32 v[50:51], v58 offset0:8 offset1:9
	ds_read2_b32 v[52:53], v58 offset0:6 offset1:7
	ds_read2_b32 v[54:55], v58 offset0:4 offset1:5
	ds_read2_b32 v[56:57], v58 offset0:2 offset1:3
	ds_read2_b32 v[58:59], v58 offset1:1
	s_add_i32 s2, s2, -1
	s_addk_i32 s1, 0xff80
	s_cmp_gt_i32 s2, s0
	s_waitcnt vmcnt(0) lgkmcnt(13)
	v_fma_f32 v5, -v60, v31, v5
	v_fma_f32 v29, -v60, v30, v29
	s_waitcnt lgkmcnt(12)
	v_fma_f32 v28, -v60, v35, v28
	v_fma_f32 v6, -v60, v34, v6
	s_waitcnt lgkmcnt(11)
	;; [unrolled: 3-line block ×13, first 2 shown]
	v_fma_f32 v3, -v60, v59, v3
	v_fma_f32 v2, -v60, v58, v2
	s_cbranch_scc1 .LBB37_48
.LBB37_49:
	s_add_i32 s2, s0, -1
	s_lshl_b32 s1, s2, 2
	s_lshl_b32 s9, s0, 7
	s_add_i32 s3, s1, s9
	s_lshl_b32 s10, s2, 7
	s_add_i32 s4, s0, -3
	v_mov_b32_e32 v30, s3
	s_add_i32 s1, s1, s10
	s_lshl_b32 s5, s4, 2
	ds_read2_b32 v[30:31], v30 offset1:1
	v_mov_b32_e32 v34, s1
	s_add_i32 s1, s5, s9
	v_mov_b32_e32 v35, s1
	s_add_i32 s1, s5, s10
	v_mov_b32_e32 v36, s1
	ds_read_b32 v38, v34
	ds_read2_b32 v[34:35], v35 offset1:1
	ds_read2_b32 v[36:37], v36 offset1:1
	s_mov_b32 s3, 0
	s_lshl_b64 s[6:7], s[2:3], 2
	s_add_i32 s2, s0, -2
	s_waitcnt lgkmcnt(3)
	v_mul_f32_e32 v5, v5, v31
	s_lshl_b32 s1, s2, 7
	global_store_dword v[0:1], v5, off
	v_fma_f32 v0, -v5, v30, v29
	v_mov_b32_e32 v1, s7
	v_add_co_u32_e32 v29, vcc, s6, v32
	s_add_i32 s6, s5, s1
	s_waitcnt lgkmcnt(2)
	v_mul_f32_e32 v0, v0, v38
	v_addc_co_u32_e32 v30, vcc, v33, v1, vcc
	s_waitcnt lgkmcnt(1)
	v_fma_f32 v1, -v5, v35, v28
	v_mov_b32_e32 v28, s6
	global_store_dword v[29:30], v0, off
	ds_read2_b32 v[28:29], v28 offset1:1
	s_lshl_b32 s11, s4, 7
	s_add_i32 s6, s0, -5
	s_add_i32 s5, s5, s11
	s_lshl_b32 s7, s6, 2
	v_mov_b32_e32 v30, s5
	s_add_i32 s5, s7, s9
	s_waitcnt lgkmcnt(1)
	v_fma_f32 v1, -v0, v37, v1
	v_mov_b32_e32 v31, s5
	s_add_i32 s5, s7, s10
	s_lshl_b64 s[12:13], s[2:3], 2
	v_mov_b32_e32 v35, s5
	ds_read_b32 v41, v30
	ds_read2_b32 v[30:31], v31 offset1:1
	ds_read2_b32 v[37:38], v35 offset1:1
	s_waitcnt lgkmcnt(3)
	v_mul_f32_e32 v1, v1, v29
	v_mov_b32_e32 v29, s13
	v_add_co_u32_e32 v39, vcc, s12, v32
	v_fma_f32 v6, -v5, v34, v6
	s_mov_b32 s5, s3
	v_addc_co_u32_e32 v40, vcc, v33, v29, vcc
	v_fma_f32 v6, -v0, v36, v6
	s_lshl_b64 s[4:5], s[4:5], 2
	v_fma_f32 v6, -v1, v28, v6
	v_mov_b32_e32 v29, s5
	v_add_co_u32_e32 v28, vcc, s4, v32
	s_waitcnt lgkmcnt(2)
	v_mul_f32_e32 v6, v6, v41
	v_addc_co_u32_e32 v29, vcc, v33, v29, vcc
	s_add_i32 s2, s0, -4
	s_add_i32 s4, s7, s1
	global_store_dword v[28:29], v6, off
	v_mov_b32_e32 v28, s4
	s_add_i32 s4, s7, s11
	s_lshl_b32 s12, s2, 7
	global_store_dword v[39:40], v1, off
	s_waitcnt lgkmcnt(1)
	v_fma_f32 v7, -v5, v31, v7
	v_mov_b32_e32 v31, s4
	s_add_i32 s4, s7, s12
	s_waitcnt lgkmcnt(0)
	v_fma_f32 v7, -v0, v38, v7
	v_mov_b32_e32 v36, s4
	ds_read2_b32 v[28:29], v28 offset1:1
	ds_read2_b32 v[34:35], v31 offset1:1
	;; [unrolled: 1-line block ×3, first 2 shown]
	s_lshl_b32 s13, s6, 7
	s_add_i32 s4, s7, s13
	v_mov_b32_e32 v31, s4
	ds_read_b32 v31, v31
	s_waitcnt lgkmcnt(3)
	v_fma_f32 v7, -v1, v29, v7
	s_lshl_b64 s[4:5], s[2:3], 2
	v_fma_f32 v8, -v5, v30, v8
	s_waitcnt lgkmcnt(2)
	v_fma_f32 v7, -v6, v35, v7
	v_mov_b32_e32 v29, s5
	v_add_co_u32_e32 v35, vcc, s4, v32
	v_fma_f32 v8, -v0, v37, v8
	s_mov_b32 s7, s3
	v_addc_co_u32_e32 v36, vcc, v33, v29, vcc
	v_fma_f32 v8, -v1, v28, v8
	s_lshl_b64 s[4:5], s[6:7], 2
	s_waitcnt lgkmcnt(1)
	v_mul_f32_e32 v7, v7, v39
	v_fma_f32 v8, -v6, v34, v8
	v_add_co_u32_e32 v28, vcc, s4, v32
	s_add_i32 s4, s0, -7
	v_fma_f32 v8, -v7, v38, v8
	v_mov_b32_e32 v29, s5
	s_lshl_b32 s5, s4, 2
	s_waitcnt lgkmcnt(0)
	v_mul_f32_e32 v8, v8, v31
	v_addc_co_u32_e32 v29, vcc, v33, v29, vcc
	s_add_i32 s2, s5, s9
	global_store_dword v[28:29], v8, off
	v_mov_b32_e32 v28, s2
	s_add_i32 s2, s5, s10
	v_mov_b32_e32 v30, s2
	s_add_i32 s2, s5, s1
	;; [unrolled: 2-line block ×3, first 2 shown]
	global_store_dword v[35:36], v7, off
	v_mov_b32_e32 v36, s2
	ds_read2_b32 v[28:29], v28 offset1:1
	ds_read2_b32 v[30:31], v30 offset1:1
	;; [unrolled: 1-line block ×4, first 2 shown]
	s_add_i32 s2, s0, -6
	s_waitcnt lgkmcnt(3)
	v_fma_f32 v10, -v5, v29, v10
	s_add_i32 s6, s5, s12
	s_waitcnt lgkmcnt(2)
	v_fma_f32 v10, -v0, v31, v10
	v_mov_b32_e32 v29, s6
	s_add_i32 s6, s5, s13
	s_lshl_b32 s14, s2, 7
	s_waitcnt lgkmcnt(1)
	v_fma_f32 v10, -v1, v35, v10
	v_mov_b32_e32 v31, s6
	s_add_i32 s6, s5, s14
	s_lshl_b32 s15, s4, 7
	s_waitcnt lgkmcnt(0)
	v_fma_f32 v10, -v6, v37, v10
	v_mov_b32_e32 v35, s6
	ds_read2_b32 v[37:38], v29 offset1:1
	ds_read2_b32 v[39:40], v31 offset1:1
	;; [unrolled: 1-line block ×3, first 2 shown]
	s_add_i32 s5, s5, s15
	v_fma_f32 v11, -v5, v28, v11
	v_mov_b32_e32 v29, s5
	v_fma_f32 v11, -v0, v30, v11
	ds_read_b32 v29, v29
	v_fma_f32 v11, -v1, v34, v11
	s_waitcnt lgkmcnt(3)
	v_fma_f32 v10, -v7, v38, v10
	v_fma_f32 v11, -v6, v36, v11
	s_waitcnt lgkmcnt(2)
	v_fma_f32 v10, -v8, v40, v10
	s_lshl_b64 s[6:7], s[2:3], 2
	v_fma_f32 v11, -v7, v37, v11
	s_waitcnt lgkmcnt(1)
	v_mul_f32_e32 v10, v10, v42
	v_mov_b32_e32 v31, s7
	v_add_co_u32_e32 v42, vcc, s6, v32
	v_fma_f32 v11, -v8, v39, v11
	s_mov_b32 s5, s3
	v_addc_co_u32_e32 v43, vcc, v33, v31, vcc
	v_fma_f32 v11, -v10, v41, v11
	s_lshl_b64 s[4:5], s[4:5], 2
	s_add_i32 s6, s0, -9
	s_waitcnt lgkmcnt(0)
	v_mul_f32_e32 v11, v11, v29
	v_mov_b32_e32 v29, s5
	v_add_co_u32_e32 v28, vcc, s4, v32
	s_lshl_b32 s4, s6, 2
	v_addc_co_u32_e32 v29, vcc, v33, v29, vcc
	s_add_i32 s5, s4, s9
	global_store_dword v[28:29], v11, off
	v_mov_b32_e32 v28, s5
	s_add_i32 s5, s4, s10
	v_mov_b32_e32 v30, s5
	s_add_i32 s5, s4, s1
	global_store_dword v[42:43], v10, off
	v_mov_b32_e32 v34, s5
	ds_read2_b32 v[28:29], v28 offset1:1
	ds_read2_b32 v[30:31], v30 offset1:1
	;; [unrolled: 1-line block ×3, first 2 shown]
	s_add_i32 s5, s4, s11
	v_mov_b32_e32 v36, s5
	s_add_i32 s5, s4, s12
	ds_read2_b32 v[36:37], v36 offset1:1
	s_waitcnt lgkmcnt(3)
	v_fma_f32 v14, -v5, v29, v14
	v_mov_b32_e32 v29, s5
	s_add_i32 s5, s4, s13
	s_waitcnt lgkmcnt(2)
	v_fma_f32 v14, -v0, v31, v14
	v_mov_b32_e32 v31, s5
	s_add_i32 s5, s4, s14
	;; [unrolled: 4-line block ×3, first 2 shown]
	v_mov_b32_e32 v44, s5
	ds_read2_b32 v[38:39], v29 offset1:1
	ds_read2_b32 v[40:41], v31 offset1:1
	;; [unrolled: 1-line block ×4, first 2 shown]
	s_add_i32 s2, s0, -8
	s_waitcnt lgkmcnt(4)
	v_fma_f32 v14, -v6, v37, v14
	s_waitcnt lgkmcnt(3)
	v_fma_f32 v14, -v7, v39, v14
	s_lshl_b32 s16, s2, 7
	s_waitcnt lgkmcnt(2)
	v_fma_f32 v14, -v8, v41, v14
	s_add_i32 s5, s4, s16
	s_lshl_b32 s17, s6, 7
	v_fma_f32 v13, -v5, v28, v13
	s_waitcnt lgkmcnt(1)
	v_fma_f32 v14, -v10, v43, v14
	v_mov_b32_e32 v29, s5
	s_add_i32 s4, s4, s17
	v_fma_f32 v13, -v0, v30, v13
	s_waitcnt lgkmcnt(0)
	v_fma_f32 v14, -v11, v45, v14
	ds_read2_b32 v[45:46], v29 offset1:1
	v_mov_b32_e32 v29, s4
	s_add_i32 s4, s0, -11
	v_fma_f32 v13, -v1, v34, v13
	s_lshl_b32 s5, s4, 2
	v_fma_f32 v13, -v6, v36, v13
	s_add_i32 s7, s5, s9
	v_fma_f32 v13, -v7, v38, v13
	v_mov_b32_e32 v31, s7
	s_add_i32 s7, s5, s10
	v_fma_f32 v13, -v8, v40, v13
	v_mov_b32_e32 v35, s7
	ds_read_b32 v29, v29
	ds_read2_b32 v[47:48], v31 offset1:1
	ds_read2_b32 v[49:50], v35 offset1:1
	s_lshl_b64 s[20:21], s[2:3], 2
	v_fma_f32 v13, -v10, v42, v13
	s_waitcnt lgkmcnt(3)
	v_mul_f32_e32 v14, v14, v46
	v_mov_b32_e32 v31, s21
	v_add_co_u32_e32 v51, vcc, s20, v32
	v_fma_f32 v13, -v11, v44, v13
	s_mov_b32 s7, s3
	v_addc_co_u32_e32 v52, vcc, v33, v31, vcc
	v_fma_f32 v13, -v14, v45, v13
	s_lshl_b64 s[6:7], s[6:7], 2
	s_waitcnt lgkmcnt(2)
	v_mul_f32_e32 v13, v13, v29
	v_mov_b32_e32 v29, s7
	v_add_co_u32_e32 v28, vcc, s6, v32
	v_addc_co_u32_e32 v29, vcc, v33, v29, vcc
	s_add_i32 s6, s5, s1
	global_store_dword v[28:29], v13, off
	v_mov_b32_e32 v28, s6
	s_add_i32 s6, s5, s11
	v_mov_b32_e32 v30, s6
	s_add_i32 s6, s5, s12
	global_store_dword v[51:52], v14, off
	v_mov_b32_e32 v34, s6
	ds_read2_b32 v[28:29], v28 offset1:1
	ds_read2_b32 v[30:31], v30 offset1:1
	;; [unrolled: 1-line block ×3, first 2 shown]
	s_waitcnt lgkmcnt(4)
	v_fma_f32 v15, -v5, v48, v15
	s_add_i32 s6, s5, s13
	s_waitcnt lgkmcnt(3)
	v_fma_f32 v15, -v0, v50, v15
	v_mov_b32_e32 v36, s6
	s_add_i32 s6, s5, s14
	ds_read2_b32 v[36:37], v36 offset1:1
	s_waitcnt lgkmcnt(3)
	v_fma_f32 v15, -v1, v29, v15
	v_mov_b32_e32 v29, s6
	s_add_i32 s6, s5, s15
	s_waitcnt lgkmcnt(2)
	v_fma_f32 v15, -v6, v31, v15
	v_mov_b32_e32 v31, s6
	s_add_i32 s6, s5, s16
	;; [unrolled: 4-line block ×3, first 2 shown]
	v_mov_b32_e32 v44, s6
	ds_read2_b32 v[38:39], v29 offset1:1
	ds_read2_b32 v[40:41], v31 offset1:1
	;; [unrolled: 1-line block ×4, first 2 shown]
	s_add_i32 s2, s0, -10
	s_waitcnt lgkmcnt(4)
	v_fma_f32 v15, -v8, v37, v15
	v_fma_f32 v16, -v5, v47, v16
	s_waitcnt lgkmcnt(3)
	v_fma_f32 v15, -v10, v39, v15
	s_lshl_b32 s20, s2, 7
	v_fma_f32 v16, -v0, v49, v16
	s_waitcnt lgkmcnt(2)
	v_fma_f32 v15, -v11, v41, v15
	s_add_i32 s6, s5, s20
	v_fma_f32 v16, -v1, v28, v16
	s_waitcnt lgkmcnt(1)
	v_fma_f32 v15, -v14, v43, v15
	v_mov_b32_e32 v29, s6
	v_fma_f32 v16, -v6, v30, v16
	s_waitcnt lgkmcnt(0)
	v_fma_f32 v15, -v13, v45, v15
	ds_read2_b32 v[45:46], v29 offset1:1
	s_lshl_b32 s21, s4, 7
	s_add_i32 s6, s0, -13
	v_fma_f32 v16, -v7, v34, v16
	s_add_i32 s5, s5, s21
	s_lshl_b32 s7, s6, 2
	v_fma_f32 v16, -v8, v36, v16
	v_mov_b32_e32 v29, s5
	s_add_i32 s5, s7, s9
	v_fma_f32 v16, -v10, v38, v16
	v_mov_b32_e32 v31, s5
	s_add_i32 s5, s7, s10
	v_fma_f32 v16, -v11, v40, v16
	v_mov_b32_e32 v35, s5
	ds_read_b32 v29, v29
	ds_read2_b32 v[50:51], v31 offset1:1
	ds_read2_b32 v[52:53], v35 offset1:1
	s_lshl_b64 s[22:23], s[2:3], 2
	v_fma_f32 v16, -v14, v42, v16
	s_waitcnt lgkmcnt(3)
	v_mul_f32_e32 v15, v15, v46
	v_mov_b32_e32 v31, s23
	v_add_co_u32_e32 v54, vcc, s22, v32
	v_fma_f32 v16, -v13, v44, v16
	s_mov_b32 s5, s3
	v_addc_co_u32_e32 v55, vcc, v33, v31, vcc
	v_fma_f32 v16, -v15, v45, v16
	s_lshl_b64 s[4:5], s[4:5], 2
	s_waitcnt lgkmcnt(2)
	v_mul_f32_e32 v16, v16, v29
	v_mov_b32_e32 v29, s5
	v_add_co_u32_e32 v28, vcc, s4, v32
	v_addc_co_u32_e32 v29, vcc, v33, v29, vcc
	s_add_i32 s4, s7, s1
	global_store_dword v[28:29], v16, off
	v_mov_b32_e32 v28, s4
	s_add_i32 s4, s7, s11
	v_mov_b32_e32 v30, s4
	s_add_i32 s4, s7, s12
	global_store_dword v[54:55], v15, off
	v_mov_b32_e32 v34, s4
	ds_read2_b32 v[28:29], v28 offset1:1
	ds_read2_b32 v[30:31], v30 offset1:1
	;; [unrolled: 1-line block ×3, first 2 shown]
	s_waitcnt lgkmcnt(4)
	v_fma_f32 v19, -v5, v51, v19
	s_add_i32 s4, s7, s13
	s_waitcnt lgkmcnt(3)
	v_fma_f32 v19, -v0, v53, v19
	v_mov_b32_e32 v36, s4
	s_add_i32 s4, s7, s14
	ds_read2_b32 v[36:37], v36 offset1:1
	s_waitcnt lgkmcnt(3)
	v_fma_f32 v19, -v1, v29, v19
	v_mov_b32_e32 v29, s4
	s_add_i32 s4, s7, s15
	s_waitcnt lgkmcnt(2)
	v_fma_f32 v19, -v6, v31, v19
	v_mov_b32_e32 v31, s4
	s_add_i32 s4, s7, s16
	;; [unrolled: 4-line block ×3, first 2 shown]
	v_mov_b32_e32 v44, s4
	v_fma_f32 v20, -v5, v50, v20
	ds_read2_b32 v[38:39], v29 offset1:1
	ds_read2_b32 v[40:41], v31 offset1:1
	ds_read2_b32 v[42:43], v35 offset1:1
	ds_read2_b32 v[44:45], v44 offset1:1
	v_fma_f32 v20, -v0, v52, v20
	s_waitcnt lgkmcnt(4)
	v_fma_f32 v19, -v8, v37, v19
	v_fma_f32 v20, -v1, v28, v20
	s_add_i32 s2, s0, -12
	s_waitcnt lgkmcnt(3)
	v_fma_f32 v19, -v10, v39, v19
	s_add_i32 s4, s7, s20
	v_fma_f32 v20, -v6, v30, v20
	s_waitcnt lgkmcnt(2)
	v_fma_f32 v19, -v11, v41, v19
	v_mov_b32_e32 v29, s4
	s_add_i32 s4, s7, s21
	s_lshl_b32 s22, s2, 7
	v_fma_f32 v20, -v7, v34, v20
	s_waitcnt lgkmcnt(1)
	v_fma_f32 v19, -v14, v43, v19
	v_mov_b32_e32 v31, s4
	s_add_i32 s4, s7, s22
	s_lshl_b32 s23, s6, 7
	v_fma_f32 v20, -v8, v36, v20
	s_waitcnt lgkmcnt(0)
	v_fma_f32 v19, -v13, v45, v19
	v_mov_b32_e32 v35, s4
	ds_read2_b32 v[45:46], v29 offset1:1
	ds_read2_b32 v[47:48], v31 offset1:1
	;; [unrolled: 1-line block ×3, first 2 shown]
	s_add_i32 s4, s7, s23
	v_fma_f32 v20, -v10, v38, v20
	v_mov_b32_e32 v29, s4
	v_fma_f32 v20, -v11, v40, v20
	ds_read_b32 v29, v29
	v_fma_f32 v20, -v14, v42, v20
	s_waitcnt lgkmcnt(3)
	v_fma_f32 v19, -v15, v46, v19
	s_lshl_b64 s[4:5], s[2:3], 2
	v_fma_f32 v20, -v13, v44, v20
	s_waitcnt lgkmcnt(2)
	v_fma_f32 v19, -v16, v48, v19
	v_mov_b32_e32 v31, s5
	v_add_co_u32_e32 v48, vcc, s4, v32
	v_fma_f32 v20, -v15, v45, v20
	s_mov_b32 s7, s3
	s_waitcnt lgkmcnt(1)
	v_mul_f32_e32 v19, v19, v54
	v_addc_co_u32_e32 v49, vcc, v33, v31, vcc
	v_fma_f32 v20, -v16, v47, v20
	s_lshl_b64 s[4:5], s[6:7], 2
	v_fma_f32 v20, -v19, v53, v20
	v_add_co_u32_e32 v28, vcc, s4, v32
	s_add_i32 s4, s0, -15
	s_waitcnt lgkmcnt(0)
	v_mul_f32_e32 v20, v20, v29
	v_mov_b32_e32 v29, s5
	s_lshl_b32 s5, s4, 2
	v_addc_co_u32_e32 v29, vcc, v33, v29, vcc
	s_add_i32 s2, s5, s9
	global_store_dword v[28:29], v20, off
	v_mov_b32_e32 v28, s2
	s_add_i32 s2, s5, s10
	v_mov_b32_e32 v30, s2
	s_add_i32 s2, s5, s1
	;; [unrolled: 2-line block ×3, first 2 shown]
	global_store_dword v[48:49], v19, off
	v_mov_b32_e32 v36, s2
	ds_read2_b32 v[28:29], v28 offset1:1
	ds_read2_b32 v[30:31], v30 offset1:1
	;; [unrolled: 1-line block ×4, first 2 shown]
	s_add_i32 s6, s5, s12
	s_waitcnt lgkmcnt(3)
	v_fma_f32 v22, -v5, v29, v22
	v_mov_b32_e32 v29, s6
	s_add_i32 s6, s5, s13
	s_waitcnt lgkmcnt(2)
	v_fma_f32 v22, -v0, v31, v22
	v_mov_b32_e32 v31, s6
	;; [unrolled: 4-line block ×3, first 2 shown]
	s_add_i32 s6, s5, s15
	s_waitcnt lgkmcnt(0)
	v_fma_f32 v22, -v6, v37, v22
	ds_read2_b32 v[37:38], v29 offset1:1
	ds_read2_b32 v[39:40], v31 offset1:1
	;; [unrolled: 1-line block ×3, first 2 shown]
	v_mov_b32_e32 v29, s6
	ds_read2_b32 v[43:44], v29 offset1:1
	s_add_i32 s6, s5, s16
	v_mov_b32_e32 v29, s6
	s_add_i32 s6, s5, s17
	s_waitcnt lgkmcnt(3)
	v_fma_f32 v22, -v7, v38, v22
	v_mov_b32_e32 v31, s6
	s_add_i32 s6, s5, s20
	s_waitcnt lgkmcnt(2)
	v_fma_f32 v22, -v8, v40, v22
	v_mov_b32_e32 v35, s6
	s_add_i32 s6, s5, s21
	v_fma_f32 v24, -v5, v28, v24
	s_waitcnt lgkmcnt(1)
	v_fma_f32 v22, -v10, v42, v22
	v_mov_b32_e32 v38, s6
	ds_read2_b32 v[45:46], v29 offset1:1
	ds_read2_b32 v[47:48], v31 offset1:1
	ds_read2_b32 v[49:50], v35 offset1:1
	ds_read2_b32 v[51:52], v38 offset1:1
	v_fma_f32 v24, -v0, v30, v24
	s_add_i32 s2, s0, -14
	s_waitcnt lgkmcnt(4)
	v_fma_f32 v22, -v11, v44, v22
	s_add_i32 s6, s5, s22
	v_fma_f32 v24, -v1, v34, v24
	s_waitcnt lgkmcnt(3)
	v_fma_f32 v22, -v14, v46, v22
	v_mov_b32_e32 v29, s6
	s_add_i32 s6, s5, s23
	s_lshl_b32 s24, s2, 7
	v_fma_f32 v24, -v6, v36, v24
	s_waitcnt lgkmcnt(2)
	v_fma_f32 v22, -v13, v48, v22
	v_mov_b32_e32 v31, s6
	s_add_i32 s6, s5, s24
	v_fma_f32 v24, -v7, v37, v24
	s_waitcnt lgkmcnt(1)
	v_fma_f32 v22, -v15, v50, v22
	v_mov_b32_e32 v35, s6
	s_lshl_b64 s[6:7], s[2:3], 2
	s_lshl_b32 s25, s4, 7
	v_fma_f32 v24, -v8, v39, v24
	s_waitcnt lgkmcnt(0)
	v_fma_f32 v22, -v16, v52, v22
	v_mov_b32_e32 v38, s7
	v_add_co_u32_e32 v52, vcc, s6, v32
	s_add_i32 s2, s5, s25
	v_fma_f32 v24, -v10, v41, v24
	v_addc_co_u32_e32 v53, vcc, v33, v38, vcc
	v_mov_b32_e32 v38, s2
	v_fma_f32 v24, -v11, v43, v24
	ds_read_b32 v38, v38
	ds_read2_b32 v[54:55], v29 offset1:1
	ds_read2_b32 v[56:57], v31 offset1:1
	;; [unrolled: 1-line block ×3, first 2 shown]
	v_fma_f32 v24, -v14, v45, v24
	v_fma_f32 v24, -v13, v47, v24
	;; [unrolled: 1-line block ×3, first 2 shown]
	s_waitcnt lgkmcnt(2)
	v_fma_f32 v22, -v19, v55, v22
	v_fma_f32 v24, -v16, v51, v24
	s_mov_b32 s5, s3
	s_waitcnt lgkmcnt(1)
	v_fma_f32 v22, -v20, v57, v22
	v_fma_f32 v24, -v19, v54, v24
	s_lshl_b64 s[4:5], s[4:5], 2
	s_waitcnt lgkmcnt(0)
	v_mul_f32_e32 v22, v22, v59
	v_fma_f32 v24, -v20, v56, v24
	v_add_co_u32_e32 v28, vcc, s4, v32
	s_sub_i32 s4, s0, 17
	v_fma_f32 v24, -v22, v58, v24
	v_mov_b32_e32 v29, s5
	s_lshl_b32 s5, s4, 2
	v_mul_f32_e32 v24, v24, v38
	v_addc_co_u32_e32 v29, vcc, v33, v29, vcc
	s_add_i32 s2, s5, s9
	global_store_dword v[28:29], v24, off
	v_mov_b32_e32 v28, s2
	s_add_i32 s2, s5, s10
	v_mov_b32_e32 v30, s2
	s_add_i32 s2, s5, s1
	v_mov_b32_e32 v34, s2
	s_add_i32 s2, s5, s11
	global_store_dword v[52:53], v22, off
	v_mov_b32_e32 v36, s2
	ds_read2_b32 v[28:29], v28 offset1:1
	ds_read2_b32 v[30:31], v30 offset1:1
	;; [unrolled: 1-line block ×4, first 2 shown]
	s_add_i32 s6, s5, s12
	s_waitcnt lgkmcnt(3)
	v_fma_f32 v26, -v5, v29, v26
	v_mov_b32_e32 v29, s6
	s_add_i32 s6, s5, s13
	s_waitcnt lgkmcnt(2)
	v_fma_f32 v26, -v0, v31, v26
	v_mov_b32_e32 v31, s6
	;; [unrolled: 4-line block ×3, first 2 shown]
	s_add_i32 s6, s5, s15
	s_waitcnt lgkmcnt(0)
	v_fma_f32 v26, -v6, v37, v26
	ds_read2_b32 v[37:38], v29 offset1:1
	ds_read2_b32 v[39:40], v31 offset1:1
	;; [unrolled: 1-line block ×3, first 2 shown]
	v_mov_b32_e32 v29, s6
	ds_read2_b32 v[43:44], v29 offset1:1
	s_add_i32 s6, s5, s16
	v_mov_b32_e32 v29, s6
	s_add_i32 s6, s5, s17
	s_waitcnt lgkmcnt(3)
	v_fma_f32 v26, -v7, v38, v26
	v_mov_b32_e32 v31, s6
	s_add_i32 s6, s5, s20
	s_waitcnt lgkmcnt(2)
	v_fma_f32 v26, -v8, v40, v26
	;; [unrolled: 4-line block ×3, first 2 shown]
	v_mov_b32_e32 v38, s6
	ds_read2_b32 v[45:46], v29 offset1:1
	ds_read2_b32 v[47:48], v31 offset1:1
	;; [unrolled: 1-line block ×4, first 2 shown]
	s_waitcnt lgkmcnt(4)
	v_fma_f32 v26, -v11, v44, v26
	s_add_i32 s6, s5, s22
	v_fma_f32 v27, -v5, v28, v27
	s_waitcnt lgkmcnt(3)
	v_fma_f32 v26, -v14, v46, v26
	v_mov_b32_e32 v29, s6
	s_add_i32 s6, s5, s23
	v_fma_f32 v27, -v0, v30, v27
	s_add_i32 s2, s0, -16
	s_waitcnt lgkmcnt(2)
	v_fma_f32 v26, -v13, v48, v26
	v_mov_b32_e32 v31, s6
	s_add_i32 s6, s5, s24
	v_fma_f32 v27, -v1, v34, v27
	s_waitcnt lgkmcnt(1)
	v_fma_f32 v26, -v15, v50, v26
	v_mov_b32_e32 v35, s6
	s_lshl_b64 s[6:7], s[2:3], 2
	v_fma_f32 v27, -v6, v36, v27
	s_waitcnt lgkmcnt(0)
	v_fma_f32 v26, -v16, v52, v26
	s_add_i32 s26, s5, s25
	v_mov_b32_e32 v38, s7
	v_add_co_u32_e32 v52, vcc, s6, v32
	v_fma_f32 v27, -v7, v37, v27
	v_addc_co_u32_e32 v53, vcc, v33, v38, vcc
	v_mov_b32_e32 v38, s26
	ds_read2_b32 v[54:55], v29 offset1:1
	ds_read2_b32 v[56:57], v31 offset1:1
	;; [unrolled: 1-line block ×4, first 2 shown]
	v_fma_f32 v27, -v8, v39, v27
	v_fma_f32 v27, -v10, v41, v27
	s_waitcnt lgkmcnt(3)
	v_fma_f32 v26, -v19, v55, v26
	s_lshl_b32 s27, s2, 7
	s_lshl_b32 s26, s4, 7
	v_fma_f32 v27, -v11, v43, v27
	s_waitcnt lgkmcnt(2)
	v_fma_f32 v26, -v20, v57, v26
	s_add_i32 s2, s5, s27
	s_add_i32 s5, s5, s26
	v_fma_f32 v27, -v14, v45, v27
	s_waitcnt lgkmcnt(1)
	v_fma_f32 v26, -v22, v59, v26
	v_mov_b32_e32 v29, s5
	v_mov_b32_e32 v31, s2
	v_fma_f32 v27, -v13, v47, v27
	s_waitcnt lgkmcnt(0)
	v_fma_f32 v26, -v24, v61, v26
	ds_read_b32 v29, v29
	ds_read2_b32 v[61:62], v31 offset1:1
	v_fma_f32 v27, -v15, v49, v27
	v_fma_f32 v27, -v16, v51, v27
	s_sub_i32 s6, s0, 19
	v_fma_f32 v27, -v19, v54, v27
	s_lshl_b32 s7, s6, 2
	v_fma_f32 v27, -v20, v56, v27
	s_add_i32 s5, s7, s9
	v_fma_f32 v27, -v22, v58, v27
	v_mov_b32_e32 v31, s5
	s_waitcnt lgkmcnt(0)
	v_mul_f32_e32 v26, v26, v62
	v_fma_f32 v27, -v24, v60, v27
	s_mov_b32 s5, s3
	v_fma_f32 v27, -v26, v61, v27
	s_lshl_b64 s[4:5], s[4:5], 2
	v_mul_f32_e32 v27, v27, v29
	v_mov_b32_e32 v29, s5
	v_add_co_u32_e32 v28, vcc, s4, v32
	s_add_i32 s28, s7, s10
	v_addc_co_u32_e32 v29, vcc, v33, v29, vcc
	s_add_i32 s4, s7, s1
	v_mov_b32_e32 v35, s28
	ds_read2_b32 v[63:64], v31 offset1:1
	ds_read2_b32 v[65:66], v35 offset1:1
	global_store_dword v[28:29], v27, off
	v_mov_b32_e32 v28, s4
	s_add_i32 s4, s7, s11
	v_mov_b32_e32 v30, s4
	s_add_i32 s4, s7, s12
	;; [unrolled: 2-line block ×3, first 2 shown]
	global_store_dword v[52:53], v26, off
	v_mov_b32_e32 v36, s4
	s_waitcnt lgkmcnt(1)
	v_fma_f32 v25, -v5, v64, v25
	ds_read2_b32 v[28:29], v28 offset1:1
	ds_read2_b32 v[30:31], v30 offset1:1
	;; [unrolled: 1-line block ×4, first 2 shown]
	s_waitcnt lgkmcnt(4)
	v_fma_f32 v25, -v0, v66, v25
	s_add_i32 s4, s7, s14
	s_waitcnt lgkmcnt(3)
	v_fma_f32 v25, -v1, v29, v25
	v_mov_b32_e32 v29, s4
	s_add_i32 s4, s7, s15
	s_waitcnt lgkmcnt(2)
	v_fma_f32 v25, -v6, v31, v25
	v_mov_b32_e32 v31, s4
	;; [unrolled: 4-line block ×3, first 2 shown]
	s_add_i32 s4, s7, s17
	s_waitcnt lgkmcnt(0)
	v_fma_f32 v25, -v8, v37, v25
	ds_read2_b32 v[37:38], v29 offset1:1
	ds_read2_b32 v[39:40], v31 offset1:1
	;; [unrolled: 1-line block ×3, first 2 shown]
	v_mov_b32_e32 v29, s4
	ds_read2_b32 v[43:44], v29 offset1:1
	s_add_i32 s4, s7, s20
	v_mov_b32_e32 v29, s4
	s_add_i32 s4, s7, s21
	s_waitcnt lgkmcnt(3)
	v_fma_f32 v25, -v10, v38, v25
	v_mov_b32_e32 v31, s4
	s_add_i32 s4, s7, s22
	v_fma_f32 v23, -v5, v63, v23
	s_waitcnt lgkmcnt(2)
	v_fma_f32 v25, -v11, v40, v25
	v_mov_b32_e32 v35, s4
	s_add_i32 s4, s7, s23
	v_fma_f32 v23, -v0, v65, v23
	s_waitcnt lgkmcnt(1)
	v_fma_f32 v25, -v14, v42, v25
	v_mov_b32_e32 v38, s4
	ds_read2_b32 v[47:48], v29 offset1:1
	ds_read2_b32 v[49:50], v31 offset1:1
	;; [unrolled: 1-line block ×4, first 2 shown]
	v_fma_f32 v23, -v1, v28, v23
	s_sub_i32 s2, s0, 18
	s_waitcnt lgkmcnt(4)
	v_fma_f32 v25, -v13, v44, v25
	v_fma_f32 v23, -v6, v30, v23
	s_lshl_b64 s[4:5], s[2:3], 2
	s_waitcnt lgkmcnt(3)
	v_fma_f32 v25, -v15, v48, v25
	v_fma_f32 v23, -v7, v34, v23
	v_add_co_u32_e32 v45, vcc, s4, v32
	s_waitcnt lgkmcnt(2)
	v_fma_f32 v25, -v16, v50, v25
	s_add_i32 s4, s7, s24
	v_fma_f32 v23, -v8, v36, v23
	v_mov_b32_e32 v40, s5
	s_waitcnt lgkmcnt(1)
	v_fma_f32 v25, -v19, v52, v25
	s_add_i32 s5, s7, s25
	s_add_i32 s28, s7, s27
	;; [unrolled: 1-line block ×3, first 2 shown]
	v_mov_b32_e32 v29, s4
	v_fma_f32 v23, -v10, v37, v23
	s_waitcnt lgkmcnt(0)
	v_fma_f32 v25, -v20, v54, v25
	v_mov_b32_e32 v31, s5
	v_mov_b32_e32 v35, s28
	;; [unrolled: 1-line block ×3, first 2 shown]
	ds_read2_b32 v[54:55], v29 offset1:1
	ds_read2_b32 v[56:57], v31 offset1:1
	;; [unrolled: 1-line block ×4, first 2 shown]
	v_fma_f32 v23, -v11, v39, v23
	v_fma_f32 v23, -v14, v41, v23
	s_waitcnt lgkmcnt(3)
	v_fma_f32 v25, -v22, v55, v25
	s_lshl_b32 s28, s2, 7
	s_lshl_b32 s29, s6, 7
	v_fma_f32 v23, -v13, v43, v23
	s_waitcnt lgkmcnt(2)
	v_fma_f32 v25, -v24, v57, v25
	s_add_i32 s2, s7, s28
	s_add_i32 s4, s7, s29
	v_fma_f32 v23, -v15, v47, v23
	s_waitcnt lgkmcnt(1)
	v_fma_f32 v25, -v26, v59, v25
	v_mov_b32_e32 v29, s4
	v_mov_b32_e32 v31, s2
	v_fma_f32 v23, -v16, v49, v23
	s_waitcnt lgkmcnt(0)
	v_fma_f32 v25, -v27, v61, v25
	ds_read_b32 v29, v29
	ds_read2_b32 v[61:62], v31 offset1:1
	v_fma_f32 v23, -v19, v51, v23
	v_fma_f32 v23, -v20, v53, v23
	s_sub_i32 s4, s0, 21
	v_fma_f32 v23, -v22, v54, v23
	s_lshl_b32 s5, s4, 2
	v_fma_f32 v23, -v24, v56, v23
	s_add_i32 s7, s5, s9
	v_fma_f32 v23, -v26, v58, v23
	v_mov_b32_e32 v31, s7
	s_waitcnt lgkmcnt(0)
	v_mul_f32_e32 v25, v25, v62
	v_fma_f32 v23, -v27, v60, v23
	s_mov_b32 s7, s3
	v_addc_co_u32_e32 v46, vcc, v33, v40, vcc
	v_fma_f32 v23, -v25, v61, v23
	s_lshl_b64 s[6:7], s[6:7], 2
	v_mul_f32_e32 v23, v23, v29
	v_mov_b32_e32 v29, s7
	v_add_co_u32_e32 v28, vcc, s6, v32
	s_add_i32 s30, s5, s10
	v_addc_co_u32_e32 v29, vcc, v33, v29, vcc
	s_add_i32 s6, s5, s1
	v_mov_b32_e32 v35, s30
	ds_read2_b32 v[66:67], v31 offset1:1
	ds_read2_b32 v[68:69], v35 offset1:1
	global_store_dword v[28:29], v23, off
	v_mov_b32_e32 v28, s6
	s_add_i32 s6, s5, s11
	v_mov_b32_e32 v30, s6
	s_add_i32 s6, s5, s12
	;; [unrolled: 2-line block ×3, first 2 shown]
	global_store_dword v[45:46], v25, off
	v_mov_b32_e32 v36, s6
	s_waitcnt lgkmcnt(1)
	v_fma_f32 v21, -v5, v67, v21
	ds_read2_b32 v[28:29], v28 offset1:1
	ds_read2_b32 v[30:31], v30 offset1:1
	;; [unrolled: 1-line block ×4, first 2 shown]
	s_waitcnt lgkmcnt(4)
	v_fma_f32 v21, -v0, v69, v21
	s_add_i32 s6, s5, s14
	s_waitcnt lgkmcnt(3)
	v_fma_f32 v21, -v1, v29, v21
	v_mov_b32_e32 v29, s6
	s_add_i32 s6, s5, s15
	s_waitcnt lgkmcnt(2)
	v_fma_f32 v21, -v6, v31, v21
	v_mov_b32_e32 v31, s6
	;; [unrolled: 4-line block ×3, first 2 shown]
	s_add_i32 s6, s5, s17
	s_waitcnt lgkmcnt(0)
	v_fma_f32 v21, -v8, v37, v21
	ds_read2_b32 v[37:38], v29 offset1:1
	ds_read2_b32 v[39:40], v31 offset1:1
	;; [unrolled: 1-line block ×3, first 2 shown]
	v_mov_b32_e32 v29, s6
	ds_read2_b32 v[43:44], v29 offset1:1
	s_add_i32 s6, s5, s20
	v_fma_f32 v18, -v5, v66, v18
	v_mov_b32_e32 v29, s6
	s_add_i32 s6, s5, s21
	v_fma_f32 v18, -v0, v68, v18
	s_waitcnt lgkmcnt(3)
	v_fma_f32 v21, -v10, v38, v21
	v_mov_b32_e32 v31, s6
	s_add_i32 s6, s5, s22
	v_fma_f32 v18, -v1, v28, v18
	s_waitcnt lgkmcnt(2)
	;; [unrolled: 5-line block ×3, first 2 shown]
	v_fma_f32 v21, -v14, v42, v21
	v_mov_b32_e32 v38, s6
	ds_read2_b32 v[47:48], v29 offset1:1
	ds_read2_b32 v[49:50], v31 offset1:1
	;; [unrolled: 1-line block ×4, first 2 shown]
	v_fma_f32 v18, -v7, v34, v18
	s_sub_i32 s2, s0, 20
	s_waitcnt lgkmcnt(4)
	v_fma_f32 v21, -v13, v44, v21
	v_fma_f32 v18, -v8, v36, v18
	s_lshl_b64 s[6:7], s[2:3], 2
	s_waitcnt lgkmcnt(3)
	v_fma_f32 v21, -v15, v48, v21
	v_fma_f32 v18, -v10, v37, v18
	v_add_co_u32_e32 v45, vcc, s6, v32
	s_waitcnt lgkmcnt(2)
	v_fma_f32 v21, -v16, v50, v21
	s_add_i32 s6, s5, s24
	v_fma_f32 v18, -v11, v39, v18
	v_mov_b32_e32 v40, s7
	s_waitcnt lgkmcnt(1)
	v_fma_f32 v21, -v19, v52, v21
	s_add_i32 s7, s5, s25
	s_add_i32 s30, s5, s27
	;; [unrolled: 1-line block ×3, first 2 shown]
	v_mov_b32_e32 v29, s6
	v_fma_f32 v18, -v14, v41, v18
	s_waitcnt lgkmcnt(0)
	v_fma_f32 v21, -v20, v54, v21
	v_mov_b32_e32 v31, s7
	v_mov_b32_e32 v35, s30
	;; [unrolled: 1-line block ×3, first 2 shown]
	ds_read2_b32 v[54:55], v29 offset1:1
	ds_read2_b32 v[56:57], v31 offset1:1
	;; [unrolled: 1-line block ×4, first 2 shown]
	v_fma_f32 v18, -v13, v43, v18
	v_fma_f32 v18, -v15, v47, v18
	s_waitcnt lgkmcnt(3)
	v_fma_f32 v21, -v22, v55, v21
	s_lshl_b32 s7, s2, 7
	s_lshl_b32 s30, s4, 7
	v_fma_f32 v18, -v16, v49, v18
	s_waitcnt lgkmcnt(2)
	v_fma_f32 v21, -v24, v57, v21
	s_add_i32 s6, s5, s28
	s_add_i32 s31, s5, s29
	;; [unrolled: 1-line block ×4, first 2 shown]
	v_fma_f32 v18, -v19, v51, v18
	s_waitcnt lgkmcnt(1)
	v_fma_f32 v21, -v26, v59, v21
	v_mov_b32_e32 v29, s5
	v_mov_b32_e32 v31, s6
	v_fma_f32 v18, -v20, v53, v18
	s_waitcnt lgkmcnt(0)
	v_fma_f32 v21, -v27, v61, v21
	ds_read_b32 v29, v29
	v_mov_b32_e32 v35, s31
	v_mov_b32_e32 v38, s2
	ds_read2_b32 v[61:62], v31 offset1:1
	ds_read2_b32 v[63:64], v35 offset1:1
	;; [unrolled: 1-line block ×3, first 2 shown]
	v_fma_f32 v18, -v22, v54, v18
	v_fma_f32 v18, -v24, v56, v18
	;; [unrolled: 1-line block ×3, first 2 shown]
	s_waitcnt lgkmcnt(2)
	v_fma_f32 v21, -v25, v62, v21
	v_fma_f32 v18, -v27, v60, v18
	s_waitcnt lgkmcnt(1)
	v_fma_f32 v21, -v23, v64, v21
	v_fma_f32 v18, -v25, v61, v18
	s_mov_b32 s5, s3
	v_addc_co_u32_e32 v46, vcc, v33, v40, vcc
	s_waitcnt lgkmcnt(0)
	v_mul_f32_e32 v21, v21, v70
	v_fma_f32 v18, -v23, v63, v18
	s_lshl_b64 s[4:5], s[4:5], 2
	v_fma_f32 v18, -v21, v69, v18
	v_add_co_u32_e32 v28, vcc, s4, v32
	s_sub_i32 s4, s0, 23
	v_mul_f32_e32 v18, v18, v29
	v_mov_b32_e32 v29, s5
	s_lshl_b32 s5, s4, 2
	v_addc_co_u32_e32 v29, vcc, v33, v29, vcc
	s_add_i32 s2, s5, s9
	global_store_dword v[28:29], v18, off
	v_mov_b32_e32 v28, s2
	s_add_i32 s2, s5, s10
	v_mov_b32_e32 v30, s2
	s_add_i32 s2, s5, s1
	;; [unrolled: 2-line block ×3, first 2 shown]
	global_store_dword v[45:46], v21, off
	v_mov_b32_e32 v36, s2
	ds_read2_b32 v[28:29], v28 offset1:1
	ds_read2_b32 v[30:31], v30 offset1:1
	;; [unrolled: 1-line block ×4, first 2 shown]
	s_add_i32 s6, s5, s12
	s_waitcnt lgkmcnt(3)
	v_fma_f32 v17, -v5, v29, v17
	v_mov_b32_e32 v29, s6
	s_add_i32 s6, s5, s13
	s_waitcnt lgkmcnt(2)
	v_fma_f32 v17, -v0, v31, v17
	v_mov_b32_e32 v31, s6
	;; [unrolled: 4-line block ×3, first 2 shown]
	s_add_i32 s6, s5, s15
	s_waitcnt lgkmcnt(0)
	v_fma_f32 v17, -v6, v37, v17
	ds_read2_b32 v[37:38], v29 offset1:1
	ds_read2_b32 v[39:40], v31 offset1:1
	ds_read2_b32 v[41:42], v35 offset1:1
	v_mov_b32_e32 v29, s6
	ds_read2_b32 v[43:44], v29 offset1:1
	s_add_i32 s6, s5, s16
	v_mov_b32_e32 v29, s6
	s_add_i32 s6, s5, s17
	s_waitcnt lgkmcnt(3)
	v_fma_f32 v17, -v7, v38, v17
	v_mov_b32_e32 v31, s6
	s_add_i32 s6, s5, s20
	s_waitcnt lgkmcnt(2)
	v_fma_f32 v17, -v8, v40, v17
	;; [unrolled: 4-line block ×3, first 2 shown]
	v_mov_b32_e32 v38, s6
	ds_read2_b32 v[45:46], v29 offset1:1
	ds_read2_b32 v[47:48], v31 offset1:1
	;; [unrolled: 1-line block ×4, first 2 shown]
	v_fma_f32 v12, -v5, v28, v12
	s_waitcnt lgkmcnt(4)
	v_fma_f32 v17, -v11, v44, v17
	v_fma_f32 v12, -v0, v30, v12
	s_waitcnt lgkmcnt(3)
	v_fma_f32 v17, -v14, v46, v17
	s_add_i32 s6, s5, s22
	v_fma_f32 v12, -v1, v34, v12
	s_sub_i32 s2, s0, 22
	s_waitcnt lgkmcnt(2)
	v_fma_f32 v17, -v13, v48, v17
	v_mov_b32_e32 v29, s6
	s_add_i32 s6, s5, s23
	v_fma_f32 v12, -v6, v36, v12
	s_waitcnt lgkmcnt(1)
	v_fma_f32 v17, -v15, v50, v17
	v_mov_b32_e32 v31, s6
	s_add_i32 s6, s5, s24
	s_lshl_b64 s[34:35], s[2:3], 2
	v_fma_f32 v12, -v7, v37, v12
	s_waitcnt lgkmcnt(0)
	v_fma_f32 v17, -v16, v52, v17
	v_mov_b32_e32 v35, s6
	s_add_i32 s6, s5, s25
	v_mov_b32_e32 v38, s35
	v_add_co_u32_e32 v52, vcc, s34, v32
	v_fma_f32 v12, -v8, v39, v12
	v_addc_co_u32_e32 v53, vcc, v33, v38, vcc
	v_mov_b32_e32 v38, s6
	ds_read2_b32 v[54:55], v29 offset1:1
	ds_read2_b32 v[56:57], v31 offset1:1
	;; [unrolled: 1-line block ×4, first 2 shown]
	v_fma_f32 v12, -v10, v41, v12
	v_fma_f32 v12, -v11, v43, v12
	s_waitcnt lgkmcnt(3)
	v_fma_f32 v17, -v19, v55, v17
	v_fma_f32 v12, -v14, v45, v12
	s_waitcnt lgkmcnt(2)
	v_fma_f32 v17, -v20, v57, v17
	s_add_i32 s6, s5, s27
	v_fma_f32 v12, -v13, v47, v12
	s_waitcnt lgkmcnt(1)
	v_fma_f32 v17, -v22, v59, v17
	s_add_i32 s31, s5, s26
	s_add_i32 s33, s5, s28
	;; [unrolled: 1-line block ×3, first 2 shown]
	v_mov_b32_e32 v29, s6
	v_fma_f32 v12, -v15, v49, v12
	s_waitcnt lgkmcnt(0)
	v_fma_f32 v17, -v24, v61, v17
	v_mov_b32_e32 v31, s31
	v_mov_b32_e32 v35, s33
	;; [unrolled: 1-line block ×3, first 2 shown]
	ds_read2_b32 v[61:62], v29 offset1:1
	ds_read2_b32 v[63:64], v31 offset1:1
	;; [unrolled: 1-line block ×4, first 2 shown]
	v_fma_f32 v12, -v16, v51, v12
	v_fma_f32 v12, -v19, v54, v12
	s_waitcnt lgkmcnt(3)
	v_fma_f32 v17, -v26, v62, v17
	s_lshl_b32 s31, s2, 7
	s_lshl_b32 s33, s4, 7
	v_fma_f32 v12, -v20, v56, v12
	s_waitcnt lgkmcnt(2)
	v_fma_f32 v17, -v27, v64, v17
	s_add_i32 s6, s5, s7
	s_add_i32 s34, s5, s30
	;; [unrolled: 1-line block ×4, first 2 shown]
	v_fma_f32 v12, -v22, v58, v12
	s_waitcnt lgkmcnt(1)
	v_fma_f32 v17, -v25, v66, v17
	v_mov_b32_e32 v29, s5
	v_mov_b32_e32 v31, s6
	v_fma_f32 v12, -v24, v60, v12
	s_waitcnt lgkmcnt(0)
	v_fma_f32 v17, -v23, v68, v17
	ds_read_b32 v29, v29
	v_mov_b32_e32 v35, s34
	v_mov_b32_e32 v38, s2
	ds_read2_b32 v[68:69], v31 offset1:1
	ds_read2_b32 v[70:71], v35 offset1:1
	;; [unrolled: 1-line block ×3, first 2 shown]
	v_fma_f32 v12, -v26, v61, v12
	v_fma_f32 v12, -v27, v63, v12
	;; [unrolled: 1-line block ×3, first 2 shown]
	s_waitcnt lgkmcnt(2)
	v_fma_f32 v17, -v21, v69, v17
	v_fma_f32 v12, -v23, v67, v12
	s_waitcnt lgkmcnt(1)
	v_fma_f32 v17, -v18, v71, v17
	v_fma_f32 v12, -v21, v68, v12
	s_mov_b32 s5, s3
	s_waitcnt lgkmcnt(0)
	v_mul_f32_e32 v17, v17, v73
	v_fma_f32 v12, -v18, v70, v12
	s_lshl_b64 s[4:5], s[4:5], 2
	v_fma_f32 v12, -v17, v72, v12
	v_add_co_u32_e32 v28, vcc, s4, v32
	s_sub_i32 s4, s0, 25
	v_mul_f32_e32 v81, v12, v29
	v_mov_b32_e32 v12, s5
	s_lshl_b32 s5, s4, 2
	s_add_i32 s2, s5, s9
	v_addc_co_u32_e32 v29, vcc, v33, v12, vcc
	v_mov_b32_e32 v12, s2
	s_add_i32 s2, s5, s10
	v_mov_b32_e32 v30, s2
	s_add_i32 s2, s5, s1
	;; [unrolled: 2-line block ×3, first 2 shown]
	global_store_dword v[52:53], v17, off
	global_store_dword v[28:29], v81, off
	v_mov_b32_e32 v36, s2
	ds_read2_b32 v[28:29], v12 offset1:1
	ds_read2_b32 v[30:31], v30 offset1:1
	;; [unrolled: 1-line block ×4, first 2 shown]
	s_add_i32 s6, s5, s12
	s_waitcnt lgkmcnt(3)
	v_fma_f32 v9, -v5, v29, v9
	v_mov_b32_e32 v12, s6
	s_add_i32 s6, s5, s13
	s_waitcnt lgkmcnt(2)
	v_fma_f32 v9, -v0, v31, v9
	v_mov_b32_e32 v29, s6
	;; [unrolled: 4-line block ×3, first 2 shown]
	s_add_i32 s6, s5, s15
	s_waitcnt lgkmcnt(0)
	v_fma_f32 v9, -v6, v37, v9
	ds_read2_b32 v[37:38], v12 offset1:1
	ds_read2_b32 v[39:40], v29 offset1:1
	;; [unrolled: 1-line block ×3, first 2 shown]
	v_mov_b32_e32 v12, s6
	ds_read2_b32 v[43:44], v12 offset1:1
	s_add_i32 s6, s5, s16
	v_mov_b32_e32 v12, s6
	s_add_i32 s6, s5, s17
	s_waitcnt lgkmcnt(3)
	v_fma_f32 v9, -v7, v38, v9
	v_mov_b32_e32 v29, s6
	s_add_i32 s6, s5, s20
	s_waitcnt lgkmcnt(2)
	v_fma_f32 v9, -v8, v40, v9
	;; [unrolled: 4-line block ×3, first 2 shown]
	v_mov_b32_e32 v35, s6
	ds_read2_b32 v[45:46], v12 offset1:1
	ds_read2_b32 v[47:48], v29 offset1:1
	;; [unrolled: 1-line block ×4, first 2 shown]
	s_waitcnt lgkmcnt(4)
	v_fma_f32 v9, -v11, v44, v9
	s_waitcnt lgkmcnt(3)
	v_fma_f32 v9, -v14, v46, v9
	s_add_i32 s6, s5, s22
	s_sub_i32 s2, s0, 24
	s_waitcnt lgkmcnt(2)
	v_fma_f32 v9, -v13, v48, v9
	v_mov_b32_e32 v12, s6
	s_add_i32 s6, s5, s23
	v_fma_f32 v4, -v5, v28, v4
	s_waitcnt lgkmcnt(1)
	v_fma_f32 v9, -v15, v50, v9
	v_mov_b32_e32 v29, s6
	s_add_i32 s6, s5, s24
	s_lshl_b64 s[34:35], s[2:3], 2
	v_fma_f32 v4, -v0, v30, v4
	s_waitcnt lgkmcnt(0)
	v_fma_f32 v9, -v16, v52, v9
	v_mov_b32_e32 v31, s6
	s_add_i32 s6, s5, s25
	v_mov_b32_e32 v35, s35
	v_add_co_u32_e32 v52, vcc, s34, v32
	v_fma_f32 v4, -v1, v34, v4
	v_addc_co_u32_e32 v53, vcc, v33, v35, vcc
	v_mov_b32_e32 v35, s6
	ds_read2_b32 v[54:55], v12 offset1:1
	ds_read2_b32 v[56:57], v29 offset1:1
	ds_read2_b32 v[58:59], v31 offset1:1
	ds_read2_b32 v[60:61], v35 offset1:1
	v_fma_f32 v4, -v6, v36, v4
	v_fma_f32 v4, -v7, v37, v4
	s_waitcnt lgkmcnt(3)
	v_fma_f32 v9, -v19, v55, v9
	v_fma_f32 v4, -v8, v39, v4
	s_waitcnt lgkmcnt(2)
	v_fma_f32 v9, -v20, v57, v9
	s_add_i32 s6, s5, s27
	v_fma_f32 v4, -v10, v41, v4
	s_waitcnt lgkmcnt(1)
	v_fma_f32 v9, -v22, v59, v9
	s_add_i32 s34, s5, s26
	s_add_i32 s35, s5, s28
	;; [unrolled: 1-line block ×3, first 2 shown]
	v_mov_b32_e32 v12, s6
	v_fma_f32 v4, -v11, v43, v4
	s_waitcnt lgkmcnt(0)
	v_fma_f32 v9, -v24, v61, v9
	v_mov_b32_e32 v29, s34
	v_mov_b32_e32 v31, s35
	;; [unrolled: 1-line block ×3, first 2 shown]
	ds_read2_b32 v[61:62], v12 offset1:1
	ds_read2_b32 v[63:64], v29 offset1:1
	;; [unrolled: 1-line block ×4, first 2 shown]
	v_fma_f32 v4, -v14, v45, v4
	v_fma_f32 v4, -v13, v47, v4
	s_waitcnt lgkmcnt(3)
	v_fma_f32 v9, -v26, v62, v9
	v_fma_f32 v4, -v15, v49, v4
	s_waitcnt lgkmcnt(2)
	v_fma_f32 v9, -v27, v64, v9
	s_add_i32 s6, s5, s7
	v_fma_f32 v4, -v16, v51, v4
	s_waitcnt lgkmcnt(1)
	v_fma_f32 v9, -v25, v66, v9
	s_add_i32 s34, s5, s30
	s_add_i32 s35, s5, s31
	;; [unrolled: 1-line block ×3, first 2 shown]
	v_mov_b32_e32 v12, s6
	v_fma_f32 v4, -v19, v54, v4
	s_waitcnt lgkmcnt(0)
	v_fma_f32 v9, -v23, v68, v9
	v_mov_b32_e32 v29, s34
	v_mov_b32_e32 v31, s35
	;; [unrolled: 1-line block ×3, first 2 shown]
	ds_read2_b32 v[68:69], v12 offset1:1
	ds_read2_b32 v[70:71], v29 offset1:1
	;; [unrolled: 1-line block ×4, first 2 shown]
	v_fma_f32 v4, -v20, v56, v4
	v_fma_f32 v4, -v22, v58, v4
	s_waitcnt lgkmcnt(3)
	v_fma_f32 v9, -v21, v69, v9
	s_lshl_b32 s35, s2, 7
	s_mul_i32 s34, s0, 0x84
	v_fma_f32 v4, -v24, v60, v4
	s_waitcnt lgkmcnt(2)
	v_fma_f32 v9, -v18, v71, v9
	s_add_i32 s2, s5, s35
	s_add_i32 s5, s34, 0xfffff31c
	s_sub_i32 s6, s0, 27
	v_fma_f32 v4, -v26, v61, v4
	s_waitcnt lgkmcnt(1)
	v_fma_f32 v9, -v17, v73, v9
	v_mov_b32_e32 v12, s5
	s_lshl_b32 s36, s6, 2
	v_mov_b32_e32 v29, s2
	v_fma_f32 v4, -v27, v63, v4
	s_waitcnt lgkmcnt(0)
	v_fma_f32 v9, -v81, v75, v9
	ds_read_b32 v12, v12
	ds_read2_b32 v[75:76], v29 offset1:1
	s_add_i32 s5, s36, s9
	v_fma_f32 v4, -v25, v65, v4
	s_add_i32 s9, s36, s10
	v_mov_b32_e32 v29, s5
	v_fma_f32 v4, -v23, v67, v4
	v_mov_b32_e32 v31, s9
	ds_read2_b32 v[77:78], v29 offset1:1
	ds_read2_b32 v[79:80], v31 offset1:1
	v_fma_f32 v4, -v21, v68, v4
	v_fma_f32 v4, -v18, v70, v4
	;; [unrolled: 1-line block ×3, first 2 shown]
	s_waitcnt lgkmcnt(2)
	v_mul_f32_e32 v57, v9, v76
	v_fma_f32 v4, -v81, v74, v4
	s_mov_b32 s5, s3
	v_fma_f32 v4, -v57, v75, v4
	s_lshl_b64 s[38:39], s[4:5], 2
	s_waitcnt lgkmcnt(1)
	v_fma_f32 v3, -v5, v78, v3
	s_add_i32 s1, s36, s1
	v_mul_f32_e32 v58, v4, v12
	v_mov_b32_e32 v4, s39
	v_add_co_u32_e32 v28, vcc, s38, v32
	s_waitcnt lgkmcnt(0)
	v_fma_f32 v9, -v0, v80, v3
	v_mov_b32_e32 v3, s1
	s_add_i32 s1, s36, s11
	v_addc_co_u32_e32 v29, vcc, v33, v4, vcc
	v_mov_b32_e32 v12, s1
	s_add_i32 s1, s36, s12
	global_store_dword v[52:53], v57, off
	global_store_dword v[28:29], v58, off
	v_mov_b32_e32 v30, s1
	ds_read2_b32 v[3:4], v3 offset1:1
	ds_read2_b32 v[28:29], v12 offset1:1
	;; [unrolled: 1-line block ×3, first 2 shown]
	s_add_i32 s1, s36, s13
	v_mov_b32_e32 v12, s1
	ds_read2_b32 v[34:35], v12 offset1:1
	s_add_i32 s1, s36, s14
	s_waitcnt lgkmcnt(3)
	v_fma_f32 v4, -v1, v4, v9
	v_mov_b32_e32 v9, s1
	s_add_i32 s1, s36, s15
	v_mov_b32_e32 v12, s1
	s_add_i32 s1, s36, s16
	s_waitcnt lgkmcnt(2)
	v_fma_f32 v4, -v6, v29, v4
	v_mov_b32_e32 v29, s1
	s_add_i32 s1, s36, s17
	s_waitcnt lgkmcnt(1)
	v_fma_f32 v4, -v7, v31, v4
	v_mov_b32_e32 v31, s1
	ds_read2_b32 v[36:37], v9 offset1:1
	ds_read2_b32 v[38:39], v12 offset1:1
	;; [unrolled: 1-line block ×4, first 2 shown]
	s_waitcnt lgkmcnt(4)
	v_fma_f32 v4, -v8, v35, v4
	s_waitcnt lgkmcnt(3)
	v_fma_f32 v4, -v10, v37, v4
	s_add_i32 s1, s36, s20
	s_waitcnt lgkmcnt(2)
	v_fma_f32 v4, -v11, v39, v4
	v_mov_b32_e32 v9, s1
	s_add_i32 s1, s36, s21
	s_waitcnt lgkmcnt(1)
	v_fma_f32 v4, -v14, v41, v4
	v_mov_b32_e32 v12, s1
	;; [unrolled: 4-line block ×3, first 2 shown]
	ds_read2_b32 v[43:44], v9 offset1:1
	ds_read2_b32 v[45:46], v12 offset1:1
	;; [unrolled: 1-line block ×3, first 2 shown]
	s_add_i32 s1, s36, s23
	v_mov_b32_e32 v9, s1
	s_waitcnt lgkmcnt(2)
	v_fma_f32 v4, -v15, v44, v4
	ds_read2_b32 v[49:50], v9 offset1:1
	s_waitcnt lgkmcnt(2)
	v_fma_f32 v4, -v16, v46, v4
	s_add_i32 s1, s36, s24
	s_waitcnt lgkmcnt(1)
	v_fma_f32 v9, -v19, v48, v4
	v_mov_b32_e32 v4, s1
	s_add_i32 s1, s36, s25
	v_mov_b32_e32 v12, s1
	s_add_i32 s1, s36, s27
	;; [unrolled: 2-line block ×3, first 2 shown]
	v_fma_f32 v2, -v5, v77, v2
	v_mov_b32_e32 v31, s1
	ds_read2_b32 v[4:5], v4 offset1:1
	ds_read2_b32 v[51:52], v12 offset1:1
	;; [unrolled: 1-line block ×4, first 2 shown]
	v_fma_f32 v0, -v0, v79, v2
	s_waitcnt lgkmcnt(4)
	v_fma_f32 v2, -v20, v50, v9
	s_waitcnt lgkmcnt(3)
	;; [unrolled: 2-line block ×3, first 2 shown]
	v_fma_f32 v2, -v24, v52, v2
	s_add_i32 s1, s36, s28
	s_waitcnt lgkmcnt(1)
	v_fma_f32 v2, -v26, v54, v2
	v_fma_f32 v0, -v1, v3, v0
	v_mov_b32_e32 v1, s1
	s_add_i32 s1, s36, s29
	s_waitcnt lgkmcnt(0)
	v_fma_f32 v9, -v27, v56, v2
	v_mov_b32_e32 v2, s1
	s_add_i32 s1, s36, s7
	v_mov_b32_e32 v5, s1
	v_fma_f32 v12, -v6, v28, v0
	ds_read2_b32 v[0:1], v1 offset1:1
	ds_read2_b32 v[2:3], v2 offset1:1
	;; [unrolled: 1-line block ×3, first 2 shown]
	s_add_i32 s1, s36, s30
	v_fma_f32 v7, -v7, v30, v12
	v_mov_b32_e32 v12, s1
	s_waitcnt lgkmcnt(2)
	v_fma_f32 v1, -v25, v1, v9
	s_add_i32 s1, s36, s31
	s_waitcnt lgkmcnt(1)
	v_fma_f32 v1, -v23, v3, v1
	v_mov_b32_e32 v3, s1
	s_add_i32 s1, s36, s33
	ds_read2_b32 v[28:29], v12 offset1:1
	s_waitcnt lgkmcnt(1)
	v_fma_f32 v1, -v21, v6, v1
	v_fma_f32 v6, -v8, v34, v7
	v_mov_b32_e32 v8, s1
	s_add_i32 s1, s36, s35
	v_mov_b32_e32 v12, s1
	s_lshl_b32 s1, s4, 7
	s_add_i32 s1, s36, s1
	v_mov_b32_e32 v30, s1
	v_fma_f32 v6, -v10, v36, v6
	s_sub_i32 s2, s0, 26
	v_fma_f32 v34, -v11, v38, v6
	ds_read2_b32 v[6:7], v3 offset1:1
	ds_read2_b32 v[8:9], v8 offset1:1
	;; [unrolled: 1-line block ×4, first 2 shown]
	s_waitcnt lgkmcnt(4)
	v_fma_f32 v1, -v18, v29, v1
	s_lshl_b32 s1, s2, 7
	s_waitcnt lgkmcnt(3)
	v_fma_f32 v1, -v17, v7, v1
	s_add_i32 s1, s36, s1
	s_waitcnt lgkmcnt(2)
	v_fma_f32 v1, -v81, v9, v1
	v_mov_b32_e32 v3, s1
	s_waitcnt lgkmcnt(1)
	v_fma_f32 v1, -v57, v11, v1
	ds_read2_b32 v[11:12], v3 offset1:1
	v_fma_f32 v3, -v14, v40, v34
	v_fma_f32 v3, -v13, v42, v3
	;; [unrolled: 1-line block ×11, first 2 shown]
	s_lshl_b64 s[4:5], s[2:3], 2
	v_fma_f32 v0, -v23, v2, v0
	v_mov_b32_e32 v7, s5
	v_add_co_u32_e32 v34, vcc, s4, v32
	s_add_i32 s1, s34, 0xfffff214
	v_fma_f32 v0, -v21, v5, v0
	v_addc_co_u32_e32 v35, vcc, v33, v7, vcc
	v_mov_b32_e32 v7, s1
	v_fma_f32 v0, -v18, v28, v0
	ds_read_b32 v7, v7
	v_fma_f32 v0, -v17, v6, v0
	v_fma_f32 v0, -v81, v8, v0
	s_waitcnt lgkmcnt(2)
	v_fma_f32 v1, -v58, v31, v1
	v_fma_f32 v0, -v57, v10, v0
	s_waitcnt lgkmcnt(1)
	v_mul_f32_e32 v1, v1, v12
	v_fma_f32 v0, -v58, v30, v0
	s_mov_b32 s7, s3
	v_fma_f32 v0, -v1, v11, v0
	s_lshl_b64 s[2:3], s[6:7], 2
	global_store_dword v[34:35], v1, off
	s_waitcnt lgkmcnt(0)
	v_mul_f32_e32 v2, v0, v7
	v_mov_b32_e32 v1, s3
	v_add_co_u32_e32 v0, vcc, s2, v32
	v_addc_co_u32_e32 v1, vcc, v33, v1, vcc
	s_sub_i32 s0, s0, 28
	global_store_dword v[0:1], v2, off
.LBB37_50:
	s_cmp_lt_i32 s0, 0
	s_cbranch_scc1 .LBB37_67
; %bb.51:
	s_and_b32 s1, s0, 3
	s_cmp_eq_u32 s1, 3
	s_mov_b32 s2, s0
	s_cbranch_scc1 .LBB37_56
; %bb.52:
	s_lshl_b32 s2, s19, 7
	s_lshl_b32 s3, s0, 2
	s_add_i32 s1, s0, 1
	s_add_i32 s2, s2, s3
	s_and_b32 s1, s1, 3
	s_add_i32 s6, s2, 0xffffff80
	s_mov_b32 s5, 0
	s_mov_b32 s2, s0
	;; [unrolled: 1-line block ×3, first 2 shown]
	s_branch .LBB37_54
.LBB37_53:                              ;   in Loop: Header=BB37_54 Depth=1
	s_mul_i32 s3, s2, 0x84
	v_mov_b32_e32 v3, s3
	ds_read_b32 v3, v3
	s_add_i32 s2, s2, -1
	s_add_i32 s7, s7, 1
	s_add_i32 s6, s6, -4
	s_cmp_lg_u32 s7, s1
	s_waitcnt lgkmcnt(0)
	v_mul_f32_e32 v2, v2, v3
	global_store_dword v[0:1], v2, off
	s_cbranch_scc0 .LBB37_56
.LBB37_54:                              ; =>This Loop Header: Depth=1
                                        ;     Child Loop BB37_55 Depth 2
	s_mov_b32 s3, s5
	s_lshl_b64 s[10:11], s[2:3], 2
	v_mov_b32_e32 v1, s11
	v_add_co_u32_e32 v0, vcc, s10, v32
	v_addc_co_u32_e32 v1, vcc, v33, v1, vcc
	global_load_dword v2, v[0:1], off
	s_mov_b32 s3, s6
	s_cmp_le_i32 s8, s2
	s_mov_b32 s4, s8
	s_waitcnt vmcnt(0)
	v_mul_f32_e32 v2, s18, v2
	s_cbranch_scc1 .LBB37_53
.LBB37_55:                              ;   Parent Loop BB37_54 Depth=1
                                        ; =>  This Inner Loop Header: Depth=2
	s_lshl_b64 s[10:11], s[4:5], 2
	v_mov_b32_e32 v4, s11
	v_add_co_u32_e32 v3, vcc, s10, v32
	v_addc_co_u32_e32 v4, vcc, v33, v4, vcc
	global_load_dword v3, v[3:4], off
	v_mov_b32_e32 v4, s3
	ds_read_b32 v4, v4
	s_add_i32 s4, s4, -1
	s_addk_i32 s3, 0xff80
	s_cmp_gt_i32 s4, s2
	s_waitcnt vmcnt(0) lgkmcnt(0)
	v_fma_f32 v2, -v3, v4, v2
	s_cbranch_scc1 .LBB37_55
	s_branch .LBB37_53
.LBB37_56:
	s_cmp_lt_u32 s0, 3
	s_cbranch_scc1 .LBB37_67
; %bb.57:
	s_lshl_b32 s0, s19, 7
	s_lshl_b32 s1, s2, 2
	s_add_i32 s0, s0, s1
	s_add_i32 s6, s0, 0xffffff80
	;; [unrolled: 1-line block ×5, first 2 shown]
	s_mov_b32 s1, 0
	s_branch .LBB37_59
.LBB37_58:                              ;   in Loop: Header=BB37_59 Depth=1
	s_add_i32 s0, s3, 0xffffff7c
	v_mov_b32_e32 v3, s0
	ds_read_b32 v3, v3
	s_add_i32 s0, s2, -4
	s_add_i32 s6, s6, -16
	;; [unrolled: 1-line block ×5, first 2 shown]
	s_waitcnt lgkmcnt(0)
	v_mul_f32_e32 v2, v2, v3
	s_cmp_lt_i32 s2, 4
	s_mov_b32 s2, s0
	global_store_dword v[0:1], v2, off
	s_cbranch_scc1 .LBB37_67
.LBB37_59:                              ; =>This Loop Header: Depth=1
                                        ;     Child Loop BB37_60 Depth 2
                                        ;     Child Loop BB37_62 Depth 2
	;; [unrolled: 1-line block ×4, first 2 shown]
	s_mov_b32 s3, s1
	s_lshl_b64 s[4:5], s[2:3], 2
	v_mov_b32_e32 v0, s5
	v_add_co_u32_e32 v2, vcc, s4, v32
	v_addc_co_u32_e32 v3, vcc, v33, v0, vcc
	global_load_dword v0, v[2:3], off
	s_mov_b32 s3, s6
	s_cmp_le_i32 s8, s2
	s_mov_b32 s0, s8
	s_waitcnt vmcnt(0)
	v_mul_f32_e32 v4, s18, v0
	s_cbranch_scc1 .LBB37_61
.LBB37_60:                              ;   Parent Loop BB37_59 Depth=1
                                        ; =>  This Inner Loop Header: Depth=2
	s_lshl_b64 s[4:5], s[0:1], 2
	v_mov_b32_e32 v1, s5
	v_add_co_u32_e32 v0, vcc, s4, v32
	v_addc_co_u32_e32 v1, vcc, v33, v1, vcc
	global_load_dword v0, v[0:1], off
	v_mov_b32_e32 v1, s3
	ds_read_b32 v1, v1
	s_add_i32 s0, s0, -1
	s_addk_i32 s3, 0xff80
	s_cmp_gt_i32 s0, s2
	s_waitcnt vmcnt(0) lgkmcnt(0)
	v_fma_f32 v4, -v0, v1, v4
	s_cbranch_scc1 .LBB37_60
.LBB37_61:                              ;   in Loop: Header=BB37_59 Depth=1
	s_add_i32 s0, s2, -1
	s_lshl_b64 s[4:5], s[0:1], 2
	v_mov_b32_e32 v1, s5
	v_add_co_u32_e32 v0, vcc, s4, v32
	v_addc_co_u32_e32 v1, vcc, v33, v1, vcc
	global_load_dword v5, v[0:1], off
	s_mul_i32 s3, s2, 0x84
	v_mov_b32_e32 v6, s3
	ds_read_b32 v6, v6
	s_mov_b32 s4, s7
	s_cmp_le_i32 s19, s2
	s_mov_b32 s0, s19
	s_waitcnt lgkmcnt(0)
	v_mul_f32_e32 v4, v4, v6
	global_store_dword v[2:3], v4, off
	s_waitcnt vmcnt(1)
	v_mul_f32_e32 v4, s18, v5
	s_cbranch_scc1 .LBB37_63
.LBB37_62:                              ;   Parent Loop BB37_59 Depth=1
                                        ; =>  This Inner Loop Header: Depth=2
	s_add_i32 s0, s0, -1
	s_lshl_b64 s[12:13], s[0:1], 2
	v_mov_b32_e32 v3, s13
	v_add_co_u32_e32 v2, vcc, s12, v32
	v_addc_co_u32_e32 v3, vcc, v33, v3, vcc
	global_load_dword v2, v[2:3], off
	v_mov_b32_e32 v3, s4
	ds_read_b32 v3, v3
	s_addk_i32 s4, 0xff80
	s_cmp_gt_i32 s0, s2
	s_waitcnt vmcnt(0) lgkmcnt(0)
	v_fma_f32 v4, -v2, v3, v4
	s_cbranch_scc1 .LBB37_62
.LBB37_63:                              ;   in Loop: Header=BB37_59 Depth=1
	s_add_i32 s4, s2, -2
	s_mov_b32 s5, s1
	s_lshl_b64 s[12:13], s[4:5], 2
	v_mov_b32_e32 v3, s13
	v_add_co_u32_e32 v2, vcc, s12, v32
	v_addc_co_u32_e32 v3, vcc, v33, v3, vcc
	global_load_dword v5, v[2:3], off
	s_addk_i32 s3, 0xff7c
	v_mov_b32_e32 v6, s3
	ds_read_b32 v6, v6
	s_mov_b32 s5, s9
	s_cmp_le_i32 s8, s4
	s_mov_b32 s0, s8
	s_waitcnt lgkmcnt(0)
	v_mul_f32_e32 v4, v4, v6
	global_store_dword v[0:1], v4, off
	s_waitcnt vmcnt(1)
	v_mul_f32_e32 v4, s18, v5
	s_cbranch_scc1 .LBB37_65
.LBB37_64:                              ;   Parent Loop BB37_59 Depth=1
                                        ; =>  This Inner Loop Header: Depth=2
	s_lshl_b64 s[12:13], s[0:1], 2
	v_mov_b32_e32 v1, s13
	v_add_co_u32_e32 v0, vcc, s12, v32
	v_addc_co_u32_e32 v1, vcc, v33, v1, vcc
	global_load_dword v0, v[0:1], off
	v_mov_b32_e32 v1, s5
	ds_read_b32 v1, v1
	s_add_i32 s0, s0, -1
	s_addk_i32 s5, 0xff80
	s_cmp_gt_i32 s0, s4
	s_waitcnt vmcnt(0) lgkmcnt(0)
	v_fma_f32 v4, -v0, v1, v4
	s_cbranch_scc1 .LBB37_64
.LBB37_65:                              ;   in Loop: Header=BB37_59 Depth=1
	s_add_i32 s4, s2, -3
	s_mov_b32 s5, s1
	s_lshl_b64 s[12:13], s[4:5], 2
	v_mov_b32_e32 v1, s13
	v_add_co_u32_e32 v0, vcc, s12, v32
	v_addc_co_u32_e32 v1, vcc, v33, v1, vcc
	global_load_dword v5, v[0:1], off
	s_addk_i32 s3, 0xff7c
	v_mov_b32_e32 v6, s3
	ds_read_b32 v6, v6
	s_mov_b32 s5, s10
	s_cmp_le_i32 s8, s4
	s_mov_b32 s0, s8
	s_waitcnt lgkmcnt(0)
	v_mul_f32_e32 v4, v4, v6
	global_store_dword v[2:3], v4, off
	s_waitcnt vmcnt(1)
	v_mul_f32_e32 v2, s18, v5
	s_cbranch_scc1 .LBB37_58
.LBB37_66:                              ;   Parent Loop BB37_59 Depth=1
                                        ; =>  This Inner Loop Header: Depth=2
	s_lshl_b64 s[12:13], s[0:1], 2
	v_mov_b32_e32 v4, s13
	v_add_co_u32_e32 v3, vcc, s12, v32
	v_addc_co_u32_e32 v4, vcc, v33, v4, vcc
	global_load_dword v3, v[3:4], off
	v_mov_b32_e32 v4, s5
	ds_read_b32 v4, v4
	s_add_i32 s0, s0, -1
	s_addk_i32 s5, 0xff80
	s_cmp_gt_i32 s0, s4
	s_waitcnt vmcnt(0) lgkmcnt(0)
	v_fma_f32 v2, -v3, v4, v2
	s_cbranch_scc1 .LBB37_66
	s_branch .LBB37_58
.LBB37_67:
	s_endpgm
	.section	.rodata,"a",@progbits
	.p2align	6, 0x0
	.amdhsa_kernel _ZL30rocblas_trsm_small_left_deviceILi32ELi32ELb0EffPKfPfEv13rocblas_fill_18rocblas_operation_17rocblas_diagonal_iiT3_T4_lilT5_lili
		.amdhsa_group_segment_fixed_size 4096
		.amdhsa_private_segment_fixed_size 0
		.amdhsa_kernarg_size 352
		.amdhsa_user_sgpr_count 6
		.amdhsa_user_sgpr_private_segment_buffer 1
		.amdhsa_user_sgpr_dispatch_ptr 0
		.amdhsa_user_sgpr_queue_ptr 0
		.amdhsa_user_sgpr_kernarg_segment_ptr 1
		.amdhsa_user_sgpr_dispatch_id 0
		.amdhsa_user_sgpr_flat_scratch_init 0
		.amdhsa_user_sgpr_private_segment_size 0
		.amdhsa_uses_dynamic_stack 0
		.amdhsa_system_sgpr_private_segment_wavefront_offset 0
		.amdhsa_system_sgpr_workgroup_id_x 1
		.amdhsa_system_sgpr_workgroup_id_y 0
		.amdhsa_system_sgpr_workgroup_id_z 1
		.amdhsa_system_sgpr_workgroup_info 0
		.amdhsa_system_vgpr_workitem_id 0
		.amdhsa_next_free_vgpr 82
		.amdhsa_next_free_sgpr 98
		.amdhsa_reserve_vcc 1
		.amdhsa_reserve_flat_scratch 0
		.amdhsa_float_round_mode_32 0
		.amdhsa_float_round_mode_16_64 0
		.amdhsa_float_denorm_mode_32 3
		.amdhsa_float_denorm_mode_16_64 3
		.amdhsa_dx10_clamp 1
		.amdhsa_ieee_mode 1
		.amdhsa_fp16_overflow 0
		.amdhsa_exception_fp_ieee_invalid_op 0
		.amdhsa_exception_fp_denorm_src 0
		.amdhsa_exception_fp_ieee_div_zero 0
		.amdhsa_exception_fp_ieee_overflow 0
		.amdhsa_exception_fp_ieee_underflow 0
		.amdhsa_exception_fp_ieee_inexact 0
		.amdhsa_exception_int_div_zero 0
	.end_amdhsa_kernel
	.section	.text._ZL30rocblas_trsm_small_left_deviceILi32ELi32ELb0EffPKfPfEv13rocblas_fill_18rocblas_operation_17rocblas_diagonal_iiT3_T4_lilT5_lili,"axG",@progbits,_ZL30rocblas_trsm_small_left_deviceILi32ELi32ELb0EffPKfPfEv13rocblas_fill_18rocblas_operation_17rocblas_diagonal_iiT3_T4_lilT5_lili,comdat
.Lfunc_end37:
	.size	_ZL30rocblas_trsm_small_left_deviceILi32ELi32ELb0EffPKfPfEv13rocblas_fill_18rocblas_operation_17rocblas_diagonal_iiT3_T4_lilT5_lili, .Lfunc_end37-_ZL30rocblas_trsm_small_left_deviceILi32ELi32ELb0EffPKfPfEv13rocblas_fill_18rocblas_operation_17rocblas_diagonal_iiT3_T4_lilT5_lili
                                        ; -- End function
	.set _ZL30rocblas_trsm_small_left_deviceILi32ELi32ELb0EffPKfPfEv13rocblas_fill_18rocblas_operation_17rocblas_diagonal_iiT3_T4_lilT5_lili.num_vgpr, 82
	.set _ZL30rocblas_trsm_small_left_deviceILi32ELi32ELb0EffPKfPfEv13rocblas_fill_18rocblas_operation_17rocblas_diagonal_iiT3_T4_lilT5_lili.num_agpr, 0
	.set _ZL30rocblas_trsm_small_left_deviceILi32ELi32ELb0EffPKfPfEv13rocblas_fill_18rocblas_operation_17rocblas_diagonal_iiT3_T4_lilT5_lili.numbered_sgpr, 40
	.set _ZL30rocblas_trsm_small_left_deviceILi32ELi32ELb0EffPKfPfEv13rocblas_fill_18rocblas_operation_17rocblas_diagonal_iiT3_T4_lilT5_lili.num_named_barrier, 0
	.set _ZL30rocblas_trsm_small_left_deviceILi32ELi32ELb0EffPKfPfEv13rocblas_fill_18rocblas_operation_17rocblas_diagonal_iiT3_T4_lilT5_lili.private_seg_size, 0
	.set _ZL30rocblas_trsm_small_left_deviceILi32ELi32ELb0EffPKfPfEv13rocblas_fill_18rocblas_operation_17rocblas_diagonal_iiT3_T4_lilT5_lili.uses_vcc, 1
	.set _ZL30rocblas_trsm_small_left_deviceILi32ELi32ELb0EffPKfPfEv13rocblas_fill_18rocblas_operation_17rocblas_diagonal_iiT3_T4_lilT5_lili.uses_flat_scratch, 0
	.set _ZL30rocblas_trsm_small_left_deviceILi32ELi32ELb0EffPKfPfEv13rocblas_fill_18rocblas_operation_17rocblas_diagonal_iiT3_T4_lilT5_lili.has_dyn_sized_stack, 0
	.set _ZL30rocblas_trsm_small_left_deviceILi32ELi32ELb0EffPKfPfEv13rocblas_fill_18rocblas_operation_17rocblas_diagonal_iiT3_T4_lilT5_lili.has_recursion, 0
	.set _ZL30rocblas_trsm_small_left_deviceILi32ELi32ELb0EffPKfPfEv13rocblas_fill_18rocblas_operation_17rocblas_diagonal_iiT3_T4_lilT5_lili.has_indirect_call, 0
	.section	.AMDGPU.csdata,"",@progbits
; Kernel info:
; codeLenInByte = 17368
; TotalNumSgprs: 44
; NumVgprs: 82
; ScratchSize: 0
; MemoryBound: 0
; FloatMode: 240
; IeeeMode: 1
; LDSByteSize: 4096 bytes/workgroup (compile time only)
; SGPRBlocks: 12
; VGPRBlocks: 20
; NumSGPRsForWavesPerEU: 102
; NumVGPRsForWavesPerEU: 82
; Occupancy: 3
; WaveLimiterHint : 0
; COMPUTE_PGM_RSRC2:SCRATCH_EN: 0
; COMPUTE_PGM_RSRC2:USER_SGPR: 6
; COMPUTE_PGM_RSRC2:TRAP_HANDLER: 0
; COMPUTE_PGM_RSRC2:TGID_X_EN: 1
; COMPUTE_PGM_RSRC2:TGID_Y_EN: 0
; COMPUTE_PGM_RSRC2:TGID_Z_EN: 1
; COMPUTE_PGM_RSRC2:TIDIG_COMP_CNT: 0
	.section	.text._ZL38rocblas_trsm_small_left_device_sharedBILi32ELi32ELb1EffPKfPfEv13rocblas_fill_18rocblas_operation_17rocblas_diagonal_iiT3_T4_lilT5_lili,"axG",@progbits,_ZL38rocblas_trsm_small_left_device_sharedBILi32ELi32ELb1EffPKfPfEv13rocblas_fill_18rocblas_operation_17rocblas_diagonal_iiT3_T4_lilT5_lili,comdat
	.globl	_ZL38rocblas_trsm_small_left_device_sharedBILi32ELi32ELb1EffPKfPfEv13rocblas_fill_18rocblas_operation_17rocblas_diagonal_iiT3_T4_lilT5_lili ; -- Begin function _ZL38rocblas_trsm_small_left_device_sharedBILi32ELi32ELb1EffPKfPfEv13rocblas_fill_18rocblas_operation_17rocblas_diagonal_iiT3_T4_lilT5_lili
	.p2align	8
	.type	_ZL38rocblas_trsm_small_left_device_sharedBILi32ELi32ELb1EffPKfPfEv13rocblas_fill_18rocblas_operation_17rocblas_diagonal_iiT3_T4_lilT5_lili,@function
_ZL38rocblas_trsm_small_left_device_sharedBILi32ELi32ELb1EffPKfPfEv13rocblas_fill_18rocblas_operation_17rocblas_diagonal_iiT3_T4_lilT5_lili: ; @_ZL38rocblas_trsm_small_left_device_sharedBILi32ELi32ELb1EffPKfPfEv13rocblas_fill_18rocblas_operation_17rocblas_diagonal_iiT3_T4_lilT5_lili
; %bb.0:
	s_load_dwordx4 s[8:11], s[4:5], 0x4
	s_load_dword s17, s[4:5], 0x14
	s_load_dwordx4 s[0:3], s[4:5], 0x30
	s_load_dwordx2 s[12:13], s[4:5], 0x40
	s_waitcnt lgkmcnt(0)
	s_min_i32 s16, s10, 32
	v_cmp_gt_i32_e32 vcc, s16, v0
	s_and_saveexec_b64 s[14:15], vcc
	s_cbranch_execz .LBB38_6
; %bb.1:
	s_load_dword s18, s[4:5], 0x28
	s_load_dwordx4 s[20:23], s[4:5], 0x18
	s_mul_i32 s1, s1, s7
	s_mul_hi_u32 s19, s0, s7
	s_add_i32 s1, s19, s1
	s_mul_i32 s0, s0, s7
	s_waitcnt lgkmcnt(0)
	s_ashr_i32 s19, s18, 31
	s_lshl_b64 s[0:1], s[0:1], 2
	s_add_u32 s20, s20, s0
	s_addc_u32 s21, s21, s1
	s_lshl_b64 s[0:1], s[22:23], 2
	s_add_u32 s0, s20, s0
	s_addc_u32 s1, s21, s1
	v_lshlrev_b32_e32 v3, 2, v0
	v_mov_b32_e32 v2, s1
	v_add_co_u32_e32 v1, vcc, s0, v3
	s_lshl_b64 s[0:1], s[18:19], 2
	v_addc_co_u32_e32 v2, vcc, 0, v2, vcc
	v_mov_b32_e32 v4, s1
	v_mov_b32_e32 v5, v3
	s_mov_b32 s1, s16
.LBB38_2:                               ; =>This Inner Loop Header: Depth=1
	global_load_dword v6, v[1:2], off
	v_add_co_u32_e32 v1, vcc, s0, v1
	s_add_i32 s1, s1, -1
	v_addc_co_u32_e32 v2, vcc, v2, v4, vcc
	s_cmp_eq_u32 s1, 0
	s_waitcnt vmcnt(0)
	ds_write_b32 v5, v6
	v_add_u32_e32 v5, 0x80, v5
	s_cbranch_scc0 .LBB38_2
; %bb.3:
	v_lshlrev_b32_e32 v1, 7, v0
	s_cmpk_lg_i32 s9, 0x84
	v_mov_b32_e32 v2, 1.0
	v_add_u32_e32 v1, v3, v1
	s_cbranch_scc0 .LBB38_5
; %bb.4:
	ds_read_b32 v2, v1
	s_waitcnt lgkmcnt(0)
	v_div_scale_f32 v3, s[0:1], v2, v2, 1.0
	v_div_scale_f32 v4, vcc, 1.0, v2, 1.0
	v_rcp_f32_e32 v5, v3
	v_fma_f32 v6, -v3, v5, 1.0
	v_fmac_f32_e32 v5, v6, v5
	v_mul_f32_e32 v6, v4, v5
	v_fma_f32 v7, -v3, v6, v4
	v_fmac_f32_e32 v6, v7, v5
	v_fma_f32 v3, -v3, v6, v4
	v_div_fmas_f32 v3, v3, v5, v6
	v_div_fixup_f32 v2, v3, v2, 1.0
.LBB38_5:
	ds_write_b32 v1, v2
.LBB38_6:
	s_or_b64 exec, exec, s[14:15]
	s_load_dword s0, s[4:5], 0x60
	s_load_dwordx2 s[18:19], s[4:5], 0x50
	s_load_dword s14, s[4:5], 0x48
	s_waitcnt lgkmcnt(0)
	s_mul_i32 s1, s19, s7
	s_mul_hi_u32 s5, s18, s7
	s_mul_i32 s4, s18, s7
	s_add_i32 s5, s5, s1
	s_lshl_b64 s[4:5], s[4:5], 2
	s_add_u32 s1, s2, s4
	s_addc_u32 s4, s3, s5
	s_lshl_b64 s[2:3], s[12:13], 2
	s_add_u32 s2, s1, s2
	s_addc_u32 s3, s4, s3
	s_lshl_b32 s4, s6, 5
	s_add_i32 s0, s0, -1
	s_sub_i32 s1, s11, s4
	s_cmp_ge_u32 s6, s0
	s_cselect_b32 s5, s1, 32
	s_mul_hi_i32 s1, s14, s4
	s_mul_i32 s0, s14, s4
	s_lshl_b64 s[0:1], s[0:1], 2
	s_add_u32 s12, s2, s0
	s_addc_u32 s13, s3, s1
	s_cmp_gt_i32 s10, 0
	v_cmp_gt_i32_e64 s[0:1], s5, v0
	s_cselect_b64 s[2:3], -1, 0
	s_and_b64 s[6:7], s[0:1], s[2:3]
	s_and_saveexec_b64 s[4:5], s[6:7]
	s_cbranch_execz .LBB38_9
; %bb.7:
	v_mad_i64_i32 v[1:2], s[6:7], s14, v0, 0
	v_mov_b32_e32 v3, s13
	s_mov_b32 s6, s16
	v_lshlrev_b64 v[1:2], 2, v[1:2]
	v_add_co_u32_e32 v1, vcc, s12, v1
	v_addc_co_u32_e32 v2, vcc, v3, v2, vcc
	v_mov_b32_e32 v3, 0x1000
	v_lshl_or_b32 v3, v0, 2, v3
.LBB38_8:                               ; =>This Inner Loop Header: Depth=1
	global_load_dword v4, v[1:2], off
	s_add_i32 s6, s6, -1
	v_add_co_u32_e32 v1, vcc, 4, v1
	v_addc_co_u32_e32 v2, vcc, 0, v2, vcc
	s_cmp_lg_u32 s6, 0
	s_waitcnt vmcnt(0)
	v_mul_f32_e32 v4, s17, v4
	ds_write_b32 v3, v4
	v_add_u32_e32 v3, 0x80, v3
	s_cbranch_scc1 .LBB38_8
.LBB38_9:
	s_or_b64 exec, exec, s[4:5]
	v_mov_b32_e32 v1, 0x1000
	s_cmpk_eq_i32 s8, 0x6f
	v_lshl_or_b32 v42, v0, 2, v1
	s_mov_b64 s[4:5], -1
	s_waitcnt lgkmcnt(0)
	; wave barrier
	s_cbranch_scc1 .LBB38_45
; %bb.10:
	s_add_i32 s11, s16, -1
	s_cmp_gt_i32 s10, 31
	s_cbranch_scc0 .LBB38_21
; %bb.11:
	v_add_u32_e32 v1, 0xc00, v42
	ds_read2_b32 v[2:3], v1 offset0:192 offset1:224
	ds_read2_b32 v[4:5], v1 offset0:128 offset1:160
	ds_read2_b32 v[6:7], v1 offset0:64 offset1:96
	ds_read2_b32 v[8:9], v1 offset1:32
	v_add_u32_e32 v1, 0x800, v42
	ds_read2_b32 v[10:11], v1 offset0:192 offset1:224
	ds_read2_b32 v[12:13], v1 offset0:128 offset1:160
	ds_read2_b32 v[14:15], v1 offset0:64 offset1:96
	ds_read2_b32 v[16:17], v1 offset1:32
	;; [unrolled: 5-line block ×3, first 2 shown]
	ds_read2_b32 v[26:27], v42 offset0:192 offset1:224
	ds_read2_b32 v[28:29], v42 offset0:128 offset1:160
	ds_read2_b32 v[30:31], v42 offset0:64 offset1:96
	ds_read2_b32 v[32:33], v42 offset1:32
	s_waitcnt lgkmcnt(14)
	v_mov_b32_e32 v1, v3
	v_mov_b32_e32 v3, v5
	s_waitcnt lgkmcnt(13)
	v_mov_b32_e32 v5, v7
	s_waitcnt lgkmcnt(12)
	;; [unrolled: 2-line block ×14, first 2 shown]
	v_mov_b32_e32 v31, v33
	s_movk_i32 s15, 0xffc
	s_mov_b64 s[4:5], 0
	s_movk_i32 s17, 0xf7c
.LBB38_12:                              ; =>This Loop Header: Depth=1
                                        ;     Child Loop BB38_14 Depth 2
                                        ;     Child Loop BB38_18 Depth 2
	s_cmp_eq_u32 s4, 0
	s_cbranch_scc1 .LBB38_16
; %bb.13:                               ;   in Loop: Header=BB38_12 Depth=1
	s_mov_b64 s[6:7], s[4:5]
	s_mov_b64 s[8:9], 0
	s_mov_b32 s7, s15
.LBB38_14:                              ;   Parent Loop BB38_12 Depth=1
                                        ; =>  This Inner Loop Header: Depth=2
	v_mov_b32_e32 v34, s7
	s_set_gpr_idx_on s8, gpr_idx(SRC0)
	v_mov_b32_e32 v33, v1
	s_set_gpr_idx_off
	ds_read_b32 v34, v34
	s_add_i32 s7, s7, -4
	s_add_u32 s8, s8, 1
	s_addc_u32 s9, s9, 0
	s_set_gpr_idx_on s4, gpr_idx(SRC0)
	v_mov_b32_e32 v35, v1
	s_set_gpr_idx_off
	s_cmp_eq_u32 s4, s8
	s_waitcnt lgkmcnt(0)
	v_fma_f32 v33, -v33, v34, v35
	s_set_gpr_idx_on s4, gpr_idx(DST)
	v_mov_b32_e32 v1, v33
	s_set_gpr_idx_off
	s_cbranch_scc0 .LBB38_14
; %bb.15:                               ;   in Loop: Header=BB38_12 Depth=1
	s_sub_i32 s7, 31, s4
	s_lshl_b32 s8, s7, 7
	s_mul_i32 s9, s7, 0x84
	s_branch .LBB38_17
.LBB38_16:                              ;   in Loop: Header=BB38_12 Depth=1
	s_movk_i32 s8, 0xf80
	s_movk_i32 s9, 0xffc
	s_mov_b64 s[6:7], 0
.LBB38_17:                              ;   in Loop: Header=BB38_12 Depth=1
	v_mov_b32_e32 v33, s9
	ds_read_b32 v33, v33
	s_set_gpr_idx_on s6, gpr_idx(SRC0)
	v_mov_b32_e32 v35, v1
	s_set_gpr_idx_off
	v_add_u32_e32 v34, s8, v42
	s_or_b32 s8, s4, 1
	s_add_u32 s9, s4, 1
	s_waitcnt lgkmcnt(0)
	v_mul_f32_e32 v33, v35, v33
	ds_write_b32 v34, v33
	s_set_gpr_idx_on s6, gpr_idx(DST)
	v_mov_b32_e32 v1, v33
	s_set_gpr_idx_off
	s_mov_b64 s[6:7], 0
	s_mov_b32 s18, s17
.LBB38_18:                              ;   Parent Loop BB38_12 Depth=1
                                        ; =>  This Inner Loop Header: Depth=2
	v_mov_b32_e32 v34, s18
	s_set_gpr_idx_on s6, gpr_idx(SRC0)
	v_mov_b32_e32 v33, v1
	s_set_gpr_idx_off
	ds_read_b32 v34, v34
	s_add_i32 s18, s18, -4
	s_add_u32 s6, s6, 1
	s_set_gpr_idx_on s8, gpr_idx(SRC0)
	v_mov_b32_e32 v35, v1
	s_set_gpr_idx_off
	s_addc_u32 s7, s7, 0
	s_waitcnt lgkmcnt(0)
	v_fma_f32 v33, -v33, v34, v35
	s_cmp_lg_u32 s9, s6
	s_set_gpr_idx_on s8, gpr_idx(DST)
	v_mov_b32_e32 v1, v33
	s_set_gpr_idx_off
	s_cbranch_scc1 .LBB38_18
; %bb.19:                               ;   in Loop: Header=BB38_12 Depth=1
	s_sub_i32 s6, 31, s8
	s_lshl_b32 s7, s6, 7
	s_lshl_b32 s6, s6, 2
	s_or_b32 s6, s7, s6
	v_mov_b32_e32 v34, s6
	ds_read_b32 v34, v34
	s_add_u32 s4, s4, 2
	s_addc_u32 s5, s5, 0
	s_addk_i32 s15, 0xff00
	s_addk_i32 s17, 0xff00
	v_add_u32_e32 v35, s7, v42
	s_waitcnt lgkmcnt(0)
	v_mul_f32_e32 v33, v33, v34
	s_cmp_eq_u32 s4, 32
	s_set_gpr_idx_on s8, gpr_idx(DST)
	v_mov_b32_e32 v1, v33
	s_set_gpr_idx_off
	ds_write_b32 v35, v33
	s_cbranch_scc0 .LBB38_12
; %bb.20:
	s_mov_b32 s4, -1
	s_cmp_gt_i32 s4, -1
	s_cbranch_scc1 .LBB38_22
	s_branch .LBB38_44
.LBB38_21:
	s_mov_b32 s4, s11
	s_cmp_gt_i32 s4, -1
	s_cbranch_scc0 .LBB38_44
.LBB38_22:
	s_cmp_lt_u32 s4, 27
	s_cbranch_scc1 .LBB38_27
; %bb.23:
	s_lshl_b32 s5, s4, 7
	v_add_u32_e32 v5, s5, v42
	v_add_u32_e32 v1, 0xffffff80, v5
	v_add_u32_e32 v8, 0xfffffe00, v5
	v_add_u32_e32 v9, 0xfffffd80, v5
	v_add_u32_e32 v12, 0xfffffc80, v5
	v_add_u32_e32 v2, 0xffffff00, v5
	v_add_u32_e32 v3, 0xfffffe80, v5
	v_add_u32_e32 v10, 0xfffffd00, v5
	ds_read_b32 v4, v5
	ds_read_b32 v29, v1
	ds_read_b32 v6, v2
	ds_read_b32 v7, v3
	ds_read_b32 v8, v8
	ds_read_b32 v9, v9
	ds_read_b32 v11, v10
	ds_read_b32 v12, v12
	v_add_u32_e32 v1, 0xfffffc00, v5
	v_add_u32_e32 v13, 0xfffffa00, v5
	v_add_u32_e32 v16, 0xfffff980, v5
	v_add_u32_e32 v2, 0xfffffb80, v5
	v_add_u32_e32 v3, 0xfffffb00, v5
	v_add_u32_e32 v10, 0xfffffa80, v5
	v_add_u32_e32 v19, 0xfffff900, v5
	v_add_u32_e32 v22, 0xfffff880, v5
	ds_read_b32 v14, v1
	ds_read_b32 v15, v2
	ds_read_b32 v17, v3
	ds_read_b32 v18, v10
	ds_read_b32 v20, v13
	ds_read_b32 v21, v16
	ds_read_b32 v23, v19
	ds_read_b32 v25, v22
	;; [unrolled: 16-line block ×3, first 2 shown]
	v_add_u32_e32 v1, 0xfffff400, v5
	v_add_u32_e32 v2, 0xfffff380, v5
	v_add_u32_e32 v30, 0xfffff300, v5
	v_add_u32_e32 v31, 0xfffff280, v5
	ds_read_b32 v10, v1
	ds_read_b32 v3, v2
	;; [unrolled: 1-line block ×4, first 2 shown]
	s_cmp_le_i32 s11, s4
	s_cbranch_scc1 .LBB38_26
; %bb.24:
	v_lshlrev_b32_e32 v30, 2, v0
	s_lshl_b32 s6, s16, 2
	v_lshl_or_b32 v30, s16, 7, v30
	s_add_i32 s5, s5, s6
	v_add_u32_e32 v30, 0xf80, v30
	s_addk_i32 s5, 0xf27c
	s_mov_b32 s6, s11
.LBB38_25:                              ; =>This Inner Loop Header: Depth=1
	v_mov_b32_e32 v37, s5
	v_add_u32_e32 v43, 0xc00, v37
	v_add_u32_e32 v51, 0x800, v37
	;; [unrolled: 1-line block ×3, first 2 shown]
	ds_read_b32 v41, v30
	ds_read2_b32 v[31:32], v37 offset0:192 offset1:224
	ds_read2_b32 v[33:34], v37 offset0:128 offset1:160
	;; [unrolled: 1-line block ×3, first 2 shown]
	ds_read2_b32 v[37:38], v37 offset1:32
	ds_read2_b32 v[39:40], v43 offset0:64 offset1:96
	ds_read2_b32 v[43:44], v43 offset1:32
	ds_read2_b32 v[45:46], v51 offset0:192 offset1:224
	ds_read2_b32 v[47:48], v51 offset0:128 offset1:160
	;; [unrolled: 1-line block ×3, first 2 shown]
	ds_read2_b32 v[51:52], v51 offset1:32
	ds_read2_b32 v[53:54], v59 offset0:192 offset1:224
	ds_read2_b32 v[55:56], v59 offset0:128 offset1:160
	;; [unrolled: 1-line block ×3, first 2 shown]
	ds_read2_b32 v[59:60], v59 offset1:32
	s_add_i32 s6, s6, -1
	s_add_i32 s5, s5, -4
	v_add_u32_e32 v30, 0xffffff80, v30
	s_cmp_gt_i32 s6, s4
	s_waitcnt lgkmcnt(13)
	v_fma_f32 v22, -v41, v32, v22
	v_fma_f32 v19, -v41, v31, v19
	s_waitcnt lgkmcnt(12)
	v_fma_f32 v16, -v41, v34, v16
	v_fma_f32 v13, -v41, v33, v13
	s_waitcnt lgkmcnt(11)
	v_fma_f32 v10, -v41, v36, v10
	v_fma_f32 v3, -v41, v35, v3
	s_waitcnt lgkmcnt(10)
	v_fma_f32 v2, -v41, v38, v2
	v_fma_f32 v1, -v41, v37, v1
	s_waitcnt lgkmcnt(9)
	v_fma_f32 v4, -v41, v40, v4
	v_fma_f32 v29, -v41, v39, v29
	s_waitcnt lgkmcnt(8)
	v_fma_f32 v6, -v41, v44, v6
	v_fma_f32 v7, -v41, v43, v7
	s_waitcnt lgkmcnt(7)
	v_fma_f32 v8, -v41, v46, v8
	v_fma_f32 v9, -v41, v45, v9
	s_waitcnt lgkmcnt(6)
	v_fma_f32 v11, -v41, v48, v11
	v_fma_f32 v12, -v41, v47, v12
	s_waitcnt lgkmcnt(5)
	v_fma_f32 v14, -v41, v50, v14
	v_fma_f32 v15, -v41, v49, v15
	s_waitcnt lgkmcnt(4)
	v_fma_f32 v17, -v41, v52, v17
	v_fma_f32 v18, -v41, v51, v18
	s_waitcnt lgkmcnt(3)
	v_fma_f32 v20, -v41, v54, v20
	v_fma_f32 v21, -v41, v53, v21
	s_waitcnt lgkmcnt(2)
	v_fma_f32 v23, -v41, v56, v23
	v_fma_f32 v25, -v41, v55, v25
	s_waitcnt lgkmcnt(1)
	v_fma_f32 v27, -v41, v58, v27
	v_fma_f32 v28, -v41, v57, v28
	s_waitcnt lgkmcnt(0)
	v_fma_f32 v26, -v41, v60, v26
	v_fma_f32 v24, -v41, v59, v24
	s_cbranch_scc1 .LBB38_25
.LBB38_26:
	s_mul_i32 s5, s4, 0x84
	v_mov_b32_e32 v30, s5
	s_add_i32 s5, s4, -1
	s_lshl_b32 s6, s5, 7
	s_lshl_b32 s5, s5, 2
	s_add_i32 s5, s6, s5
	s_add_i32 s7, s4, -2
	ds_read_b32 v34, v30
	v_mov_b32_e32 v30, s5
	s_lshl_b32 s8, s7, 7
	s_lshl_b32 s5, s4, 2
	;; [unrolled: 1-line block ×3, first 2 shown]
	s_add_i32 s9, s8, s5
	s_add_i32 s7, s8, s7
	v_mov_b32_e32 v32, s9
	v_mov_b32_e32 v33, s7
	ds_read2_b32 v[30:31], v30 offset1:1
	ds_read_b32 v35, v32
	ds_read2_b32 v[32:33], v33 offset1:1
	s_waitcnt lgkmcnt(3)
	v_mul_f32_e32 v4, v4, v34
	ds_write_b32 v5, v4
	s_waitcnt lgkmcnt(3)
	v_fma_f32 v5, -v4, v31, v29
	v_add_u32_e32 v29, s6, v42
	s_add_i32 s6, s4, -3
	v_mul_f32_e32 v5, v5, v30
	s_waitcnt lgkmcnt(2)
	v_fma_f32 v6, -v4, v35, v6
	s_lshl_b32 s7, s6, 7
	ds_write_b32 v29, v5
	s_waitcnt lgkmcnt(2)
	v_fma_f32 v6, -v5, v33, v6
	v_add_u32_e32 v29, s8, v42
	s_add_i32 s8, s7, s5
	s_lshl_b32 s6, s6, 2
	v_mul_f32_e32 v6, v6, v32
	s_add_i32 s8, s8, -4
	s_add_i32 s6, s7, s6
	ds_write_b32 v29, v6
	v_mov_b32_e32 v29, s8
	v_mov_b32_e32 v31, s6
	s_add_i32 s6, s4, -4
	ds_read2_b32 v[29:30], v29 offset1:1
	s_lshl_b32 s8, s6, 7
	s_add_i32 s9, s8, s5
	v_mov_b32_e32 v33, s9
	s_add_i32 s9, s9, -8
	v_mov_b32_e32 v34, s9
	ds_read2_b32 v[31:32], v31 offset1:1
	ds_read_b32 v35, v33
	ds_read2_b32 v[33:34], v34 offset1:1
	s_waitcnt lgkmcnt(3)
	v_fma_f32 v7, -v4, v30, v7
	v_fma_f32 v7, -v5, v29, v7
	s_waitcnt lgkmcnt(2)
	v_fma_f32 v7, -v6, v32, v7
	s_lshl_b32 s6, s6, 2
	v_mul_f32_e32 v7, v7, v31
	v_add_u32_e32 v29, s7, v42
	s_add_i32 s6, s8, s6
	ds_write_b32 v29, v7
	v_mov_b32_e32 v29, s6
	s_add_i32 s6, s4, -5
	s_lshl_b32 s7, s6, 7
	s_waitcnt lgkmcnt(2)
	v_fma_f32 v8, -v4, v35, v8
	s_add_i32 s9, s7, s5
	s_lshl_b32 s6, s6, 2
	s_waitcnt lgkmcnt(1)
	v_fma_f32 v8, -v5, v34, v8
	s_add_i32 s15, s9, -4
	s_add_i32 s9, s9, -12
	s_add_i32 s6, s7, s6
	v_fma_f32 v8, -v6, v33, v8
	ds_read2_b32 v[29:30], v29 offset1:1
	v_mov_b32_e32 v31, s15
	v_mov_b32_e32 v33, s9
	;; [unrolled: 1-line block ×3, first 2 shown]
	ds_read2_b32 v[31:32], v31 offset1:1
	ds_read2_b32 v[33:34], v33 offset1:1
	;; [unrolled: 1-line block ×3, first 2 shown]
	s_waitcnt lgkmcnt(3)
	v_fma_f32 v8, -v7, v30, v8
	v_mul_f32_e32 v8, v8, v29
	s_waitcnt lgkmcnt(2)
	v_fma_f32 v9, -v4, v32, v9
	v_fma_f32 v9, -v5, v31, v9
	v_add_u32_e32 v29, s8, v42
	s_waitcnt lgkmcnt(1)
	v_fma_f32 v9, -v6, v34, v9
	s_add_i32 s6, s4, -6
	ds_write_b32 v29, v8
	v_fma_f32 v9, -v7, v33, v9
	v_add_u32_e32 v29, s7, v42
	s_lshl_b32 s7, s6, 7
	s_waitcnt lgkmcnt(1)
	v_fma_f32 v9, -v8, v36, v9
	s_add_i32 s8, s7, s5
	v_mul_f32_e32 v9, v9, v35
	s_add_i32 s9, s8, -8
	ds_write_b32 v29, v9
	v_mov_b32_e32 v29, s8
	v_mov_b32_e32 v30, s9
	ds_read_b32 v35, v29
	ds_read2_b32 v[29:30], v30 offset1:1
	s_lshl_b32 s6, s6, 2
	s_add_i32 s8, s8, -16
	s_add_i32 s6, s7, s6
	v_mov_b32_e32 v31, s8
	v_mov_b32_e32 v33, s6
	ds_read2_b32 v[31:32], v31 offset1:1
	ds_read2_b32 v[33:34], v33 offset1:1
	s_waitcnt lgkmcnt(3)
	v_fma_f32 v11, -v4, v35, v11
	s_waitcnt lgkmcnt(2)
	v_fma_f32 v11, -v5, v30, v11
	v_fma_f32 v11, -v6, v29, v11
	s_waitcnt lgkmcnt(1)
	v_fma_f32 v11, -v7, v32, v11
	s_add_i32 s6, s4, -7
	v_fma_f32 v11, -v8, v31, v11
	v_add_u32_e32 v29, s7, v42
	s_lshl_b32 s7, s6, 7
	s_waitcnt lgkmcnt(0)
	v_fma_f32 v11, -v9, v34, v11
	s_add_i32 s8, s7, s5
	v_mul_f32_e32 v11, v11, v33
	s_add_i32 s9, s8, -4
	ds_write_b32 v29, v11
	v_mov_b32_e32 v29, s9
	ds_read2_b32 v[29:30], v29 offset1:1
	s_lshl_b32 s6, s6, 2
	s_add_i32 s9, s8, -12
	s_sub_i32 s8, s8, 20
	s_add_i32 s6, s7, s6
	v_mov_b32_e32 v31, s9
	v_mov_b32_e32 v33, s8
	;; [unrolled: 1-line block ×3, first 2 shown]
	ds_read2_b32 v[31:32], v31 offset1:1
	ds_read2_b32 v[33:34], v33 offset1:1
	;; [unrolled: 1-line block ×3, first 2 shown]
	s_waitcnt lgkmcnt(3)
	v_fma_f32 v12, -v4, v30, v12
	v_fma_f32 v12, -v5, v29, v12
	s_waitcnt lgkmcnt(2)
	v_fma_f32 v12, -v6, v32, v12
	v_fma_f32 v12, -v7, v31, v12
	s_waitcnt lgkmcnt(1)
	v_fma_f32 v12, -v8, v34, v12
	s_add_i32 s6, s4, -8
	v_fma_f32 v12, -v9, v33, v12
	v_add_u32_e32 v29, s7, v42
	s_lshl_b32 s7, s6, 7
	s_waitcnt lgkmcnt(0)
	v_fma_f32 v12, -v11, v36, v12
	s_add_i32 s8, s7, s5
	v_mul_f32_e32 v12, v12, v35
	s_add_i32 s9, s8, -8
	ds_write_b32 v29, v12
	v_mov_b32_e32 v29, s8
	v_mov_b32_e32 v30, s9
	ds_read_b32 v35, v29
	ds_read2_b32 v[29:30], v30 offset1:1
	s_add_i32 s9, s8, -16
	s_sub_i32 s8, s8, 24
	v_mov_b32_e32 v31, s9
	v_mov_b32_e32 v33, s8
	ds_read2_b32 v[31:32], v31 offset1:1
	ds_read2_b32 v[33:34], v33 offset1:1
	s_waitcnt lgkmcnt(3)
	v_fma_f32 v14, -v4, v35, v14
	s_lshl_b32 s6, s6, 2
	s_waitcnt lgkmcnt(2)
	v_fma_f32 v14, -v5, v30, v14
	s_add_i32 s6, s7, s6
	v_fma_f32 v14, -v6, v29, v14
	v_mov_b32_e32 v29, s6
	s_add_i32 s6, s4, -9
	s_lshl_b32 s8, s6, 7
	s_waitcnt lgkmcnt(1)
	v_fma_f32 v14, -v7, v32, v14
	s_add_i32 s9, s8, s5
	v_fma_f32 v14, -v8, v31, v14
	s_add_i32 s15, s9, -4
	s_waitcnt lgkmcnt(0)
	v_fma_f32 v14, -v9, v34, v14
	ds_read2_b32 v[29:30], v29 offset1:1
	v_mov_b32_e32 v31, s15
	s_add_i32 s15, s9, -12
	v_fma_f32 v14, -v11, v33, v14
	v_mov_b32_e32 v33, s15
	s_sub_i32 s15, s9, 20
	v_mov_b32_e32 v35, s15
	ds_read2_b32 v[31:32], v31 offset1:1
	ds_read2_b32 v[33:34], v33 offset1:1
	;; [unrolled: 1-line block ×3, first 2 shown]
	s_waitcnt lgkmcnt(3)
	v_fma_f32 v14, -v12, v30, v14
	s_lshl_b32 s6, s6, 2
	v_mul_f32_e32 v14, v14, v29
	v_add_u32_e32 v29, s7, v42
	s_waitcnt lgkmcnt(2)
	v_fma_f32 v15, -v4, v32, v15
	s_sub_i32 s7, s9, 28
	s_add_i32 s6, s8, s6
	ds_write_b32 v29, v14
	v_fma_f32 v15, -v5, v31, v15
	v_mov_b32_e32 v29, s7
	v_mov_b32_e32 v31, s6
	s_add_i32 s6, s4, -10
	ds_read2_b32 v[29:30], v29 offset1:1
	s_lshl_b32 s7, s6, 7
	s_waitcnt lgkmcnt(3)
	v_fma_f32 v15, -v6, v34, v15
	s_add_i32 s9, s7, s5
	v_fma_f32 v15, -v7, v33, v15
	s_add_i32 s15, s9, -8
	s_waitcnt lgkmcnt(2)
	v_fma_f32 v15, -v8, v36, v15
	v_mov_b32_e32 v33, s9
	v_mov_b32_e32 v34, s15
	v_fma_f32 v15, -v9, v35, v15
	ds_read2_b32 v[31:32], v31 offset1:1
	ds_read_b32 v35, v33
	ds_read2_b32 v[33:34], v34 offset1:1
	s_waitcnt lgkmcnt(3)
	v_fma_f32 v15, -v11, v30, v15
	v_fma_f32 v15, -v12, v29, v15
	s_waitcnt lgkmcnt(2)
	v_fma_f32 v15, -v14, v32, v15
	v_mul_f32_e32 v15, v15, v31
	v_add_u32_e32 v29, s8, v42
	s_add_i32 s8, s9, -16
	ds_write_b32 v29, v15
	v_mov_b32_e32 v29, s8
	ds_read2_b32 v[29:30], v29 offset1:1
	s_waitcnt lgkmcnt(3)
	v_fma_f32 v17, -v4, v35, v17
	s_sub_i32 s8, s9, 24
	s_lshl_b32 s6, s6, 2
	s_waitcnt lgkmcnt(2)
	v_fma_f32 v17, -v5, v34, v17
	v_mov_b32_e32 v31, s8
	s_sub_i32 s8, s9, 32
	s_add_i32 s6, s7, s6
	v_fma_f32 v17, -v6, v33, v17
	v_mov_b32_e32 v33, s8
	v_mov_b32_e32 v35, s6
	ds_read2_b32 v[31:32], v31 offset1:1
	ds_read2_b32 v[33:34], v33 offset1:1
	;; [unrolled: 1-line block ×3, first 2 shown]
	s_waitcnt lgkmcnt(3)
	v_fma_f32 v17, -v7, v30, v17
	v_fma_f32 v17, -v8, v29, v17
	s_waitcnt lgkmcnt(2)
	v_fma_f32 v17, -v9, v32, v17
	v_fma_f32 v17, -v11, v31, v17
	s_waitcnt lgkmcnt(1)
	v_fma_f32 v17, -v12, v34, v17
	s_add_i32 s6, s4, -11
	v_fma_f32 v17, -v14, v33, v17
	v_add_u32_e32 v29, s7, v42
	s_lshl_b32 s7, s6, 7
	s_waitcnt lgkmcnt(0)
	v_fma_f32 v17, -v15, v36, v17
	s_add_i32 s8, s7, s5
	v_mul_f32_e32 v17, v17, v35
	s_add_i32 s9, s8, -4
	ds_write_b32 v29, v17
	v_mov_b32_e32 v29, s9
	ds_read2_b32 v[29:30], v29 offset1:1
	s_add_i32 s9, s8, -12
	v_mov_b32_e32 v31, s9
	s_sub_i32 s9, s8, 20
	v_mov_b32_e32 v33, s9
	s_sub_i32 s9, s8, 28
	v_mov_b32_e32 v35, s9
	ds_read2_b32 v[31:32], v31 offset1:1
	ds_read2_b32 v[33:34], v33 offset1:1
	;; [unrolled: 1-line block ×3, first 2 shown]
	s_waitcnt lgkmcnt(3)
	v_fma_f32 v18, -v4, v30, v18
	v_fma_f32 v18, -v5, v29, v18
	s_lshl_b32 s6, s6, 2
	s_waitcnt lgkmcnt(2)
	v_fma_f32 v18, -v6, v32, v18
	s_sub_i32 s8, s8, 36
	s_add_i32 s6, s7, s6
	v_fma_f32 v18, -v7, v31, v18
	v_mov_b32_e32 v29, s8
	v_mov_b32_e32 v31, s6
	s_add_i32 s6, s4, -12
	ds_read2_b32 v[29:30], v29 offset1:1
	s_lshl_b32 s8, s6, 7
	s_waitcnt lgkmcnt(2)
	v_fma_f32 v18, -v8, v34, v18
	s_add_i32 s9, s8, s5
	v_fma_f32 v18, -v9, v33, v18
	s_add_i32 s15, s9, -8
	s_waitcnt lgkmcnt(1)
	v_fma_f32 v18, -v11, v36, v18
	v_mov_b32_e32 v33, s9
	v_mov_b32_e32 v34, s15
	v_fma_f32 v18, -v12, v35, v18
	ds_read2_b32 v[31:32], v31 offset1:1
	ds_read_b32 v35, v33
	ds_read2_b32 v[33:34], v34 offset1:1
	s_waitcnt lgkmcnt(3)
	v_fma_f32 v18, -v14, v30, v18
	v_fma_f32 v18, -v15, v29, v18
	s_waitcnt lgkmcnt(2)
	v_fma_f32 v18, -v17, v32, v18
	v_mul_f32_e32 v18, v18, v31
	v_add_u32_e32 v29, s7, v42
	s_add_i32 s7, s9, -16
	ds_write_b32 v29, v18
	v_mov_b32_e32 v29, s7
	s_waitcnt lgkmcnt(2)
	v_fma_f32 v20, -v4, v35, v20
	ds_read2_b32 v[29:30], v29 offset1:1
	s_sub_i32 s7, s9, 24
	s_waitcnt lgkmcnt(2)
	v_fma_f32 v20, -v5, v34, v20
	v_mov_b32_e32 v31, s7
	s_sub_i32 s7, s9, 32
	v_fma_f32 v20, -v6, v33, v20
	v_mov_b32_e32 v33, s7
	s_sub_i32 s7, s9, 40
	v_mov_b32_e32 v35, s7
	ds_read2_b32 v[31:32], v31 offset1:1
	ds_read2_b32 v[33:34], v33 offset1:1
	;; [unrolled: 1-line block ×3, first 2 shown]
	s_lshl_b32 s6, s6, 2
	s_waitcnt lgkmcnt(3)
	v_fma_f32 v20, -v7, v30, v20
	s_add_i32 s6, s8, s6
	v_fma_f32 v20, -v8, v29, v20
	v_mov_b32_e32 v29, s6
	s_add_i32 s6, s4, -13
	s_waitcnt lgkmcnt(2)
	v_fma_f32 v20, -v9, v32, v20
	s_lshl_b32 s7, s6, 7
	v_fma_f32 v20, -v11, v31, v20
	s_add_i32 s9, s7, s5
	s_waitcnt lgkmcnt(1)
	v_fma_f32 v20, -v12, v34, v20
	s_add_i32 s15, s9, -4
	v_fma_f32 v20, -v14, v33, v20
	ds_read2_b32 v[29:30], v29 offset1:1
	v_mov_b32_e32 v31, s15
	s_add_i32 s15, s9, -12
	s_waitcnt lgkmcnt(1)
	v_fma_f32 v20, -v15, v36, v20
	v_mov_b32_e32 v33, s15
	s_sub_i32 s15, s9, 20
	v_fma_f32 v20, -v17, v35, v20
	v_mov_b32_e32 v35, s15
	ds_read2_b32 v[31:32], v31 offset1:1
	ds_read2_b32 v[33:34], v33 offset1:1
	;; [unrolled: 1-line block ×3, first 2 shown]
	s_waitcnt lgkmcnt(3)
	v_fma_f32 v20, -v18, v30, v20
	v_mul_f32_e32 v20, v20, v29
	v_add_u32_e32 v29, s8, v42
	s_waitcnt lgkmcnt(2)
	v_fma_f32 v21, -v4, v32, v21
	s_sub_i32 s8, s9, 28
	ds_write_b32 v29, v20
	v_fma_f32 v21, -v5, v31, v21
	v_mov_b32_e32 v29, s8
	s_waitcnt lgkmcnt(2)
	v_fma_f32 v21, -v6, v34, v21
	ds_read2_b32 v[29:30], v29 offset1:1
	v_fma_f32 v21, -v7, v33, v21
	s_sub_i32 s8, s9, 36
	s_lshl_b32 s6, s6, 2
	s_waitcnt lgkmcnt(2)
	v_fma_f32 v21, -v8, v36, v21
	v_mov_b32_e32 v31, s8
	s_sub_i32 s8, s9, 44
	s_add_i32 s6, s7, s6
	v_fma_f32 v21, -v9, v35, v21
	v_mov_b32_e32 v33, s8
	v_mov_b32_e32 v35, s6
	ds_read2_b32 v[31:32], v31 offset1:1
	ds_read2_b32 v[33:34], v33 offset1:1
	;; [unrolled: 1-line block ×3, first 2 shown]
	s_waitcnt lgkmcnt(3)
	v_fma_f32 v21, -v11, v30, v21
	v_fma_f32 v21, -v12, v29, v21
	s_waitcnt lgkmcnt(2)
	v_fma_f32 v21, -v14, v32, v21
	v_fma_f32 v21, -v15, v31, v21
	s_waitcnt lgkmcnt(1)
	v_fma_f32 v21, -v17, v34, v21
	s_add_i32 s6, s4, -14
	v_fma_f32 v21, -v18, v33, v21
	v_add_u32_e32 v29, s7, v42
	s_lshl_b32 s7, s6, 7
	s_waitcnt lgkmcnt(0)
	v_fma_f32 v21, -v20, v36, v21
	s_add_i32 s8, s7, s5
	v_mul_f32_e32 v21, v21, v35
	s_add_i32 s9, s8, -8
	ds_write_b32 v29, v21
	v_mov_b32_e32 v29, s8
	v_mov_b32_e32 v30, s9
	ds_read_b32 v35, v29
	ds_read2_b32 v[29:30], v30 offset1:1
	s_add_i32 s9, s8, -16
	v_mov_b32_e32 v31, s9
	s_sub_i32 s9, s8, 24
	v_mov_b32_e32 v33, s9
	ds_read2_b32 v[31:32], v31 offset1:1
	ds_read2_b32 v[33:34], v33 offset1:1
	s_waitcnt lgkmcnt(3)
	v_fma_f32 v23, -v4, v35, v23
	s_waitcnt lgkmcnt(2)
	v_fma_f32 v23, -v5, v30, v23
	s_sub_i32 s9, s8, 32
	v_fma_f32 v23, -v6, v29, v23
	v_mov_b32_e32 v29, s9
	s_waitcnt lgkmcnt(1)
	v_fma_f32 v23, -v7, v32, v23
	ds_read2_b32 v[29:30], v29 offset1:1
	v_fma_f32 v23, -v8, v31, v23
	s_lshl_b32 s6, s6, 2
	s_waitcnt lgkmcnt(1)
	v_fma_f32 v23, -v9, v34, v23
	s_sub_i32 s9, s8, 40
	s_sub_i32 s8, s8, 48
	s_add_i32 s6, s7, s6
	v_fma_f32 v23, -v11, v33, v23
	v_mov_b32_e32 v31, s9
	v_mov_b32_e32 v33, s8
	;; [unrolled: 1-line block ×3, first 2 shown]
	ds_read2_b32 v[31:32], v31 offset1:1
	ds_read2_b32 v[33:34], v33 offset1:1
	;; [unrolled: 1-line block ×3, first 2 shown]
	s_waitcnt lgkmcnt(3)
	v_fma_f32 v23, -v12, v30, v23
	v_fma_f32 v23, -v14, v29, v23
	s_waitcnt lgkmcnt(2)
	v_fma_f32 v23, -v15, v32, v23
	v_fma_f32 v23, -v17, v31, v23
	s_waitcnt lgkmcnt(1)
	v_fma_f32 v23, -v18, v34, v23
	s_add_i32 s6, s4, -15
	v_fma_f32 v23, -v20, v33, v23
	v_add_u32_e32 v29, s7, v42
	s_lshl_b32 s7, s6, 7
	s_waitcnt lgkmcnt(0)
	v_fma_f32 v23, -v21, v36, v23
	s_add_i32 s8, s7, s5
	v_mul_f32_e32 v23, v23, v35
	s_add_i32 s9, s8, -4
	ds_write_b32 v29, v23
	v_mov_b32_e32 v29, s9
	ds_read2_b32 v[29:30], v29 offset1:1
	s_add_i32 s9, s8, -12
	v_mov_b32_e32 v31, s9
	s_sub_i32 s9, s8, 20
	v_mov_b32_e32 v33, s9
	s_sub_i32 s9, s8, 28
	v_mov_b32_e32 v35, s9
	ds_read2_b32 v[31:32], v31 offset1:1
	ds_read2_b32 v[33:34], v33 offset1:1
	;; [unrolled: 1-line block ×3, first 2 shown]
	s_waitcnt lgkmcnt(3)
	v_fma_f32 v25, -v4, v30, v25
	v_fma_f32 v25, -v5, v29, v25
	s_waitcnt lgkmcnt(2)
	v_fma_f32 v25, -v6, v32, v25
	s_sub_i32 s9, s8, 36
	v_fma_f32 v25, -v7, v31, v25
	v_mov_b32_e32 v29, s9
	s_waitcnt lgkmcnt(1)
	v_fma_f32 v25, -v8, v34, v25
	ds_read2_b32 v[29:30], v29 offset1:1
	v_fma_f32 v25, -v9, v33, v25
	s_lshl_b32 s6, s6, 2
	s_waitcnt lgkmcnt(1)
	v_fma_f32 v25, -v11, v36, v25
	s_sub_i32 s9, s8, 44
	s_sub_i32 s8, s8, 52
	s_add_i32 s6, s7, s6
	v_fma_f32 v25, -v12, v35, v25
	v_mov_b32_e32 v31, s9
	v_mov_b32_e32 v33, s8
	;; [unrolled: 1-line block ×3, first 2 shown]
	ds_read2_b32 v[31:32], v31 offset1:1
	ds_read2_b32 v[33:34], v33 offset1:1
	;; [unrolled: 1-line block ×3, first 2 shown]
	s_waitcnt lgkmcnt(3)
	v_fma_f32 v25, -v14, v30, v25
	v_fma_f32 v25, -v15, v29, v25
	s_waitcnt lgkmcnt(2)
	v_fma_f32 v25, -v17, v32, v25
	v_fma_f32 v25, -v18, v31, v25
	s_waitcnt lgkmcnt(1)
	v_fma_f32 v25, -v20, v34, v25
	s_add_i32 s6, s4, -16
	v_fma_f32 v25, -v21, v33, v25
	v_add_u32_e32 v29, s7, v42
	s_lshl_b32 s7, s6, 7
	s_waitcnt lgkmcnt(0)
	v_fma_f32 v25, -v23, v36, v25
	s_add_i32 s8, s7, s5
	v_mul_f32_e32 v25, v25, v35
	s_add_i32 s9, s8, -8
	ds_write_b32 v29, v25
	v_mov_b32_e32 v29, s8
	v_mov_b32_e32 v30, s9
	ds_read_b32 v35, v29
	ds_read2_b32 v[29:30], v30 offset1:1
	s_add_i32 s9, s8, -16
	v_mov_b32_e32 v31, s9
	s_sub_i32 s9, s8, 24
	v_mov_b32_e32 v33, s9
	ds_read2_b32 v[31:32], v31 offset1:1
	ds_read2_b32 v[33:34], v33 offset1:1
	s_waitcnt lgkmcnt(3)
	v_fma_f32 v27, -v4, v35, v27
	s_waitcnt lgkmcnt(2)
	v_fma_f32 v27, -v5, v30, v27
	s_sub_i32 s9, s8, 32
	v_fma_f32 v27, -v6, v29, v27
	v_mov_b32_e32 v29, s9
	s_waitcnt lgkmcnt(1)
	v_fma_f32 v27, -v7, v32, v27
	ds_read2_b32 v[29:30], v29 offset1:1
	v_fma_f32 v27, -v8, v31, v27
	s_sub_i32 s9, s8, 40
	s_waitcnt lgkmcnt(1)
	v_fma_f32 v27, -v9, v34, v27
	v_mov_b32_e32 v31, s9
	s_sub_i32 s9, s8, 48
	s_sub_i32 s8, s8, 56
	v_fma_f32 v27, -v11, v33, v27
	v_mov_b32_e32 v33, s9
	v_mov_b32_e32 v35, s8
	ds_read2_b32 v[31:32], v31 offset1:1
	ds_read2_b32 v[33:34], v33 offset1:1
	;; [unrolled: 1-line block ×3, first 2 shown]
	s_lshl_b32 s6, s6, 2
	s_waitcnt lgkmcnt(3)
	v_fma_f32 v27, -v12, v30, v27
	s_add_i32 s6, s7, s6
	v_fma_f32 v27, -v14, v29, v27
	v_mov_b32_e32 v29, s6
	s_sub_i32 s6, s4, 17
	s_waitcnt lgkmcnt(2)
	v_fma_f32 v27, -v15, v32, v27
	s_lshl_b32 s8, s6, 7
	v_fma_f32 v27, -v17, v31, v27
	s_add_i32 s9, s8, s5
	s_waitcnt lgkmcnt(1)
	v_fma_f32 v27, -v18, v34, v27
	s_add_i32 s15, s9, -4
	v_fma_f32 v27, -v20, v33, v27
	v_mov_b32_e32 v31, s15
	s_add_i32 s15, s9, -12
	s_waitcnt lgkmcnt(0)
	v_fma_f32 v27, -v21, v36, v27
	v_mov_b32_e32 v33, s15
	s_sub_i32 s15, s9, 20
	v_fma_f32 v27, -v23, v35, v27
	v_mov_b32_e32 v35, s15
	ds_read2_b32 v[29:30], v29 offset1:1
	ds_read2_b32 v[31:32], v31 offset1:1
	;; [unrolled: 1-line block ×4, first 2 shown]
	s_lshl_b32 s6, s6, 2
	s_add_i32 s6, s8, s6
	s_waitcnt lgkmcnt(2)
	v_fma_f32 v28, -v4, v32, v28
	v_fma_f32 v28, -v5, v31, v28
	s_waitcnt lgkmcnt(1)
	v_fma_f32 v28, -v6, v34, v28
	v_fma_f32 v27, -v25, v30, v27
	;; [unrolled: 1-line block ×3, first 2 shown]
	v_mul_f32_e32 v27, v27, v29
	v_add_u32_e32 v29, s7, v42
	s_waitcnt lgkmcnt(0)
	v_fma_f32 v28, -v8, v36, v28
	s_sub_i32 s7, s9, 28
	v_fma_f32 v36, -v9, v35, v28
	v_mov_b32_e32 v28, s7
	ds_write_b32 v29, v27
	ds_read2_b32 v[28:29], v28 offset1:1
	s_sub_i32 s7, s9, 36
	v_mov_b32_e32 v30, s7
	s_sub_i32 s7, s9, 44
	v_mov_b32_e32 v32, s7
	;; [unrolled: 2-line block ×3, first 2 shown]
	ds_read2_b32 v[30:31], v30 offset1:1
	ds_read2_b32 v[32:33], v32 offset1:1
	;; [unrolled: 1-line block ×3, first 2 shown]
	s_waitcnt lgkmcnt(3)
	v_fma_f32 v29, -v11, v29, v36
	v_fma_f32 v28, -v12, v28, v29
	s_waitcnt lgkmcnt(2)
	v_fma_f32 v28, -v14, v31, v28
	v_fma_f32 v28, -v15, v30, v28
	;; [unrolled: 3-line block ×3, first 2 shown]
	s_waitcnt lgkmcnt(0)
	v_fma_f32 v28, -v20, v35, v28
	s_sub_i32 s7, s9, 60
	v_fma_f32 v34, -v21, v34, v28
	v_mov_b32_e32 v28, s7
	v_mov_b32_e32 v30, s6
	s_sub_i32 s6, s4, 18
	ds_read2_b32 v[28:29], v28 offset1:1
	s_lshl_b32 s7, s6, 7
	s_add_i32 s9, s7, s5
	s_add_i32 s15, s9, -8
	v_mov_b32_e32 v32, s9
	v_mov_b32_e32 v33, s15
	ds_read2_b32 v[30:31], v30 offset1:1
	ds_read_b32 v35, v32
	ds_read2_b32 v[32:33], v33 offset1:1
	s_waitcnt lgkmcnt(3)
	v_fma_f32 v29, -v23, v29, v34
	v_fma_f32 v28, -v25, v28, v29
	s_waitcnt lgkmcnt(2)
	v_fma_f32 v28, -v27, v31, v28
	v_mul_f32_e32 v28, v28, v30
	v_add_u32_e32 v29, s8, v42
	s_add_i32 s8, s9, -16
	ds_write_b32 v29, v28
	v_mov_b32_e32 v29, s8
	ds_read2_b32 v[29:30], v29 offset1:1
	s_sub_i32 s8, s9, 24
	s_waitcnt lgkmcnt(3)
	v_fma_f32 v26, -v4, v35, v26
	v_mov_b32_e32 v31, s8
	s_sub_i32 s8, s9, 32
	s_waitcnt lgkmcnt(2)
	v_fma_f32 v26, -v5, v33, v26
	v_mov_b32_e32 v33, s8
	s_sub_i32 s8, s9, 40
	v_mov_b32_e32 v35, s8
	v_fma_f32 v26, -v6, v32, v26
	ds_read2_b32 v[31:32], v31 offset1:1
	ds_read2_b32 v[33:34], v33 offset1:1
	;; [unrolled: 1-line block ×3, first 2 shown]
	s_waitcnt lgkmcnt(3)
	v_fma_f32 v26, -v7, v30, v26
	v_fma_f32 v26, -v8, v29, v26
	s_waitcnt lgkmcnt(2)
	v_fma_f32 v26, -v9, v32, v26
	s_sub_i32 s8, s9, 48
	v_fma_f32 v26, -v11, v31, v26
	v_mov_b32_e32 v29, s8
	s_waitcnt lgkmcnt(1)
	v_fma_f32 v26, -v12, v34, v26
	ds_read2_b32 v[29:30], v29 offset1:1
	v_fma_f32 v26, -v14, v33, v26
	s_sub_i32 s8, s9, 56
	s_lshl_b32 s6, s6, 2
	s_waitcnt lgkmcnt(1)
	v_fma_f32 v26, -v15, v36, v26
	v_mov_b32_e32 v31, s8
	s_sub_i32 s8, s9, 64
	s_add_i32 s6, s7, s6
	v_fma_f32 v26, -v17, v35, v26
	v_mov_b32_e32 v33, s8
	v_mov_b32_e32 v35, s6
	ds_read2_b32 v[31:32], v31 offset1:1
	ds_read2_b32 v[33:34], v33 offset1:1
	;; [unrolled: 1-line block ×3, first 2 shown]
	s_waitcnt lgkmcnt(3)
	v_fma_f32 v26, -v18, v30, v26
	v_fma_f32 v26, -v20, v29, v26
	s_waitcnt lgkmcnt(2)
	v_fma_f32 v26, -v21, v32, v26
	v_fma_f32 v26, -v23, v31, v26
	s_waitcnt lgkmcnt(1)
	v_fma_f32 v26, -v25, v34, v26
	s_sub_i32 s6, s4, 19
	v_fma_f32 v26, -v27, v33, v26
	v_add_u32_e32 v29, s7, v42
	s_lshl_b32 s7, s6, 7
	s_waitcnt lgkmcnt(0)
	v_fma_f32 v26, -v28, v36, v26
	s_add_i32 s8, s7, s5
	v_mul_f32_e32 v26, v26, v35
	s_add_i32 s9, s8, -4
	ds_write_b32 v29, v26
	v_mov_b32_e32 v29, s9
	ds_read2_b32 v[29:30], v29 offset1:1
	s_add_i32 s9, s8, -12
	v_mov_b32_e32 v31, s9
	s_sub_i32 s9, s8, 20
	v_mov_b32_e32 v33, s9
	s_sub_i32 s9, s8, 28
	v_mov_b32_e32 v35, s9
	ds_read2_b32 v[31:32], v31 offset1:1
	ds_read2_b32 v[33:34], v33 offset1:1
	ds_read2_b32 v[35:36], v35 offset1:1
	s_waitcnt lgkmcnt(3)
	v_fma_f32 v24, -v4, v30, v24
	v_fma_f32 v24, -v5, v29, v24
	s_waitcnt lgkmcnt(2)
	v_fma_f32 v24, -v6, v32, v24
	s_sub_i32 s9, s8, 36
	v_fma_f32 v24, -v7, v31, v24
	v_mov_b32_e32 v29, s9
	s_waitcnt lgkmcnt(1)
	v_fma_f32 v24, -v8, v34, v24
	ds_read2_b32 v[29:30], v29 offset1:1
	s_sub_i32 s9, s8, 44
	v_fma_f32 v24, -v9, v33, v24
	v_mov_b32_e32 v31, s9
	s_sub_i32 s9, s8, 52
	s_waitcnt lgkmcnt(1)
	v_fma_f32 v24, -v11, v36, v24
	v_mov_b32_e32 v33, s9
	s_sub_i32 s9, s8, 60
	v_fma_f32 v24, -v12, v35, v24
	v_mov_b32_e32 v35, s9
	ds_read2_b32 v[31:32], v31 offset1:1
	ds_read2_b32 v[33:34], v33 offset1:1
	;; [unrolled: 1-line block ×3, first 2 shown]
	s_waitcnt lgkmcnt(3)
	v_fma_f32 v24, -v14, v30, v24
	v_fma_f32 v24, -v15, v29, v24
	s_lshl_b32 s6, s6, 2
	s_waitcnt lgkmcnt(2)
	v_fma_f32 v24, -v17, v32, v24
	s_addk_i32 s8, 0xffbc
	s_add_i32 s6, s7, s6
	v_fma_f32 v24, -v18, v31, v24
	v_mov_b32_e32 v29, s8
	v_mov_b32_e32 v31, s6
	s_sub_i32 s6, s4, 20
	ds_read2_b32 v[29:30], v29 offset1:1
	s_lshl_b32 s8, s6, 7
	s_waitcnt lgkmcnt(2)
	v_fma_f32 v24, -v20, v34, v24
	s_add_i32 s9, s8, s5
	v_fma_f32 v24, -v21, v33, v24
	s_add_i32 s15, s9, -8
	s_waitcnt lgkmcnt(1)
	v_fma_f32 v24, -v23, v36, v24
	v_mov_b32_e32 v33, s9
	v_mov_b32_e32 v34, s15
	v_fma_f32 v24, -v25, v35, v24
	ds_read2_b32 v[31:32], v31 offset1:1
	ds_read_b32 v35, v33
	ds_read2_b32 v[33:34], v34 offset1:1
	s_waitcnt lgkmcnt(3)
	v_fma_f32 v24, -v27, v30, v24
	v_fma_f32 v24, -v28, v29, v24
	s_waitcnt lgkmcnt(2)
	v_fma_f32 v24, -v26, v32, v24
	v_mul_f32_e32 v24, v24, v31
	v_add_u32_e32 v29, s7, v42
	s_add_i32 s7, s9, -16
	ds_write_b32 v29, v24
	v_mov_b32_e32 v29, s7
	s_waitcnt lgkmcnt(2)
	v_fma_f32 v22, -v4, v35, v22
	ds_read2_b32 v[29:30], v29 offset1:1
	s_sub_i32 s7, s9, 24
	s_waitcnt lgkmcnt(2)
	v_fma_f32 v22, -v5, v34, v22
	v_mov_b32_e32 v31, s7
	s_sub_i32 s7, s9, 32
	v_fma_f32 v22, -v6, v33, v22
	v_mov_b32_e32 v33, s7
	s_sub_i32 s7, s9, 40
	v_mov_b32_e32 v35, s7
	ds_read2_b32 v[31:32], v31 offset1:1
	ds_read2_b32 v[33:34], v33 offset1:1
	;; [unrolled: 1-line block ×3, first 2 shown]
	s_waitcnt lgkmcnt(3)
	v_fma_f32 v22, -v7, v30, v22
	v_fma_f32 v22, -v8, v29, v22
	s_waitcnt lgkmcnt(2)
	v_fma_f32 v22, -v9, v32, v22
	s_sub_i32 s7, s9, 48
	v_fma_f32 v22, -v11, v31, v22
	v_mov_b32_e32 v29, s7
	s_waitcnt lgkmcnt(1)
	v_fma_f32 v22, -v12, v34, v22
	ds_read2_b32 v[29:30], v29 offset1:1
	s_sub_i32 s7, s9, 56
	v_fma_f32 v22, -v14, v33, v22
	v_mov_b32_e32 v31, s7
	s_sub_i32 s7, s9, 64
	s_waitcnt lgkmcnt(1)
	v_fma_f32 v22, -v15, v36, v22
	v_mov_b32_e32 v33, s7
	s_add_i32 s7, s9, 0xffffffb8
	v_fma_f32 v22, -v17, v35, v22
	v_mov_b32_e32 v35, s7
	ds_read2_b32 v[31:32], v31 offset1:1
	ds_read2_b32 v[33:34], v33 offset1:1
	;; [unrolled: 1-line block ×3, first 2 shown]
	s_lshl_b32 s6, s6, 2
	s_waitcnt lgkmcnt(3)
	v_fma_f32 v22, -v18, v30, v22
	s_add_i32 s6, s8, s6
	v_fma_f32 v22, -v20, v29, v22
	v_mov_b32_e32 v29, s6
	s_sub_i32 s6, s4, 21
	s_waitcnt lgkmcnt(2)
	v_fma_f32 v22, -v21, v32, v22
	s_lshl_b32 s7, s6, 7
	v_fma_f32 v22, -v23, v31, v22
	s_add_i32 s9, s7, s5
	s_waitcnt lgkmcnt(1)
	v_fma_f32 v22, -v25, v34, v22
	s_add_i32 s15, s9, -4
	v_fma_f32 v22, -v27, v33, v22
	ds_read2_b32 v[29:30], v29 offset1:1
	v_mov_b32_e32 v31, s15
	s_add_i32 s15, s9, -12
	s_waitcnt lgkmcnt(1)
	v_fma_f32 v22, -v28, v36, v22
	v_mov_b32_e32 v33, s15
	s_sub_i32 s15, s9, 20
	v_fma_f32 v22, -v26, v35, v22
	v_mov_b32_e32 v35, s15
	ds_read2_b32 v[31:32], v31 offset1:1
	ds_read2_b32 v[33:34], v33 offset1:1
	;; [unrolled: 1-line block ×3, first 2 shown]
	s_waitcnt lgkmcnt(3)
	v_fma_f32 v22, -v24, v30, v22
	v_mul_f32_e32 v22, v22, v29
	v_add_u32_e32 v29, s8, v42
	s_waitcnt lgkmcnt(2)
	v_fma_f32 v19, -v4, v32, v19
	s_sub_i32 s8, s9, 28
	ds_write_b32 v29, v22
	v_fma_f32 v19, -v5, v31, v19
	v_mov_b32_e32 v29, s8
	s_waitcnt lgkmcnt(2)
	v_fma_f32 v19, -v6, v34, v19
	ds_read2_b32 v[29:30], v29 offset1:1
	s_sub_i32 s8, s9, 36
	v_fma_f32 v19, -v7, v33, v19
	v_mov_b32_e32 v31, s8
	s_sub_i32 s8, s9, 44
	s_waitcnt lgkmcnt(2)
	v_fma_f32 v19, -v8, v36, v19
	v_mov_b32_e32 v33, s8
	s_sub_i32 s8, s9, 52
	v_fma_f32 v19, -v9, v35, v19
	v_mov_b32_e32 v35, s8
	ds_read2_b32 v[31:32], v31 offset1:1
	ds_read2_b32 v[33:34], v33 offset1:1
	ds_read2_b32 v[35:36], v35 offset1:1
	s_waitcnt lgkmcnt(3)
	v_fma_f32 v19, -v11, v30, v19
	v_fma_f32 v19, -v12, v29, v19
	s_waitcnt lgkmcnt(2)
	v_fma_f32 v19, -v14, v32, v19
	s_sub_i32 s8, s9, 60
	v_fma_f32 v19, -v15, v31, v19
	v_mov_b32_e32 v29, s8
	s_waitcnt lgkmcnt(1)
	v_fma_f32 v19, -v17, v34, v19
	ds_read2_b32 v[29:30], v29 offset1:1
	v_fma_f32 v19, -v18, v33, v19
	s_add_i32 s8, s9, 0xffffffbc
	s_lshl_b32 s6, s6, 2
	s_waitcnt lgkmcnt(1)
	v_fma_f32 v19, -v20, v36, v19
	v_mov_b32_e32 v31, s8
	s_add_i32 s8, s9, 0xffffffb4
	s_add_i32 s6, s7, s6
	v_fma_f32 v19, -v21, v35, v19
	v_mov_b32_e32 v33, s8
	v_mov_b32_e32 v35, s6
	ds_read2_b32 v[31:32], v31 offset1:1
	ds_read2_b32 v[33:34], v33 offset1:1
	;; [unrolled: 1-line block ×3, first 2 shown]
	s_waitcnt lgkmcnt(3)
	v_fma_f32 v19, -v23, v30, v19
	v_fma_f32 v19, -v25, v29, v19
	s_waitcnt lgkmcnt(2)
	v_fma_f32 v19, -v27, v32, v19
	v_fma_f32 v19, -v28, v31, v19
	s_waitcnt lgkmcnt(1)
	v_fma_f32 v19, -v26, v34, v19
	s_sub_i32 s6, s4, 22
	v_fma_f32 v19, -v24, v33, v19
	v_add_u32_e32 v29, s7, v42
	s_lshl_b32 s7, s6, 7
	s_waitcnt lgkmcnt(0)
	v_fma_f32 v19, -v22, v36, v19
	s_add_i32 s8, s7, s5
	v_mul_f32_e32 v19, v19, v35
	s_add_i32 s9, s8, -8
	ds_write_b32 v29, v19
	v_mov_b32_e32 v29, s8
	v_mov_b32_e32 v30, s9
	ds_read_b32 v35, v29
	ds_read2_b32 v[29:30], v30 offset1:1
	s_add_i32 s9, s8, -16
	v_mov_b32_e32 v31, s9
	s_sub_i32 s9, s8, 24
	v_mov_b32_e32 v33, s9
	ds_read2_b32 v[31:32], v31 offset1:1
	ds_read2_b32 v[33:34], v33 offset1:1
	s_waitcnt lgkmcnt(3)
	v_fma_f32 v16, -v4, v35, v16
	s_waitcnt lgkmcnt(2)
	v_fma_f32 v16, -v5, v30, v16
	v_fma_f32 v16, -v6, v29, v16
	s_sub_i32 s9, s8, 32
	s_waitcnt lgkmcnt(1)
	v_fma_f32 v16, -v7, v32, v16
	v_mov_b32_e32 v29, s9
	v_fma_f32 v16, -v8, v31, v16
	ds_read2_b32 v[29:30], v29 offset1:1
	s_sub_i32 s9, s8, 40
	s_waitcnt lgkmcnt(1)
	v_fma_f32 v16, -v9, v34, v16
	v_mov_b32_e32 v31, s9
	s_sub_i32 s9, s8, 48
	v_fma_f32 v16, -v11, v33, v16
	v_mov_b32_e32 v33, s9
	s_sub_i32 s9, s8, 56
	v_mov_b32_e32 v35, s9
	ds_read2_b32 v[31:32], v31 offset1:1
	ds_read2_b32 v[33:34], v33 offset1:1
	;; [unrolled: 1-line block ×3, first 2 shown]
	s_waitcnt lgkmcnt(3)
	v_fma_f32 v16, -v12, v30, v16
	v_fma_f32 v16, -v14, v29, v16
	s_waitcnt lgkmcnt(2)
	v_fma_f32 v16, -v15, v32, v16
	s_sub_i32 s9, s8, 64
	v_fma_f32 v16, -v17, v31, v16
	v_mov_b32_e32 v29, s9
	s_waitcnt lgkmcnt(1)
	v_fma_f32 v16, -v18, v34, v16
	ds_read2_b32 v[29:30], v29 offset1:1
	v_fma_f32 v16, -v20, v33, v16
	s_lshl_b32 s6, s6, 2
	s_waitcnt lgkmcnt(1)
	v_fma_f32 v16, -v21, v36, v16
	s_add_i32 s9, s8, 0xffffffb8
	s_addk_i32 s8, 0xffb0
	s_add_i32 s6, s7, s6
	v_fma_f32 v16, -v23, v35, v16
	v_mov_b32_e32 v31, s9
	v_mov_b32_e32 v33, s8
	;; [unrolled: 1-line block ×3, first 2 shown]
	ds_read2_b32 v[31:32], v31 offset1:1
	ds_read2_b32 v[33:34], v33 offset1:1
	;; [unrolled: 1-line block ×3, first 2 shown]
	s_waitcnt lgkmcnt(3)
	v_fma_f32 v16, -v25, v30, v16
	v_fma_f32 v16, -v27, v29, v16
	s_waitcnt lgkmcnt(2)
	v_fma_f32 v16, -v28, v32, v16
	v_fma_f32 v16, -v26, v31, v16
	s_waitcnt lgkmcnt(1)
	v_fma_f32 v16, -v24, v34, v16
	s_sub_i32 s6, s4, 23
	v_fma_f32 v16, -v22, v33, v16
	v_add_u32_e32 v29, s7, v42
	s_lshl_b32 s7, s6, 7
	s_waitcnt lgkmcnt(0)
	v_fma_f32 v16, -v19, v36, v16
	s_add_i32 s8, s7, s5
	v_mul_f32_e32 v16, v16, v35
	s_add_i32 s9, s8, -4
	ds_write_b32 v29, v16
	v_mov_b32_e32 v29, s9
	ds_read2_b32 v[29:30], v29 offset1:1
	s_add_i32 s9, s8, -12
	v_mov_b32_e32 v31, s9
	s_sub_i32 s9, s8, 20
	v_mov_b32_e32 v33, s9
	s_sub_i32 s9, s8, 28
	v_mov_b32_e32 v35, s9
	ds_read2_b32 v[31:32], v31 offset1:1
	ds_read2_b32 v[33:34], v33 offset1:1
	;; [unrolled: 1-line block ×3, first 2 shown]
	s_waitcnt lgkmcnt(3)
	v_fma_f32 v13, -v4, v30, v13
	v_fma_f32 v13, -v5, v29, v13
	s_waitcnt lgkmcnt(2)
	v_fma_f32 v13, -v6, v32, v13
	s_sub_i32 s9, s8, 36
	v_fma_f32 v13, -v7, v31, v13
	v_mov_b32_e32 v29, s9
	s_waitcnt lgkmcnt(1)
	v_fma_f32 v13, -v8, v34, v13
	ds_read2_b32 v[29:30], v29 offset1:1
	s_sub_i32 s9, s8, 44
	v_fma_f32 v13, -v9, v33, v13
	v_mov_b32_e32 v31, s9
	s_sub_i32 s9, s8, 52
	s_waitcnt lgkmcnt(1)
	v_fma_f32 v13, -v11, v36, v13
	v_mov_b32_e32 v33, s9
	s_sub_i32 s9, s8, 60
	v_fma_f32 v13, -v12, v35, v13
	v_mov_b32_e32 v35, s9
	ds_read2_b32 v[31:32], v31 offset1:1
	ds_read2_b32 v[33:34], v33 offset1:1
	;; [unrolled: 1-line block ×3, first 2 shown]
	s_waitcnt lgkmcnt(3)
	v_fma_f32 v13, -v14, v30, v13
	v_fma_f32 v13, -v15, v29, v13
	s_waitcnt lgkmcnt(2)
	v_fma_f32 v13, -v17, v32, v13
	s_add_i32 s9, s8, 0xffffffbc
	v_fma_f32 v13, -v18, v31, v13
	v_mov_b32_e32 v29, s9
	s_waitcnt lgkmcnt(1)
	v_fma_f32 v13, -v20, v34, v13
	ds_read2_b32 v[29:30], v29 offset1:1
	v_fma_f32 v13, -v21, v33, v13
	s_lshl_b32 s6, s6, 2
	s_waitcnt lgkmcnt(1)
	v_fma_f32 v13, -v23, v36, v13
	s_add_i32 s9, s8, 0xffffffb4
	s_addk_i32 s8, 0xffac
	s_add_i32 s6, s7, s6
	v_fma_f32 v13, -v25, v35, v13
	v_mov_b32_e32 v31, s9
	v_mov_b32_e32 v33, s8
	;; [unrolled: 1-line block ×3, first 2 shown]
	ds_read2_b32 v[31:32], v31 offset1:1
	ds_read2_b32 v[33:34], v33 offset1:1
	;; [unrolled: 1-line block ×3, first 2 shown]
	s_waitcnt lgkmcnt(3)
	v_fma_f32 v13, -v27, v30, v13
	v_fma_f32 v13, -v28, v29, v13
	s_waitcnt lgkmcnt(2)
	v_fma_f32 v13, -v26, v32, v13
	v_fma_f32 v13, -v24, v31, v13
	s_waitcnt lgkmcnt(1)
	v_fma_f32 v13, -v22, v34, v13
	s_sub_i32 s6, s4, 24
	v_fma_f32 v13, -v19, v33, v13
	v_add_u32_e32 v29, s7, v42
	s_lshl_b32 s7, s6, 7
	s_waitcnt lgkmcnt(0)
	v_fma_f32 v13, -v16, v36, v13
	s_add_i32 s8, s7, s5
	v_mul_f32_e32 v13, v13, v35
	s_add_i32 s9, s8, -8
	ds_write_b32 v29, v13
	v_mov_b32_e32 v29, s8
	v_mov_b32_e32 v30, s9
	ds_read_b32 v35, v29
	ds_read2_b32 v[29:30], v30 offset1:1
	s_add_i32 s9, s8, -16
	v_mov_b32_e32 v31, s9
	s_sub_i32 s9, s8, 24
	v_mov_b32_e32 v33, s9
	ds_read2_b32 v[31:32], v31 offset1:1
	ds_read2_b32 v[33:34], v33 offset1:1
	s_waitcnt lgkmcnt(3)
	v_fma_f32 v10, -v4, v35, v10
	s_waitcnt lgkmcnt(2)
	v_fma_f32 v10, -v5, v30, v10
	v_fma_f32 v10, -v6, v29, v10
	s_sub_i32 s9, s8, 32
	s_waitcnt lgkmcnt(1)
	v_fma_f32 v10, -v7, v32, v10
	v_mov_b32_e32 v29, s9
	v_fma_f32 v10, -v8, v31, v10
	ds_read2_b32 v[29:30], v29 offset1:1
	s_sub_i32 s9, s8, 40
	s_waitcnt lgkmcnt(1)
	v_fma_f32 v10, -v9, v34, v10
	v_mov_b32_e32 v31, s9
	s_sub_i32 s9, s8, 48
	v_fma_f32 v10, -v11, v33, v10
	v_mov_b32_e32 v33, s9
	s_sub_i32 s9, s8, 56
	v_mov_b32_e32 v35, s9
	ds_read2_b32 v[31:32], v31 offset1:1
	ds_read2_b32 v[33:34], v33 offset1:1
	;; [unrolled: 1-line block ×3, first 2 shown]
	s_waitcnt lgkmcnt(3)
	v_fma_f32 v10, -v12, v30, v10
	v_fma_f32 v10, -v14, v29, v10
	s_waitcnt lgkmcnt(2)
	v_fma_f32 v10, -v15, v32, v10
	s_sub_i32 s9, s8, 64
	v_fma_f32 v10, -v17, v31, v10
	v_mov_b32_e32 v29, s9
	s_waitcnt lgkmcnt(1)
	v_fma_f32 v10, -v18, v34, v10
	ds_read2_b32 v[29:30], v29 offset1:1
	v_fma_f32 v10, -v20, v33, v10
	s_add_i32 s9, s8, 0xffffffb8
	s_waitcnt lgkmcnt(1)
	v_fma_f32 v10, -v21, v36, v10
	v_mov_b32_e32 v31, s9
	s_add_i32 s9, s8, 0xffffffb0
	s_addk_i32 s8, 0xffa8
	v_fma_f32 v10, -v23, v35, v10
	v_mov_b32_e32 v33, s9
	v_mov_b32_e32 v35, s8
	ds_read2_b32 v[31:32], v31 offset1:1
	ds_read2_b32 v[33:34], v33 offset1:1
	;; [unrolled: 1-line block ×3, first 2 shown]
	s_lshl_b32 s6, s6, 2
	s_waitcnt lgkmcnt(3)
	v_fma_f32 v10, -v25, v30, v10
	s_add_i32 s6, s7, s6
	v_fma_f32 v10, -v27, v29, v10
	v_mov_b32_e32 v29, s6
	s_sub_i32 s6, s4, 25
	s_waitcnt lgkmcnt(2)
	v_fma_f32 v10, -v28, v32, v10
	s_lshl_b32 s8, s6, 7
	v_fma_f32 v10, -v26, v31, v10
	s_add_i32 s9, s8, s5
	s_waitcnt lgkmcnt(1)
	v_fma_f32 v10, -v24, v34, v10
	s_add_i32 s15, s9, -4
	v_fma_f32 v10, -v22, v33, v10
	ds_read2_b32 v[29:30], v29 offset1:1
	v_mov_b32_e32 v31, s15
	s_add_i32 s15, s9, -12
	s_waitcnt lgkmcnt(1)
	v_fma_f32 v10, -v19, v36, v10
	v_mov_b32_e32 v33, s15
	s_sub_i32 s15, s9, 20
	v_fma_f32 v10, -v16, v35, v10
	v_mov_b32_e32 v35, s15
	ds_read2_b32 v[31:32], v31 offset1:1
	ds_read2_b32 v[33:34], v33 offset1:1
	ds_read2_b32 v[35:36], v35 offset1:1
	s_waitcnt lgkmcnt(3)
	v_fma_f32 v10, -v13, v30, v10
	v_mul_f32_e32 v10, v10, v29
	v_add_u32_e32 v29, s7, v42
	s_waitcnt lgkmcnt(2)
	v_fma_f32 v3, -v4, v32, v3
	s_sub_i32 s7, s9, 28
	ds_write_b32 v29, v10
	v_fma_f32 v3, -v5, v31, v3
	v_mov_b32_e32 v29, s7
	s_waitcnt lgkmcnt(2)
	v_fma_f32 v3, -v6, v34, v3
	ds_read2_b32 v[29:30], v29 offset1:1
	s_sub_i32 s7, s9, 36
	v_fma_f32 v3, -v7, v33, v3
	v_mov_b32_e32 v31, s7
	s_sub_i32 s7, s9, 44
	s_waitcnt lgkmcnt(2)
	v_fma_f32 v3, -v8, v36, v3
	v_mov_b32_e32 v33, s7
	s_sub_i32 s7, s9, 52
	v_fma_f32 v3, -v9, v35, v3
	v_mov_b32_e32 v35, s7
	ds_read2_b32 v[31:32], v31 offset1:1
	ds_read2_b32 v[33:34], v33 offset1:1
	ds_read2_b32 v[35:36], v35 offset1:1
	s_waitcnt lgkmcnt(3)
	v_fma_f32 v3, -v11, v30, v3
	v_fma_f32 v3, -v12, v29, v3
	s_waitcnt lgkmcnt(2)
	v_fma_f32 v3, -v14, v32, v3
	s_sub_i32 s7, s9, 60
	v_fma_f32 v3, -v15, v31, v3
	v_mov_b32_e32 v29, s7
	s_waitcnt lgkmcnt(1)
	v_fma_f32 v3, -v17, v34, v3
	ds_read2_b32 v[29:30], v29 offset1:1
	s_add_i32 s7, s9, 0xffffffbc
	v_fma_f32 v3, -v18, v33, v3
	v_mov_b32_e32 v31, s7
	s_add_i32 s7, s9, 0xffffffb4
	s_waitcnt lgkmcnt(1)
	v_fma_f32 v3, -v20, v36, v3
	v_mov_b32_e32 v33, s7
	s_add_i32 s7, s9, 0xffffffac
	v_fma_f32 v3, -v21, v35, v3
	v_mov_b32_e32 v35, s7
	ds_read2_b32 v[31:32], v31 offset1:1
	ds_read2_b32 v[33:34], v33 offset1:1
	;; [unrolled: 1-line block ×3, first 2 shown]
	s_waitcnt lgkmcnt(3)
	v_fma_f32 v3, -v23, v30, v3
	v_fma_f32 v3, -v25, v29, v3
	s_lshl_b32 s6, s6, 2
	s_waitcnt lgkmcnt(2)
	v_fma_f32 v3, -v27, v32, v3
	s_add_i32 s6, s8, s6
	v_fma_f32 v3, -v28, v31, v3
	s_add_i32 s7, s9, 0xffffffa4
	v_mov_b32_e32 v31, s6
	s_sub_i32 s6, s4, 26
	v_mov_b32_e32 v29, s7
	s_lshl_b32 s7, s6, 7
	s_waitcnt lgkmcnt(1)
	v_fma_f32 v3, -v26, v34, v3
	ds_read2_b32 v[29:30], v29 offset1:1
	s_add_i32 s9, s7, s5
	v_fma_f32 v3, -v24, v33, v3
	s_add_i32 s15, s9, -8
	s_waitcnt lgkmcnt(1)
	v_fma_f32 v3, -v22, v36, v3
	v_mov_b32_e32 v33, s9
	v_mov_b32_e32 v34, s15
	v_fma_f32 v3, -v19, v35, v3
	ds_read2_b32 v[31:32], v31 offset1:1
	ds_read_b32 v35, v33
	ds_read2_b32 v[33:34], v34 offset1:1
	s_waitcnt lgkmcnt(3)
	v_fma_f32 v3, -v16, v30, v3
	v_fma_f32 v3, -v13, v29, v3
	s_waitcnt lgkmcnt(2)
	v_fma_f32 v3, -v10, v32, v3
	s_waitcnt lgkmcnt(1)
	v_fma_f32 v2, -v4, v35, v2
	v_mul_f32_e32 v36, v3, v31
	v_add_u32_e32 v3, s8, v42
	s_waitcnt lgkmcnt(0)
	v_fma_f32 v2, -v5, v34, v2
	s_add_i32 s8, s9, -16
	v_fma_f32 v35, -v6, v33, v2
	v_mov_b32_e32 v2, s8
	ds_write_b32 v3, v36
	ds_read2_b32 v[2:3], v2 offset1:1
	s_sub_i32 s8, s9, 24
	v_mov_b32_e32 v29, s8
	s_sub_i32 s8, s9, 32
	v_mov_b32_e32 v31, s8
	;; [unrolled: 2-line block ×3, first 2 shown]
	ds_read2_b32 v[29:30], v29 offset1:1
	ds_read2_b32 v[31:32], v31 offset1:1
	;; [unrolled: 1-line block ×3, first 2 shown]
	s_waitcnt lgkmcnt(3)
	v_fma_f32 v3, -v7, v3, v35
	v_fma_f32 v2, -v8, v2, v3
	s_waitcnt lgkmcnt(2)
	v_fma_f32 v2, -v9, v30, v2
	v_fma_f32 v2, -v11, v29, v2
	;; [unrolled: 3-line block ×3, first 2 shown]
	s_waitcnt lgkmcnt(0)
	v_fma_f32 v2, -v15, v34, v2
	s_sub_i32 s8, s9, 48
	v_fma_f32 v35, -v17, v33, v2
	v_mov_b32_e32 v2, s8
	ds_read2_b32 v[2:3], v2 offset1:1
	s_sub_i32 s8, s9, 56
	v_mov_b32_e32 v29, s8
	s_sub_i32 s8, s9, 64
	v_mov_b32_e32 v31, s8
	s_add_i32 s8, s9, 0xffffffb8
	v_mov_b32_e32 v33, s8
	ds_read2_b32 v[29:30], v29 offset1:1
	ds_read2_b32 v[31:32], v31 offset1:1
	;; [unrolled: 1-line block ×3, first 2 shown]
	s_waitcnt lgkmcnt(3)
	v_fma_f32 v3, -v18, v3, v35
	v_fma_f32 v2, -v20, v2, v3
	s_waitcnt lgkmcnt(2)
	v_fma_f32 v2, -v21, v30, v2
	v_fma_f32 v2, -v23, v29, v2
	;; [unrolled: 3-line block ×3, first 2 shown]
	s_waitcnt lgkmcnt(0)
	v_fma_f32 v2, -v28, v34, v2
	s_add_i32 s8, s9, 0xffffffb0
	v_fma_f32 v35, -v26, v33, v2
	v_mov_b32_e32 v2, s8
	ds_read2_b32 v[2:3], v2 offset1:1
	s_add_i32 s8, s9, 0xffffffa8
	s_lshl_b32 s6, s6, 2
	v_mov_b32_e32 v29, s8
	s_add_i32 s8, s9, 0xffffffa0
	s_add_i32 s6, s7, s6
	v_mov_b32_e32 v31, s8
	v_mov_b32_e32 v33, s6
	ds_read2_b32 v[29:30], v29 offset1:1
	ds_read2_b32 v[31:32], v31 offset1:1
	;; [unrolled: 1-line block ×3, first 2 shown]
	s_waitcnt lgkmcnt(3)
	v_fma_f32 v3, -v24, v3, v35
	v_fma_f32 v2, -v22, v2, v3
	s_waitcnt lgkmcnt(2)
	v_fma_f32 v2, -v19, v30, v2
	v_fma_f32 v2, -v16, v29, v2
	;; [unrolled: 3-line block ×3, first 2 shown]
	s_waitcnt lgkmcnt(0)
	v_fma_f32 v2, -v36, v34, v2
	s_sub_i32 s6, s4, 27
	v_mul_f32_e32 v35, v2, v33
	v_add_u32_e32 v2, s7, v42
	s_lshl_b32 s7, s6, 7
	s_add_i32 s5, s7, s5
	s_add_i32 s8, s5, -4
	ds_write_b32 v2, v35
	v_mov_b32_e32 v2, s8
	ds_read2_b32 v[2:3], v2 offset1:1
	s_add_i32 s8, s5, -12
	v_mov_b32_e32 v29, s8
	s_sub_i32 s8, s5, 20
	v_mov_b32_e32 v31, s8
	s_sub_i32 s8, s5, 28
	v_mov_b32_e32 v33, s8
	ds_read2_b32 v[29:30], v29 offset1:1
	ds_read2_b32 v[31:32], v31 offset1:1
	;; [unrolled: 1-line block ×3, first 2 shown]
	s_waitcnt lgkmcnt(3)
	v_fma_f32 v1, -v4, v3, v1
	v_fma_f32 v1, -v5, v2, v1
	s_waitcnt lgkmcnt(2)
	v_fma_f32 v1, -v6, v30, v1
	v_fma_f32 v1, -v7, v29, v1
	;; [unrolled: 3-line block ×3, first 2 shown]
	s_waitcnt lgkmcnt(0)
	v_fma_f32 v1, -v11, v34, v1
	s_sub_i32 s8, s5, 36
	v_fma_f32 v9, -v12, v33, v1
	v_mov_b32_e32 v1, s8
	ds_read2_b32 v[1:2], v1 offset1:1
	s_sub_i32 s8, s5, 44
	v_mov_b32_e32 v3, s8
	s_sub_i32 s8, s5, 52
	v_mov_b32_e32 v5, s8
	;; [unrolled: 2-line block ×3, first 2 shown]
	ds_read2_b32 v[3:4], v3 offset1:1
	ds_read2_b32 v[5:6], v5 offset1:1
	;; [unrolled: 1-line block ×3, first 2 shown]
	s_waitcnt lgkmcnt(3)
	v_fma_f32 v2, -v14, v2, v9
	v_fma_f32 v1, -v15, v1, v2
	s_waitcnt lgkmcnt(2)
	v_fma_f32 v1, -v17, v4, v1
	v_fma_f32 v1, -v18, v3, v1
	;; [unrolled: 3-line block ×3, first 2 shown]
	s_waitcnt lgkmcnt(0)
	v_fma_f32 v1, -v23, v8, v1
	s_add_i32 s8, s5, 0xffffffbc
	v_fma_f32 v9, -v25, v7, v1
	v_mov_b32_e32 v1, s8
	ds_read2_b32 v[1:2], v1 offset1:1
	s_add_i32 s8, s5, 0xffffffb4
	v_mov_b32_e32 v3, s8
	s_add_i32 s8, s5, 0xffffffac
	v_mov_b32_e32 v5, s8
	;; [unrolled: 2-line block ×3, first 2 shown]
	ds_read2_b32 v[3:4], v3 offset1:1
	ds_read2_b32 v[5:6], v5 offset1:1
	;; [unrolled: 1-line block ×3, first 2 shown]
	s_waitcnt lgkmcnt(3)
	v_fma_f32 v2, -v27, v2, v9
	v_fma_f32 v1, -v28, v1, v2
	s_waitcnt lgkmcnt(2)
	v_fma_f32 v1, -v26, v4, v1
	v_fma_f32 v1, -v24, v3, v1
	s_waitcnt lgkmcnt(1)
	v_fma_f32 v1, -v22, v6, v1
	s_addk_i32 s5, 0xff9c
	v_fma_f32 v5, -v19, v5, v1
	v_mov_b32_e32 v1, s5
	s_lshl_b32 s5, s6, 2
	ds_read2_b32 v[1:2], v1 offset1:1
	s_add_i32 s5, s7, s5
	v_mov_b32_e32 v3, s5
	ds_read2_b32 v[3:4], v3 offset1:1
	s_waitcnt lgkmcnt(2)
	v_fma_f32 v5, -v16, v8, v5
	v_fma_f32 v5, -v13, v7, v5
	s_waitcnt lgkmcnt(1)
	v_fma_f32 v2, -v10, v2, v5
	v_fma_f32 v1, -v36, v1, v2
	s_waitcnt lgkmcnt(0)
	v_fma_f32 v1, -v35, v4, v1
	v_mul_f32_e32 v1, v1, v3
	v_add_u32_e32 v2, s7, v42
	s_sub_i32 s4, s4, 28
	ds_write_b32 v2, v1
.LBB38_27:
	s_cmp_lt_i32 s4, 0
	s_cbranch_scc1 .LBB38_44
; %bb.28:
	s_and_b32 s5, s4, 3
	s_cmp_eq_u32 s5, 3
	v_lshlrev_b32_e32 v1, 2, v0
	s_mov_b32 s5, s4
	s_cbranch_scc1 .LBB38_33
; %bb.29:
	s_add_i32 s5, s4, 1
	s_and_b32 s6, s5, 3
	s_lshl_b32 s5, s4, 7
	s_lshl_b32 s7, s16, 2
	s_add_i32 s5, s5, s7
	v_lshl_or_b32 v2, s16, 7, v1
	s_add_i32 s7, s5, -4
	v_add_u32_e32 v2, 0xf80, v2
	s_mov_b32 s8, 0
	s_mov_b32 s5, s4
	s_branch .LBB38_31
.LBB38_30:                              ;   in Loop: Header=BB38_31 Depth=1
	s_mul_i32 s9, s5, 0x84
	v_mov_b32_e32 v5, s9
	ds_read_b32 v5, v5
	s_add_i32 s5, s5, -1
	s_add_i32 s8, s8, 1
	s_addk_i32 s7, 0xff80
	s_cmp_lg_u32 s8, s6
	s_waitcnt lgkmcnt(0)
	v_mul_f32_e32 v4, v4, v5
	ds_write_b32 v3, v4
	s_cbranch_scc0 .LBB38_33
.LBB38_31:                              ; =>This Loop Header: Depth=1
                                        ;     Child Loop BB38_32 Depth 2
	s_lshl_b32 s9, s5, 7
	v_add_u32_e32 v3, s9, v42
	ds_read_b32 v4, v3
	s_cmp_le_i32 s11, s5
	v_mov_b32_e32 v5, v2
	s_mov_b32 s9, s7
	s_mov_b32 s15, s11
	s_cbranch_scc1 .LBB38_30
.LBB38_32:                              ;   Parent Loop BB38_31 Depth=1
                                        ; =>  This Inner Loop Header: Depth=2
	v_mov_b32_e32 v7, s9
	ds_read_b32 v6, v5
	ds_read_b32 v7, v7
	s_add_i32 s15, s15, -1
	s_add_i32 s9, s9, -4
	v_add_u32_e32 v5, 0xffffff80, v5
	s_cmp_gt_i32 s15, s5
	s_waitcnt lgkmcnt(0)
	v_fma_f32 v4, -v6, v7, v4
	s_cbranch_scc1 .LBB38_32
	s_branch .LBB38_30
.LBB38_33:
	s_cmp_lt_u32 s4, 3
	s_cbranch_scc1 .LBB38_44
; %bb.34:
	s_lshl_b32 s4, s5, 7
	s_lshl_b32 s6, s16, 2
	s_add_i32 s8, s4, s6
	v_lshl_or_b32 v1, s16, 7, v1
	s_add_i32 s4, s8, -4
	v_add_u32_e32 v1, 0xf80, v1
	s_add_i32 s6, s8, 0xffffff7c
	s_add_i32 s7, s8, 0xfffffefc
	s_addk_i32 s8, 0xfe7c
	s_branch .LBB38_36
.LBB38_35:                              ;   in Loop: Header=BB38_36 Depth=1
	s_addk_i32 s9, 0xff7c
	v_mov_b32_e32 v3, s9
	ds_read_b32 v3, v3
	s_add_i32 s9, s5, -4
	s_addk_i32 s4, 0xfe00
	s_addk_i32 s6, 0xfe00
	;; [unrolled: 1-line block ×4, first 2 shown]
	s_waitcnt lgkmcnt(0)
	v_mul_f32_e32 v3, v5, v3
	s_cmp_lt_i32 s5, 4
	s_mov_b32 s5, s9
	ds_write_b32 v2, v3
	s_cbranch_scc1 .LBB38_44
.LBB38_36:                              ; =>This Loop Header: Depth=1
                                        ;     Child Loop BB38_37 Depth 2
                                        ;     Child Loop BB38_39 Depth 2
	;; [unrolled: 1-line block ×4, first 2 shown]
	s_lshl_b32 s15, s5, 7
	v_add_u32_e32 v3, s15, v42
	ds_read_b32 v4, v3
	s_cmp_le_i32 s11, s5
	v_mov_b32_e32 v2, v1
	s_mov_b32 s9, s4
	s_mov_b32 s17, s11
	s_cbranch_scc1 .LBB38_38
.LBB38_37:                              ;   Parent Loop BB38_36 Depth=1
                                        ; =>  This Inner Loop Header: Depth=2
	v_mov_b32_e32 v6, s9
	ds_read_b32 v5, v2
	ds_read_b32 v6, v6
	s_add_i32 s17, s17, -1
	s_add_i32 s9, s9, -4
	v_add_u32_e32 v2, 0xffffff80, v2
	s_cmp_gt_i32 s17, s5
	s_waitcnt lgkmcnt(0)
	v_fma_f32 v4, -v5, v6, v4
	s_cbranch_scc1 .LBB38_37
.LBB38_38:                              ;   in Loop: Header=BB38_36 Depth=1
	s_mul_i32 s9, s5, 0x84
	v_mov_b32_e32 v2, s9
	ds_read_b32 v6, v2
	s_addk_i32 s15, 0xff80
	v_add_u32_e32 v2, s15, v42
	ds_read_b32 v5, v2
	s_cmp_le_i32 s16, s5
	s_waitcnt lgkmcnt(1)
	v_mul_f32_e32 v4, v4, v6
	ds_write_b32 v3, v4
	v_mov_b32_e32 v3, v1
	s_mov_b32 s15, s6
	s_mov_b32 s17, s16
	s_cbranch_scc1 .LBB38_40
.LBB38_39:                              ;   Parent Loop BB38_36 Depth=1
                                        ; =>  This Inner Loop Header: Depth=2
	v_mov_b32_e32 v6, s15
	ds_read_b32 v4, v3
	ds_read_b32 v6, v6
	s_add_i32 s17, s17, -1
	s_add_i32 s15, s15, -4
	v_add_u32_e32 v3, 0xffffff80, v3
	s_cmp_gt_i32 s17, s5
	s_waitcnt lgkmcnt(0)
	v_fma_f32 v5, -v4, v6, v5
	s_cbranch_scc1 .LBB38_39
.LBB38_40:                              ;   in Loop: Header=BB38_36 Depth=1
	s_addk_i32 s9, 0xff7c
	v_mov_b32_e32 v3, s9
	s_add_i32 s15, s5, -2
	ds_read_b32 v6, v3
	s_lshl_b32 s17, s15, 7
	v_add_u32_e32 v3, s17, v42
	ds_read_b32 v4, v3
	s_cmp_le_i32 s11, s15
	s_waitcnt lgkmcnt(1)
	v_mul_f32_e32 v5, v5, v6
	ds_write_b32 v2, v5
	v_mov_b32_e32 v2, v1
	s_mov_b32 s17, s7
	s_mov_b32 s18, s11
	s_cbranch_scc1 .LBB38_42
.LBB38_41:                              ;   Parent Loop BB38_36 Depth=1
                                        ; =>  This Inner Loop Header: Depth=2
	v_mov_b32_e32 v6, s17
	ds_read_b32 v5, v2
	ds_read_b32 v6, v6
	s_add_i32 s18, s18, -1
	s_add_i32 s17, s17, -4
	v_add_u32_e32 v2, 0xffffff80, v2
	s_cmp_gt_i32 s18, s15
	s_waitcnt lgkmcnt(0)
	v_fma_f32 v4, -v5, v6, v4
	s_cbranch_scc1 .LBB38_41
.LBB38_42:                              ;   in Loop: Header=BB38_36 Depth=1
	s_addk_i32 s9, 0xff7c
	v_mov_b32_e32 v2, s9
	s_add_i32 s15, s5, -3
	ds_read_b32 v6, v2
	s_lshl_b32 s17, s15, 7
	v_add_u32_e32 v2, s17, v42
	ds_read_b32 v5, v2
	s_cmp_le_i32 s11, s15
	s_waitcnt lgkmcnt(1)
	v_mul_f32_e32 v4, v4, v6
	ds_write_b32 v3, v4
	v_mov_b32_e32 v3, v1
	s_mov_b32 s17, s8
	s_mov_b32 s18, s11
	s_cbranch_scc1 .LBB38_35
.LBB38_43:                              ;   Parent Loop BB38_36 Depth=1
                                        ; =>  This Inner Loop Header: Depth=2
	v_mov_b32_e32 v6, s17
	ds_read_b32 v4, v3
	ds_read_b32 v6, v6
	s_add_i32 s18, s18, -1
	s_add_i32 s17, s17, -4
	v_add_u32_e32 v3, 0xffffff80, v3
	s_cmp_gt_i32 s18, s15
	s_waitcnt lgkmcnt(0)
	v_fma_f32 v5, -v4, v6, v5
	s_cbranch_scc1 .LBB38_43
	s_branch .LBB38_35
.LBB38_44:
	s_mov_b64 s[4:5], 0
.LBB38_45:
	s_and_b64 vcc, exec, s[4:5]
	s_cbranch_vccz .LBB38_67
; %bb.46:
	s_cmp_gt_i32 s10, 31
	s_cselect_b64 s[4:5], -1, 0
	s_and_b64 vcc, exec, s[4:5]
	s_cbranch_vccz .LBB38_56
; %bb.47:
	v_add_u32_e32 v15, 0x400, v42
	v_add_u32_e32 v23, 0x800, v42
	;; [unrolled: 1-line block ×3, first 2 shown]
	ds_read2_b32 v[1:2], v42 offset1:32
	ds_read2_b32 v[3:4], v42 offset0:64 offset1:96
	ds_read2_b32 v[5:6], v42 offset0:128 offset1:160
	ds_read2_b32 v[7:8], v42 offset0:192 offset1:224
	ds_read2_b32 v[9:10], v15 offset1:32
	ds_read2_b32 v[11:12], v15 offset0:64 offset1:96
	ds_read2_b32 v[13:14], v15 offset0:128 offset1:160
	ds_read2_b32 v[15:16], v15 offset0:192 offset1:224
	;; [unrolled: 4-line block ×4, first 2 shown]
	s_mov_b32 s15, 0
	s_mov_b64 s[6:7], 0
.LBB38_48:                              ; =>This Loop Header: Depth=1
                                        ;     Child Loop BB38_50 Depth 2
                                        ;     Child Loop BB38_53 Depth 2
	s_cmp_eq_u32 s6, 0
	s_cbranch_scc1 .LBB38_51
; %bb.49:                               ;   in Loop: Header=BB38_48 Depth=1
	s_mov_b64 s[8:9], s[6:7]
	s_mov_b64 s[10:11], 0
	s_mov_b32 s9, s15
.LBB38_50:                              ;   Parent Loop BB38_48 Depth=1
                                        ; =>  This Inner Loop Header: Depth=2
	v_mov_b32_e32 v34, s9
	s_waitcnt lgkmcnt(0)
	s_set_gpr_idx_on s10, gpr_idx(SRC0)
	v_mov_b32_e32 v33, v1
	s_set_gpr_idx_off
	ds_read_b32 v34, v34
	s_addk_i32 s9, 0x80
	s_add_u32 s10, s10, 1
	s_addc_u32 s11, s11, 0
	s_set_gpr_idx_on s6, gpr_idx(SRC0)
	v_mov_b32_e32 v35, v1
	s_set_gpr_idx_off
	s_cmp_eq_u32 s6, s10
	s_waitcnt lgkmcnt(0)
	v_fma_f32 v33, -v33, v34, v35
	s_set_gpr_idx_on s6, gpr_idx(DST)
	v_mov_b32_e32 v1, v33
	s_set_gpr_idx_off
	s_cbranch_scc0 .LBB38_50
	s_branch .LBB38_52
.LBB38_51:                              ;   in Loop: Header=BB38_48 Depth=1
	s_mov_b64 s[8:9], 0
.LBB38_52:                              ;   in Loop: Header=BB38_48 Depth=1
	s_lshl_b32 s11, s6, 2
	s_lshl_b32 s9, s6, 7
	s_add_i32 s11, s11, s9
	v_mov_b32_e32 v33, s11
	ds_read_b32 v33, v33
	s_waitcnt lgkmcnt(1)
	s_set_gpr_idx_on s8, gpr_idx(SRC0)
	v_mov_b32_e32 v35, v1
	s_set_gpr_idx_off
	v_add_u32_e32 v34, s9, v42
	s_or_b32 s10, s6, 1
	s_add_u32 s17, s6, 1
	s_waitcnt lgkmcnt(0)
	v_mul_f32_e32 v33, v35, v33
	ds_write_b32 v34, v33
	s_set_gpr_idx_on s8, gpr_idx(DST)
	v_mov_b32_e32 v1, v33
	s_set_gpr_idx_off
	s_mov_b64 s[8:9], 0
	s_mov_b32 s18, 4
.LBB38_53:                              ;   Parent Loop BB38_48 Depth=1
                                        ; =>  This Inner Loop Header: Depth=2
	s_add_i32 s19, s15, s18
	v_mov_b32_e32 v34, s19
	s_set_gpr_idx_on s8, gpr_idx(SRC0)
	v_mov_b32_e32 v33, v1
	s_set_gpr_idx_off
	ds_read_b32 v34, v34
	s_add_u32 s8, s8, 1
	s_set_gpr_idx_on s10, gpr_idx(SRC0)
	v_mov_b32_e32 v35, v1
	s_set_gpr_idx_off
	s_addc_u32 s9, s9, 0
	s_addk_i32 s18, 0x80
	s_cmp_lg_u32 s17, s8
	s_waitcnt lgkmcnt(0)
	v_fma_f32 v33, -v33, v34, v35
	s_set_gpr_idx_on s10, gpr_idx(DST)
	v_mov_b32_e32 v1, v33
	s_set_gpr_idx_off
	s_cbranch_scc1 .LBB38_53
; %bb.54:                               ;   in Loop: Header=BB38_48 Depth=1
	v_mov_b32_e32 v34, s11
	ds_read_b32 v34, v34 offset:132
	s_add_u32 s6, s6, 2
	s_addc_u32 s7, s7, 0
	s_add_i32 s15, s15, 8
	v_lshl_add_u32 v35, s10, 7, v42
	s_waitcnt lgkmcnt(0)
	v_mul_f32_e32 v33, v33, v34
	s_cmp_eq_u32 s6, 32
	s_set_gpr_idx_on s10, gpr_idx(DST)
	v_mov_b32_e32 v1, v33
	s_set_gpr_idx_off
	ds_write_b32 v35, v33
	s_cbranch_scc0 .LBB38_48
; %bb.55:
	s_mov_b32 s6, 32
	s_cmp_lt_i32 s6, s16
	s_cbranch_scc1 .LBB38_57
	s_branch .LBB38_67
.LBB38_56:
	s_mov_b32 s6, 0
	s_cmp_lt_i32 s6, s16
	s_cbranch_scc0 .LBB38_67
.LBB38_57:
	s_or_b32 s7, s6, 27
	s_cmp_ge_u32 s7, s16
	s_cbranch_scc1 .LBB38_62
; %bb.58:
	s_lshl_b32 s8, s6, 7
	v_add_u32_e32 v25, s8, v42
	v_add_u32_e32 v1, 0x400, v25
	ds_read2_b32 v[23:24], v25 offset1:32
	ds_read2_b32 v[21:22], v25 offset0:64 offset1:96
	ds_read2_b32 v[19:20], v25 offset0:128 offset1:160
	;; [unrolled: 1-line block ×3, first 2 shown]
	ds_read2_b32 v[15:16], v1 offset1:32
	ds_read2_b32 v[13:14], v1 offset0:64 offset1:96
	ds_read2_b32 v[11:12], v1 offset0:128 offset1:160
	;; [unrolled: 1-line block ×3, first 2 shown]
	v_add_u32_e32 v1, 0x800, v25
	ds_read2_b32 v[7:8], v1 offset1:32
	ds_read2_b32 v[5:6], v1 offset0:64 offset1:96
	ds_read2_b32 v[3:4], v1 offset0:128 offset1:160
	;; [unrolled: 1-line block ×3, first 2 shown]
	v_add_u32_e32 v26, 0xc00, v25
	s_lshl_b32 s9, s7, 7
	ds_read2_b32 v[28:29], v26 offset1:32
	v_add_u32_e32 v43, s9, v42
	ds_read_b32 v64, v25 offset:3328
	ds_read_b32 v58, v43
	s_andn2_b64 vcc, exec, s[4:5]
	s_lshl_b32 s4, s6, 2
	s_cbranch_vccnz .LBB38_61
; %bb.59:
	v_mov_b32_e32 v26, 0x1000
	v_lshl_or_b32 v26, v0, 2, v26
	s_mov_b32 s5, s4
	s_mov_b32 s9, s6
.LBB38_60:                              ; =>This Inner Loop Header: Depth=1
	v_mov_b32_e32 v56, s5
	ds_read_b32 v27, v26
	ds_read_b128 v[30:33], v56
	ds_read_b128 v[34:37], v56 offset:16
	ds_read_b128 v[38:41], v56 offset:32
	;; [unrolled: 1-line block ×6, first 2 shown]
	s_add_i32 s9, s9, -1
	s_addk_i32 s5, 0x80
	v_add_u32_e32 v26, 0x80, v26
	s_cmp_lg_u32 s9, 0
	s_waitcnt lgkmcnt(6)
	v_fma_f32 v23, -v27, v30, v23
	v_fma_f32 v24, -v27, v31, v24
	v_fma_f32 v21, -v27, v32, v21
	v_fma_f32 v22, -v27, v33, v22
	s_waitcnt lgkmcnt(5)
	v_fma_f32 v19, -v27, v34, v19
	v_fma_f32 v20, -v27, v35, v20
	v_fma_f32 v17, -v27, v36, v17
	v_fma_f32 v18, -v27, v37, v18
	;; [unrolled: 5-line block ×7, first 2 shown]
	s_cbranch_scc1 .LBB38_60
.LBB38_61:
	s_add_i32 s5, s4, s8
	v_mov_b32_e32 v80, s5
	ds_read_b128 v[30:33], v80
	ds_read_b128 v[34:37], v80 offset:16
	s_or_b32 s9, s8, 0x80
	s_or_b32 s10, s8, 0x100
	;; [unrolled: 1-line block ×3, first 2 shown]
	s_waitcnt lgkmcnt(1)
	v_mul_f32_e32 v77, v23, v30
	ds_write_b32 v25, v77
	v_fma_f32 v25, -v77, v31, v24
	ds_read2_b32 v[23:24], v80 offset0:33 offset1:34
	v_fma_f32 v21, -v77, v32, v21
	s_waitcnt lgkmcnt(2)
	v_fma_f32 v19, -v77, v34, v19
	v_fma_f32 v17, -v77, v36, v17
	ds_read2_b32 v[30:31], v80 offset0:165 offset1:166
	s_waitcnt lgkmcnt(1)
	v_mul_f32_e32 v59, v25, v23
	v_add_u32_e32 v23, s9, v42
	ds_write_b32 v23, v59
	v_fma_f32 v21, -v59, v24, v21
	ds_read2_b64 v[23:26], v80 offset0:33 offset1:34
	s_add_i32 s9, s4, s9
	v_mov_b32_e32 v62, s9
	s_add_i32 s9, s4, s10
	v_mov_b32_e32 v79, s9
	s_waitcnt lgkmcnt(0)
	v_mul_f32_e32 v61, v21, v23
	v_add_u32_e32 v21, s10, v42
	ds_write_b32 v21, v61
	v_fma_f32 v23, -v77, v33, v22
	ds_read2_b32 v[21:22], v62 offset0:3 offset1:4
	s_or_b32 s10, s8, 0x180
	s_waitcnt lgkmcnt(0)
	v_fma_f32 v21, -v59, v21, v23
	v_fma_f32 v21, -v61, v24, v21
	ds_read2_b32 v[23:24], v80 offset0:99 offset1:100
	v_fma_f32 v19, -v59, v22, v19
	v_fma_f32 v19, -v61, v25, v19
	s_waitcnt lgkmcnt(0)
	v_mul_f32_e32 v60, v21, v23
	v_add_u32_e32 v21, s10, v42
	ds_write_b32 v21, v60
	v_fma_f32 v19, -v60, v24, v19
	ds_read_b128 v[21:24], v80 offset:528
	s_add_i32 s10, s4, s10
	v_mov_b32_e32 v65, s10
	s_add_i32 s10, s4, s11
	v_mov_b32_e32 v82, s10
	s_waitcnt lgkmcnt(0)
	v_mul_f32_e32 v63, v19, v21
	v_add_u32_e32 v19, s11, v42
	ds_write_b32 v19, v63
	v_fma_f32 v21, -v77, v35, v20
	ds_read2_b32 v[19:20], v62 offset0:5 offset1:6
	ds_read2_b32 v[34:35], v65 offset0:7 offset1:8
	s_or_b32 s11, s8, 0x280
	s_add_i32 s9, s4, s11
	v_mov_b32_e32 v68, s9
	s_waitcnt lgkmcnt(1)
	v_fma_f32 v19, -v59, v19, v21
	v_fma_f32 v19, -v61, v26, v19
	ds_read2_b32 v[25:26], v65 offset0:5 offset1:6
	v_fma_f32 v17, -v59, v20, v17
	s_waitcnt lgkmcnt(0)
	v_fma_f32 v19, -v60, v25, v19
	v_fma_f32 v19, -v63, v22, v19
	v_mul_f32_e32 v66, v19, v30
	v_add_u32_e32 v19, s11, v42
	ds_write_b32 v19, v66
	ds_read2_b64 v[19:22], v79 offset0:3 offset1:4
	s_or_b32 s11, s8, 0x300
	s_add_i32 s9, s4, s11
	v_mov_b32_e32 v81, s9
	s_waitcnt lgkmcnt(0)
	v_fma_f32 v17, -v61, v19, v17
	v_fma_f32 v17, -v60, v26, v17
	;; [unrolled: 1-line block ×4, first 2 shown]
	ds_read2_b64 v[30:33], v80 offset0:99 offset1:100
	ds_read2_b32 v[25:26], v62 offset0:7 offset1:8
	s_waitcnt lgkmcnt(1)
	v_mul_f32_e32 v67, v17, v30
	v_add_u32_e32 v17, s11, v42
	ds_write_b32 v17, v67
	v_fma_f32 v17, -v77, v37, v18
	ds_read2_b32 v[36:37], v68 offset0:7 offset1:8
	s_waitcnt lgkmcnt(2)
	v_fma_f32 v17, -v59, v25, v17
	v_fma_f32 v17, -v61, v20, v17
	;; [unrolled: 1-line block ×4, first 2 shown]
	s_waitcnt lgkmcnt(0)
	v_fma_f32 v17, -v66, v36, v17
	v_fma_f32 v17, -v67, v31, v17
	ds_read2_b32 v[30:31], v80 offset0:231 offset1:232
	s_or_b32 s11, s8, 0x380
	s_add_i32 s10, s4, s11
	v_mov_b32_e32 v71, s10
	ds_read2_b32 v[38:39], v71 offset0:11 offset1:12
	s_waitcnt lgkmcnt(1)
	v_mul_f32_e32 v69, v17, v30
	v_add_u32_e32 v17, s11, v42
	ds_write_b32 v17, v69
	ds_read_b128 v[17:20], v80 offset:32
	s_or_b32 s11, s8, 0x400
	s_add_i32 s10, s4, s11
	v_mov_b32_e32 v84, s10
	ds_read_b128 v[91:94], v84 offset:80
	s_waitcnt lgkmcnt(1)
	v_fma_f32 v15, -v77, v17, v15
	v_fma_f32 v15, -v59, v26, v15
	ds_read_b128 v[23:26], v82 offset:32
	v_fma_f32 v15, -v61, v21, v15
	v_fma_f32 v15, -v60, v35, v15
	;; [unrolled: 1-line block ×4, first 2 shown]
	s_waitcnt lgkmcnt(0)
	v_fma_f32 v15, -v63, v23, v15
	v_fma_f32 v15, -v66, v37, v15
	ds_read_b128 v[34:37], v80 offset:1056
	v_fma_f32 v15, -v67, v32, v15
	v_fma_f32 v15, -v69, v31, v15
	ds_read2_b32 v[30:31], v71 offset0:9 offset1:10
	s_waitcnt lgkmcnt(1)
	v_mul_f32_e32 v70, v15, v34
	v_add_u32_e32 v15, s11, v42
	ds_write_b32 v15, v70
	ds_read2_b32 v[15:16], v62 offset0:9 offset1:10
	s_add_i32 s11, s5, 0x4a4
	s_waitcnt lgkmcnt(0)
	v_fma_f32 v15, -v59, v15, v17
	v_fma_f32 v15, -v61, v22, v15
	ds_read2_b32 v[21:22], v65 offset0:9 offset1:10
	v_mov_b32_e32 v17, s11
	s_or_b32 s11, s8, 0x480
	v_fma_f32 v13, -v59, v16, v13
	s_add_i32 s9, s4, s11
	s_waitcnt lgkmcnt(0)
	v_fma_f32 v15, -v60, v21, v15
	v_fma_f32 v15, -v63, v24, v15
	ds_read2_b32 v[23:24], v68 offset0:9 offset1:10
	v_mov_b32_e32 v74, s9
	s_waitcnt lgkmcnt(0)
	v_fma_f32 v15, -v66, v23, v15
	v_fma_f32 v15, -v67, v33, v15
	ds_read2_b32 v[32:33], v17 offset1:1
	v_fma_f32 v15, -v69, v30, v15
	v_fma_f32 v15, -v70, v35, v15
	ds_read2_b32 v[34:35], v65 offset0:11 offset1:12
	s_waitcnt lgkmcnt(1)
	v_mul_f32_e32 v72, v15, v32
	v_add_u32_e32 v15, s11, v42
	ds_write_b32 v15, v72
	ds_read2_b64 v[15:18], v79 offset0:5 offset1:6
	s_or_b32 s11, s8, 0x500
	s_add_i32 s9, s4, s11
	v_mov_b32_e32 v83, s9
	s_waitcnt lgkmcnt(0)
	v_fma_f32 v13, -v61, v15, v13
	v_fma_f32 v13, -v60, v22, v13
	;; [unrolled: 1-line block ×4, first 2 shown]
	ds_read2_b64 v[21:24], v81 offset0:5 offset1:6
	s_waitcnt lgkmcnt(0)
	v_fma_f32 v13, -v67, v21, v13
	v_fma_f32 v13, -v69, v31, v13
	v_fma_f32 v13, -v70, v36, v13
	v_fma_f32 v13, -v72, v33, v13
	ds_read2_b64 v[30:33], v80 offset0:165 offset1:166
	s_waitcnt lgkmcnt(0)
	v_mul_f32_e32 v73, v13, v30
	v_add_u32_e32 v13, s11, v42
	ds_write_b32 v13, v73
	v_fma_f32 v13, -v77, v20, v14
	ds_read2_b32 v[19:20], v62 offset0:11 offset1:12
	s_add_i32 s11, s5, 0x5ac
	v_mov_b32_e32 v14, s11
	s_or_b32 s11, s8, 0x580
	s_add_i32 s10, s4, s11
	v_mov_b32_e32 v78, s10
	ds_read2_b32 v[44:45], v78 offset0:15 offset1:16
	s_waitcnt lgkmcnt(1)
	v_fma_f32 v13, -v59, v19, v13
	v_fma_f32 v13, -v61, v16, v13
	;; [unrolled: 1-line block ×4, first 2 shown]
	ds_read2_b32 v[25:26], v68 offset0:11 offset1:12
	s_addk_i32 s5, 0x6b4
	s_waitcnt lgkmcnt(0)
	v_fma_f32 v13, -v66, v25, v13
	v_fma_f32 v13, -v67, v22, v13
	;; [unrolled: 1-line block ×4, first 2 shown]
	ds_read2_b32 v[37:38], v74 offset0:11 offset1:12
	s_waitcnt lgkmcnt(0)
	v_fma_f32 v13, -v72, v37, v13
	v_fma_f32 v13, -v73, v31, v13
	ds_read2_b32 v[30:31], v14 offset1:1
	s_waitcnt lgkmcnt(0)
	v_mul_f32_e32 v75, v13, v30
	v_add_u32_e32 v13, s11, v42
	ds_write_b32 v13, v75
	ds_read_b128 v[13:16], v80 offset:48
	s_or_b32 s11, s8, 0x600
	s_add_i32 s10, s4, s11
	v_mov_b32_e32 v86, s10
	ds_read_b128 v[95:98], v86 offset:80
	s_waitcnt lgkmcnt(1)
	v_fma_f32 v11, -v77, v13, v11
	v_fma_f32 v11, -v59, v20, v11
	ds_read_b128 v[19:22], v82 offset:48
	v_fma_f32 v11, -v61, v17, v11
	v_fma_f32 v11, -v60, v35, v11
	ds_read_b128 v[34:37], v84 offset:48
	v_fma_f32 v13, -v77, v14, v12
	s_waitcnt lgkmcnt(1)
	v_fma_f32 v11, -v63, v19, v11
	v_fma_f32 v11, -v66, v26, v11
	;; [unrolled: 1-line block ×4, first 2 shown]
	s_waitcnt lgkmcnt(0)
	v_fma_f32 v11, -v70, v34, v11
	v_fma_f32 v11, -v72, v38, v11
	ds_read_b128 v[38:41], v80 offset:1584
	v_fma_f32 v11, -v73, v32, v11
	v_fma_f32 v11, -v75, v31, v11
	ds_read2_b32 v[25:26], v74 offset0:13 offset1:14
	ds_read2_b32 v[30:31], v78 offset0:13 offset1:14
	s_waitcnt lgkmcnt(2)
	v_mul_f32_e32 v76, v11, v38
	v_add_u32_e32 v11, s11, v42
	ds_write_b32 v11, v76
	ds_read2_b32 v[11:12], v62 offset0:13 offset1:14
	v_fma_f32 v9, -v77, v15, v9
	s_waitcnt lgkmcnt(0)
	v_fma_f32 v11, -v59, v11, v13
	v_fma_f32 v11, -v61, v18, v11
	ds_read2_b32 v[17:18], v65 offset0:13 offset1:14
	v_mov_b32_e32 v13, s5
	s_or_b32 s5, s8, 0x680
	v_fma_f32 v9, -v59, v12, v9
	s_or_b32 s8, s8, 0x700
	s_waitcnt lgkmcnt(0)
	v_fma_f32 v11, -v60, v17, v11
	v_fma_f32 v11, -v63, v20, v11
	ds_read2_b32 v[19:20], v68 offset0:13 offset1:14
	s_waitcnt lgkmcnt(0)
	v_fma_f32 v11, -v66, v19, v11
	v_fma_f32 v11, -v67, v24, v11
	ds_read2_b32 v[23:24], v71 offset0:13 offset1:14
	s_waitcnt lgkmcnt(0)
	v_fma_f32 v11, -v69, v23, v11
	v_fma_f32 v11, -v70, v35, v11
	;; [unrolled: 1-line block ×4, first 2 shown]
	ds_read2_b32 v[32:33], v13 offset1:1
	v_fma_f32 v11, -v75, v30, v11
	v_fma_f32 v11, -v76, v39, v11
	ds_read2_b32 v[34:35], v65 offset0:15 offset1:16
	ds_read2_b32 v[38:39], v71 offset0:15 offset1:16
	s_waitcnt lgkmcnt(2)
	v_mul_f32_e32 v46, v11, v32
	v_add_u32_e32 v11, s5, v42
	ds_write_b32 v11, v46
	ds_read2_b64 v[11:14], v79 offset0:7 offset1:8
	s_add_i32 s5, s4, s5
	v_mov_b32_e32 v55, s5
	s_add_i32 s5, s4, s8
	v_mov_b32_e32 v85, s5
	s_waitcnt lgkmcnt(0)
	v_fma_f32 v9, -v61, v11, v9
	v_fma_f32 v9, -v60, v18, v9
	v_fma_f32 v9, -v63, v21, v9
	v_fma_f32 v9, -v66, v20, v9
	ds_read2_b64 v[17:20], v81 offset0:7 offset1:8
	s_waitcnt lgkmcnt(0)
	v_fma_f32 v9, -v67, v17, v9
	v_fma_f32 v9, -v69, v24, v9
	v_fma_f32 v9, -v70, v36, v9
	v_fma_f32 v9, -v72, v26, v9
	ds_read2_b64 v[23:26], v83 offset0:7 offset1:8
	s_waitcnt lgkmcnt(0)
	v_fma_f32 v9, -v73, v23, v9
	v_fma_f32 v9, -v75, v31, v9
	v_fma_f32 v9, -v76, v40, v9
	v_fma_f32 v9, -v46, v33, v9
	ds_read2_b64 v[30:33], v80 offset0:231 offset1:232
	s_waitcnt lgkmcnt(0)
	v_mul_f32_e32 v50, v9, v30
	v_add_u32_e32 v9, s8, v42
	ds_write_b32 v9, v50
	v_fma_f32 v9, -v77, v16, v10
	ds_read2_b32 v[15:16], v62 offset0:15 offset1:16
	s_or_b32 s8, s6, 15
	s_mul_i32 s9, s8, 0x84
	v_mov_b32_e32 v10, s9
	s_lshl_b32 s8, s8, 7
	s_waitcnt lgkmcnt(0)
	v_fma_f32 v9, -v59, v15, v9
	v_fma_f32 v9, -v61, v12, v9
	;; [unrolled: 1-line block ×4, first 2 shown]
	ds_read2_b32 v[21:22], v68 offset0:15 offset1:16
	s_or_b32 s9, s6, 16
	s_mul_i32 s10, s9, 0x84
	s_lshl_b32 s9, s9, 7
	s_waitcnt lgkmcnt(0)
	v_fma_f32 v9, -v66, v21, v9
	v_fma_f32 v9, -v67, v18, v9
	v_fma_f32 v9, -v69, v38, v9
	v_fma_f32 v9, -v70, v37, v9
	ds_read2_b32 v[36:37], v74 offset0:15 offset1:16
	s_waitcnt lgkmcnt(0)
	v_fma_f32 v9, -v72, v36, v9
	v_fma_f32 v9, -v73, v24, v9
	;; [unrolled: 1-line block ×4, first 2 shown]
	ds_read2_b32 v[40:41], v55 offset0:15 offset1:16
	s_waitcnt lgkmcnt(0)
	v_fma_f32 v9, -v46, v40, v9
	v_fma_f32 v9, -v50, v31, v9
	ds_read2_b32 v[30:31], v10 offset1:1
	s_waitcnt lgkmcnt(0)
	v_mul_f32_e32 v44, v9, v30
	v_add_u32_e32 v9, s8, v42
	ds_write_b32 v9, v44
	ds_read_b128 v[9:12], v80 offset:64
	s_add_i32 s8, s4, s8
	v_mov_b32_e32 v52, s8
	s_add_i32 s8, s4, s9
	s_waitcnt lgkmcnt(0)
	v_fma_f32 v7, -v77, v9, v7
	v_fma_f32 v7, -v59, v16, v7
	ds_read_b128 v[15:18], v82 offset:64
	v_fma_f32 v7, -v61, v13, v7
	v_fma_f32 v7, -v60, v35, v7
	v_mov_b32_e32 v9, s10
	v_fma_f32 v5, -v77, v11, v5
	s_waitcnt lgkmcnt(0)
	v_fma_f32 v7, -v63, v15, v7
	v_fma_f32 v7, -v66, v22, v7
	ds_read_b128 v[21:24], v84 offset:64
	v_fma_f32 v7, -v67, v19, v7
	v_fma_f32 v7, -v69, v39, v7
	s_waitcnt lgkmcnt(0)
	v_fma_f32 v7, -v70, v21, v7
	v_fma_f32 v7, -v72, v37, v7
	ds_read_b128 v[34:37], v86 offset:64
	v_fma_f32 v7, -v73, v25, v7
	v_fma_f32 v7, -v75, v45, v7
	s_waitcnt lgkmcnt(0)
	v_fma_f32 v7, -v76, v34, v7
	v_fma_f32 v7, -v46, v41, v7
	ds_read_b128 v[38:41], v9
	v_fma_f32 v7, -v50, v32, v7
	v_fma_f32 v7, -v44, v31, v7
	ds_read2_b32 v[30:31], v55 offset0:17 offset1:18
	v_fma_f32 v9, -v77, v10, v8
	s_waitcnt lgkmcnt(1)
	v_mul_f32_e32 v47, v7, v38
	v_add_u32_e32 v7, s9, v42
	ds_write_b32 v7, v47
	ds_read2_b32 v[7:8], v62 offset0:17 offset1:18
	s_or_b32 s9, s6, 17
	s_mul_i32 s10, s9, 0x84
	s_lshl_b32 s9, s9, 7
	s_add_i32 s5, s4, s9
	s_waitcnt lgkmcnt(0)
	v_fma_f32 v7, -v59, v7, v9
	v_fma_f32 v7, -v61, v14, v7
	ds_read2_b32 v[13:14], v65 offset0:17 offset1:18
	v_mov_b32_e32 v9, s10
	v_fma_f32 v5, -v59, v8, v5
	v_mov_b32_e32 v53, s5
	s_waitcnt lgkmcnt(0)
	v_fma_f32 v7, -v60, v13, v7
	v_fma_f32 v7, -v63, v16, v7
	ds_read2_b32 v[15:16], v68 offset0:17 offset1:18
	s_waitcnt lgkmcnt(0)
	v_fma_f32 v7, -v66, v15, v7
	v_fma_f32 v7, -v67, v20, v7
	ds_read2_b32 v[19:20], v71 offset0:17 offset1:18
	;; [unrolled: 4-line block ×4, first 2 shown]
	s_waitcnt lgkmcnt(0)
	v_fma_f32 v7, -v75, v25, v7
	v_fma_f32 v7, -v76, v35, v7
	v_fma_f32 v7, -v46, v30, v7
	v_fma_f32 v7, -v50, v33, v7
	ds_read2_b32 v[33:34], v52 offset0:17 offset1:18
	s_waitcnt lgkmcnt(0)
	v_fma_f32 v7, -v44, v33, v7
	v_fma_f32 v7, -v47, v39, v7
	ds_read2_b32 v[38:39], v9 offset1:1
	s_waitcnt lgkmcnt(0)
	v_mul_f32_e32 v45, v7, v38
	v_add_u32_e32 v7, s9, v42
	ds_write_b32 v7, v45
	ds_read2_b64 v[7:10], v79 offset0:9 offset1:10
	s_or_b32 s9, s6, 18
	s_mul_i32 s10, s9, 0x84
	s_lshl_b32 s9, s9, 7
	s_add_i32 s5, s4, s9
	s_waitcnt lgkmcnt(0)
	v_fma_f32 v5, -v61, v7, v5
	v_fma_f32 v5, -v60, v14, v5
	;; [unrolled: 1-line block ×4, first 2 shown]
	ds_read2_b64 v[13:16], v81 offset0:9 offset1:10
	v_mov_b32_e32 v7, s10
	ds_read2_b64 v[87:90], v7 offset1:1
	s_waitcnt lgkmcnt(1)
	v_fma_f32 v5, -v67, v13, v5
	v_fma_f32 v5, -v69, v20, v5
	v_fma_f32 v5, -v70, v23, v5
	v_fma_f32 v5, -v72, v22, v5
	ds_read2_b64 v[19:22], v83 offset0:9 offset1:10
	s_waitcnt lgkmcnt(0)
	v_fma_f32 v5, -v73, v19, v5
	v_fma_f32 v5, -v75, v26, v5
	;; [unrolled: 1-line block ×4, first 2 shown]
	ds_read2_b64 v[30:33], v85 offset0:9 offset1:10
	ds_read2_b32 v[25:26], v52 offset0:19 offset1:20
	v_fma_f32 v7, -v77, v12, v6
	ds_read2_b32 v[11:12], v68 offset0:19 offset1:20
	s_waitcnt lgkmcnt(2)
	v_fma_f32 v5, -v50, v30, v5
	v_fma_f32 v5, -v44, v34, v5
	;; [unrolled: 1-line block ×4, first 2 shown]
	v_mul_f32_e32 v49, v5, v87
	v_add_u32_e32 v5, s9, v42
	ds_write_b32 v5, v49
	ds_read2_b32 v[5:6], v62 offset0:19 offset1:20
	s_or_b32 s9, s6, 19
	s_mul_i32 s10, s9, 0x84
	s_lshl_b32 s9, s9, 7
	v_mov_b32_e32 v87, s5
	s_waitcnt lgkmcnt(0)
	v_fma_f32 v5, -v59, v5, v7
	v_fma_f32 v5, -v61, v8, v5
	ds_read2_b32 v[7:8], v65 offset0:19 offset1:20
	s_waitcnt lgkmcnt(0)
	v_fma_f32 v5, -v60, v7, v5
	v_fma_f32 v5, -v63, v18, v5
	;; [unrolled: 1-line block ×4, first 2 shown]
	ds_read2_b32 v[13:14], v71 offset0:19 offset1:20
	ds_read2_b32 v[17:18], v74 offset0:19 offset1:20
	v_mov_b32_e32 v7, s10
	s_waitcnt lgkmcnt(1)
	v_fma_f32 v5, -v69, v13, v5
	v_fma_f32 v5, -v70, v24, v5
	ds_read2_b32 v[23:24], v55 offset0:19 offset1:20
	s_waitcnt lgkmcnt(1)
	v_fma_f32 v5, -v72, v17, v5
	v_fma_f32 v5, -v73, v20, v5
	ds_read2_b32 v[19:20], v78 offset0:19 offset1:20
	s_waitcnt lgkmcnt(0)
	v_fma_f32 v5, -v75, v19, v5
	v_fma_f32 v5, -v76, v37, v5
	ds_read_b128 v[34:37], v80 offset:80
	v_fma_f32 v5, -v46, v23, v5
	v_fma_f32 v5, -v50, v31, v5
	;; [unrolled: 1-line block ×4, first 2 shown]
	ds_read_b128 v[38:41], v82 offset:80
	s_waitcnt lgkmcnt(1)
	v_fma_f32 v3, -v77, v34, v3
	v_fma_f32 v3, -v59, v6, v3
	;; [unrolled: 1-line block ×4, first 2 shown]
	s_waitcnt lgkmcnt(0)
	v_fma_f32 v3, -v63, v38, v3
	v_fma_f32 v3, -v66, v12, v3
	;; [unrolled: 1-line block ×6, first 2 shown]
	ds_read2_b32 v[30:31], v53 offset0:19 offset1:20
	ds_read2_b32 v[11:12], v74 offset0:21 offset1:22
	v_fma_f32 v3, -v73, v21, v3
	v_fma_f32 v3, -v75, v20, v3
	;; [unrolled: 1-line block ×4, first 2 shown]
	ds_read2_b32 v[23:24], v55 offset0:21 offset1:22
	ds_read2_b32 v[56:57], v7 offset1:1
	s_waitcnt lgkmcnt(3)
	v_fma_f32 v5, -v45, v30, v5
	v_fma_f32 v5, -v49, v88, v5
	v_mov_b32_e32 v88, s8
	ds_read_b128 v[99:102], v88 offset:80
	s_waitcnt lgkmcnt(1)
	v_mul_f32_e32 v48, v5, v56
	v_add_u32_e32 v5, s9, v42
	s_add_i32 s8, s4, s9
	s_or_b32 s9, s6, 20
	s_mul_i32 s10, s9, 0x84
	ds_write_b32 v5, v48
	v_fma_f32 v3, -v50, v32, v3
	v_mov_b32_e32 v5, s10
	v_fma_f32 v3, -v44, v26, v3
	ds_read_b128 v[103:106], v5
	ds_read2_b32 v[25:26], v52 offset0:21 offset1:22
	s_waitcnt lgkmcnt(3)
	v_fma_f32 v3, -v47, v99, v3
	v_fma_f32 v3, -v45, v31, v3
	v_fma_f32 v3, -v49, v89, v3
	v_fma_f32 v3, -v48, v57, v3
	s_lshl_b32 s9, s9, 7
	s_waitcnt lgkmcnt(1)
	v_mul_f32_e32 v54, v3, v103
	v_add_u32_e32 v3, s9, v42
	ds_write_b32 v3, v54
	v_fma_f32 v5, -v77, v35, v4
	ds_read2_b32 v[3:4], v62 offset0:21 offset1:22
	ds_read2_b32 v[7:8], v68 offset0:21 offset1:22
	v_fma_f32 v1, -v77, v36, v1
	ds_read2_b32 v[30:31], v53 offset0:21 offset1:22
	v_mov_b32_e32 v57, s8
	s_waitcnt lgkmcnt(2)
	v_fma_f32 v3, -v59, v3, v5
	ds_read2_b32 v[5:6], v65 offset0:21 offset1:22
	v_fma_f32 v3, -v61, v10, v3
	ds_read2_b32 v[9:10], v71 offset0:21 offset1:22
	v_fma_f32 v1, -v59, v4, v1
	s_add_i32 s8, s4, s9
	s_waitcnt lgkmcnt(1)
	v_fma_f32 v3, -v60, v5, v3
	v_fma_f32 v3, -v63, v39, v3
	;; [unrolled: 1-line block ×4, first 2 shown]
	ds_read2_b32 v[15:16], v78 offset0:21 offset1:22
	s_waitcnt lgkmcnt(1)
	v_fma_f32 v3, -v69, v9, v3
	v_fma_f32 v3, -v70, v92, v3
	;; [unrolled: 1-line block ×4, first 2 shown]
	s_waitcnt lgkmcnt(0)
	v_fma_f32 v3, -v75, v15, v3
	v_fma_f32 v3, -v76, v96, v3
	v_fma_f32 v3, -v46, v23, v3
	ds_read2_b64 v[20:23], v79 offset0:11 offset1:12
	s_or_b32 s9, s6, 21
	v_fma_f32 v3, -v50, v33, v3
	ds_read2_b32 v[32:33], v57 offset0:21 offset1:22
	s_mul_i32 s10, s9, 0x84
	s_waitcnt lgkmcnt(1)
	v_fma_f32 v1, -v61, v20, v1
	ds_read2_b64 v[17:20], v81 offset0:11 offset1:12
	v_fma_f32 v1, -v60, v6, v1
	v_fma_f32 v1, -v63, v40, v1
	;; [unrolled: 1-line block ×4, first 2 shown]
	s_waitcnt lgkmcnt(0)
	v_fma_f32 v1, -v67, v17, v1
	v_fma_f32 v1, -v69, v10, v1
	;; [unrolled: 1-line block ×4, first 2 shown]
	ds_read2_b64 v[12:15], v83 offset0:11 offset1:12
	v_mov_b32_e32 v5, s10
	v_fma_f32 v3, -v47, v100, v3
	s_lshl_b32 s9, s9, 7
	s_add_i32 s5, s4, s9
	s_waitcnt lgkmcnt(0)
	v_fma_f32 v1, -v73, v12, v1
	v_fma_f32 v1, -v75, v16, v1
	ds_read2_b32 v[16:17], v68 offset0:23 offset1:24
	ds_read2_b32 v[34:35], v5 offset1:1
	ds_read2_b64 v[5:8], v85 offset0:11 offset1:12
	ds_read2_b64 v[9:12], v87 offset0:11 offset1:12
	v_fma_f32 v3, -v45, v30, v3
	v_fma_f32 v3, -v49, v90, v3
	;; [unrolled: 1-line block ×6, first 2 shown]
	s_waitcnt lgkmcnt(2)
	v_mul_f32_e32 v51, v3, v34
	v_add_u32_e32 v3, s9, v42
	s_waitcnt lgkmcnt(1)
	v_fma_f32 v1, -v50, v5, v1
	s_or_b32 s9, s6, 22
	v_fma_f32 v1, -v44, v26, v1
	s_mul_i32 s10, s9, 0x84
	ds_write_b32 v3, v51
	v_fma_f32 v1, -v47, v101, v1
	v_mov_b32_e32 v3, s10
	v_fma_f32 v1, -v45, v31, v1
	ds_read2_b64 v[24:27], v3 offset1:1
	ds_read2_b32 v[38:39], v53 offset0:23 offset1:24
	s_waitcnt lgkmcnt(3)
	v_fma_f32 v1, -v49, v9, v1
	v_fma_f32 v1, -v48, v33, v1
	;; [unrolled: 1-line block ×4, first 2 shown]
	s_lshl_b32 s9, s9, 7
	s_waitcnt lgkmcnt(1)
	v_mul_f32_e32 v56, v1, v24
	v_add_u32_e32 v1, s9, v42
	ds_write_b32 v1, v56
	v_fma_f32 v3, -v77, v37, v2
	ds_read2_b32 v[1:2], v62 offset0:23 offset1:24
	ds_read2_b32 v[30:31], v71 offset0:23 offset1:24
	;; [unrolled: 1-line block ×5, first 2 shown]
	s_waitcnt lgkmcnt(4)
	v_fma_f32 v1, -v59, v1, v3
	ds_read2_b32 v[3:4], v65 offset0:23 offset1:24
	v_fma_f32 v1, -v61, v21, v1
	v_mov_b32_e32 v21, s5
	s_add_i32 s5, s4, s9
	s_or_b32 s9, s6, 23
	s_waitcnt lgkmcnt(0)
	v_fma_f32 v1, -v60, v3, v1
	v_fma_f32 v1, -v63, v41, v1
	;; [unrolled: 1-line block ×12, first 2 shown]
	ds_read2_b32 v[5:6], v52 offset0:23 offset1:24
	ds_read2_b32 v[40:41], v21 offset0:23 offset1:24
	ds_read_b128 v[93:96], v82 offset:96
	s_mul_i32 s10, s9, 0x84
	v_mov_b32_e32 v3, s10
	s_waitcnt lgkmcnt(2)
	v_fma_f32 v1, -v44, v5, v1
	v_fma_f32 v1, -v47, v102, v1
	;; [unrolled: 1-line block ×4, first 2 shown]
	ds_read2_b32 v[9:10], v57 offset0:23 offset1:24
	ds_read_b128 v[89:92], v80 offset:96
	s_lshl_b32 s9, s9, 7
	ds_read_b128 v[97:100], v84 offset:96
	ds_read_b64 v[79:80], v79 offset:104
	s_waitcnt lgkmcnt(3)
	v_fma_f32 v1, -v48, v9, v1
	v_fma_f32 v1, -v54, v106, v1
	;; [unrolled: 1-line block ×4, first 2 shown]
	ds_read2_b32 v[24:25], v3 offset1:1
	s_waitcnt lgkmcnt(0)
	v_mul_f32_e32 v13, v1, v24
	v_add_u32_e32 v1, s9, v42
	ds_write_b32 v1, v13
	v_fma_f32 v1, -v77, v89, v28
	v_fma_f32 v1, -v59, v2, v1
	;; [unrolled: 1-line block ×8, first 2 shown]
	ds_read_b128 v[16:19], v88 offset:96
	v_fma_f32 v1, -v70, v97, v1
	v_fma_f32 v1, -v72, v33, v1
	ds_read_b128 v[30:33], v86 offset:96
	v_fma_f32 v1, -v73, v14, v1
	v_fma_f32 v1, -v75, v35, v1
	v_mov_b32_e32 v2, s8
	s_add_i32 s8, s4, s9
	s_waitcnt lgkmcnt(0)
	v_fma_f32 v1, -v76, v30, v1
	v_fma_f32 v1, -v46, v37, v1
	;; [unrolled: 1-line block ×4, first 2 shown]
	ds_read_b128 v[4:7], v2 offset:96
	ds_read2_b32 v[36:37], v52 offset0:25 offset1:26
	v_fma_f32 v1, -v47, v16, v1
	v_fma_f32 v1, -v45, v39, v1
	;; [unrolled: 1-line block ×4, first 2 shown]
	s_waitcnt lgkmcnt(1)
	v_fma_f32 v1, -v54, v4, v1
	v_fma_f32 v1, -v51, v41, v1
	s_or_b32 s9, s6, 24
	v_fma_f32 v1, -v56, v26, v1
	s_mul_i32 s10, s9, 0x84
	v_fma_f32 v9, -v13, v25, v1
	v_mov_b32_e32 v1, s10
	ds_read_b128 v[1:4], v1
	ds_read2_b32 v[40:41], v21 offset0:25 offset1:26
	ds_read2_b32 v[24:25], v68 offset0:25 offset1:26
	;; [unrolled: 1-line block ×4, first 2 shown]
	s_waitcnt lgkmcnt(4)
	v_mul_f32_e32 v11, v9, v1
	ds_read2_b32 v[9:10], v62 offset0:25 offset1:26
	v_lshl_add_u32 v1, s9, 7, v42
	ds_write_b32 v1, v11
	v_fma_f32 v1, -v77, v90, v29
	ds_read2_b32 v[28:29], v71 offset0:25 offset1:26
	s_waitcnt lgkmcnt(2)
	v_fma_f32 v1, -v59, v9, v1
	v_fma_f32 v1, -v61, v23, v1
	ds_read2_b32 v[22:23], v65 offset0:25 offset1:26
	s_waitcnt lgkmcnt(0)
	v_fma_f32 v1, -v60, v22, v1
	v_fma_f32 v1, -v63, v94, v1
	;; [unrolled: 1-line block ×8, first 2 shown]
	ds_read2_b32 v[14:15], v78 offset0:25 offset1:26
	s_waitcnt lgkmcnt(0)
	v_fma_f32 v1, -v75, v14, v1
	v_fma_f32 v1, -v76, v31, v1
	ds_read2_b32 v[30:31], v55 offset0:25 offset1:26
	v_mov_b32_e32 v14, s8
	s_or_b32 s8, s6, 25
	s_mul_i32 s9, s8, 0x84
	s_lshl_b32 s8, s8, 7
	s_waitcnt lgkmcnt(0)
	v_fma_f32 v1, -v46, v30, v1
	v_fma_f32 v1, -v50, v8, v1
	;; [unrolled: 1-line block ×4, first 2 shown]
	ds_read2_b32 v[16:17], v53 offset0:25 offset1:26
	s_add_i32 s4, s4, s8
	s_waitcnt lgkmcnt(0)
	v_fma_f32 v1, -v45, v16, v1
	v_fma_f32 v1, -v49, v12, v1
	;; [unrolled: 1-line block ×6, first 2 shown]
	ds_read2_b32 v[26:27], v14 offset0:25 offset1:26
	s_waitcnt lgkmcnt(0)
	v_fma_f32 v1, -v13, v26, v1
	v_fma_f32 v5, -v11, v2, v1
	v_mov_b32_e32 v1, s9
	ds_read2_b32 v[1:2], v1 offset1:1
	s_waitcnt lgkmcnt(0)
	v_mul_f32_e32 v12, v5, v1
	v_add_u32_e32 v1, s8, v42
	ds_write_b32 v1, v12
	v_fma_f32 v1, -v77, v91, v64
	v_fma_f32 v1, -v59, v10, v1
	;; [unrolled: 1-line block ×4, first 2 shown]
	ds_read_b64 v[22:23], v81 offset:104
	ds_read_b64 v[9:10], v85 offset:104
	v_fma_f32 v1, -v63, v95, v1
	v_fma_f32 v1, -v66, v25, v1
	ds_read_b64 v[24:25], v83 offset:104
	s_waitcnt lgkmcnt(2)
	v_fma_f32 v1, -v67, v22, v1
	v_fma_f32 v1, -v69, v29, v1
	;; [unrolled: 1-line block ×4, first 2 shown]
	s_waitcnt lgkmcnt(0)
	v_fma_f32 v1, -v73, v24, v1
	v_fma_f32 v1, -v75, v15, v1
	;; [unrolled: 1-line block ×5, first 2 shown]
	ds_read_b64 v[8:9], v87 offset:104
	v_fma_f32 v1, -v44, v37, v1
	v_fma_f32 v1, -v47, v18, v1
	;; [unrolled: 1-line block ×3, first 2 shown]
	v_mov_b32_e32 v5, s5
	s_waitcnt lgkmcnt(0)
	v_fma_f32 v1, -v49, v8, v1
	v_fma_f32 v1, -v48, v39, v1
	;; [unrolled: 1-line block ×3, first 2 shown]
	ds_read_b64 v[5:6], v5 offset:104
	v_fma_f32 v1, -v51, v41, v1
	s_or_b32 s5, s6, 26
	s_mul_i32 s8, s5, 0x84
	s_or_b32 s6, s6, 28
	s_waitcnt lgkmcnt(0)
	v_fma_f32 v1, -v56, v5, v1
	v_fma_f32 v1, -v13, v27, v1
	v_fma_f32 v1, -v11, v3, v1
	v_fma_f32 v3, -v12, v2, v1
	v_mov_b32_e32 v1, s8
	ds_read_b64 v[1:2], v1
	ds_read_b32 v5, v62 offset:108
	s_waitcnt lgkmcnt(1)
	v_mul_f32_e32 v1, v3, v1
	v_lshl_add_u32 v3, s5, 7, v42
	ds_write_b32 v3, v1
	v_fma_f32 v3, -v77, v92, v58
	s_waitcnt lgkmcnt(1)
	v_fma_f32 v3, -v59, v5, v3
	ds_read_b32 v5, v65 offset:108
	v_fma_f32 v3, -v61, v80, v3
	s_waitcnt lgkmcnt(0)
	v_fma_f32 v3, -v60, v5, v3
	ds_read_b32 v5, v68 offset:108
	;; [unrolled: 4-line block ×11, first 2 shown]
	v_fma_f32 v3, -v56, v6, v3
	s_waitcnt lgkmcnt(0)
	v_fma_f32 v3, -v13, v5, v3
	v_fma_f32 v3, -v11, v4, v3
	v_mov_b32_e32 v4, s4
	ds_read_b32 v4, v4 offset:108
	s_mul_i32 s4, s7, 0x84
	s_waitcnt lgkmcnt(0)
	v_fma_f32 v3, -v12, v4, v3
	v_fma_f32 v1, -v1, v2, v3
	v_mov_b32_e32 v2, s4
	ds_read_b32 v2, v2
	s_waitcnt lgkmcnt(0)
	v_mul_f32_e32 v1, v1, v2
	ds_write_b32 v43, v1
.LBB38_62:
	s_cmp_ge_i32 s6, s16
	s_cbranch_scc1 .LBB38_67
; %bb.63:
	v_mov_b32_e32 v1, 0x1000
	s_lshl_b32 s4, s6, 2
	v_lshl_or_b32 v1, v0, 2, v1
	s_branch .LBB38_65
.LBB38_64:                              ;   in Loop: Header=BB38_65 Depth=1
	s_lshl_b32 s7, s6, 2
	s_add_i32 s5, s7, s5
	v_mov_b32_e32 v4, s5
	ds_read_b32 v4, v4
	s_add_i32 s6, s6, 1
	s_add_i32 s4, s4, 4
	s_cmp_ge_i32 s6, s16
	s_waitcnt lgkmcnt(0)
	v_mul_f32_e32 v3, v3, v4
	ds_write_b32 v2, v3
	s_cbranch_scc1 .LBB38_67
.LBB38_65:                              ; =>This Loop Header: Depth=1
                                        ;     Child Loop BB38_66 Depth 2
	s_lshl_b32 s5, s6, 7
	v_add_u32_e32 v2, s5, v42
	ds_read_b32 v3, v2
	s_cmp_eq_u32 s6, 0
	v_mov_b32_e32 v4, v1
	s_mov_b32 s7, s4
	s_mov_b32 s8, s6
	s_cbranch_scc1 .LBB38_64
.LBB38_66:                              ;   Parent Loop BB38_65 Depth=1
                                        ; =>  This Inner Loop Header: Depth=2
	v_mov_b32_e32 v6, s7
	ds_read_b32 v5, v4
	ds_read_b32 v6, v6
	s_add_i32 s8, s8, -1
	s_addk_i32 s7, 0x80
	v_add_u32_e32 v4, 0x80, v4
	s_cmp_lg_u32 s8, 0
	s_waitcnt lgkmcnt(0)
	v_fma_f32 v3, -v5, v6, v3
	s_cbranch_scc1 .LBB38_66
	s_branch .LBB38_64
.LBB38_67:
	s_waitcnt lgkmcnt(0)
	; wave barrier
	s_and_saveexec_b64 s[4:5], s[0:1]
	s_cbranch_execz .LBB38_71
; %bb.68:
	s_andn2_b64 vcc, exec, s[2:3]
	s_cbranch_vccnz .LBB38_71
; %bb.69:
	v_mad_i64_i32 v[1:2], s[0:1], s14, v0, 0
	v_mov_b32_e32 v3, s13
	v_lshlrev_b64 v[1:2], 2, v[1:2]
	v_add_co_u32_e32 v1, vcc, s12, v1
	v_addc_co_u32_e32 v2, vcc, v3, v2, vcc
	v_mov_b32_e32 v3, 0x1000
	v_lshl_or_b32 v0, v0, 2, v3
.LBB38_70:                              ; =>This Inner Loop Header: Depth=1
	ds_read_b32 v3, v0
	s_add_i32 s16, s16, -1
	v_add_u32_e32 v0, 0x80, v0
	s_cmp_lg_u32 s16, 0
	s_waitcnt lgkmcnt(0)
	global_store_dword v[1:2], v3, off
	v_add_co_u32_e32 v1, vcc, 4, v1
	v_addc_co_u32_e32 v2, vcc, 0, v2, vcc
	s_cbranch_scc1 .LBB38_70
.LBB38_71:
	s_endpgm
	.section	.rodata,"a",@progbits
	.p2align	6, 0x0
	.amdhsa_kernel _ZL38rocblas_trsm_small_left_device_sharedBILi32ELi32ELb1EffPKfPfEv13rocblas_fill_18rocblas_operation_17rocblas_diagonal_iiT3_T4_lilT5_lili
		.amdhsa_group_segment_fixed_size 8192
		.amdhsa_private_segment_fixed_size 0
		.amdhsa_kernarg_size 352
		.amdhsa_user_sgpr_count 6
		.amdhsa_user_sgpr_private_segment_buffer 1
		.amdhsa_user_sgpr_dispatch_ptr 0
		.amdhsa_user_sgpr_queue_ptr 0
		.amdhsa_user_sgpr_kernarg_segment_ptr 1
		.amdhsa_user_sgpr_dispatch_id 0
		.amdhsa_user_sgpr_flat_scratch_init 0
		.amdhsa_user_sgpr_private_segment_size 0
		.amdhsa_uses_dynamic_stack 0
		.amdhsa_system_sgpr_private_segment_wavefront_offset 0
		.amdhsa_system_sgpr_workgroup_id_x 1
		.amdhsa_system_sgpr_workgroup_id_y 0
		.amdhsa_system_sgpr_workgroup_id_z 1
		.amdhsa_system_sgpr_workgroup_info 0
		.amdhsa_system_vgpr_workitem_id 0
		.amdhsa_next_free_vgpr 107
		.amdhsa_next_free_sgpr 98
		.amdhsa_reserve_vcc 1
		.amdhsa_reserve_flat_scratch 0
		.amdhsa_float_round_mode_32 0
		.amdhsa_float_round_mode_16_64 0
		.amdhsa_float_denorm_mode_32 3
		.amdhsa_float_denorm_mode_16_64 3
		.amdhsa_dx10_clamp 1
		.amdhsa_ieee_mode 1
		.amdhsa_fp16_overflow 0
		.amdhsa_exception_fp_ieee_invalid_op 0
		.amdhsa_exception_fp_denorm_src 0
		.amdhsa_exception_fp_ieee_div_zero 0
		.amdhsa_exception_fp_ieee_overflow 0
		.amdhsa_exception_fp_ieee_underflow 0
		.amdhsa_exception_fp_ieee_inexact 0
		.amdhsa_exception_int_div_zero 0
	.end_amdhsa_kernel
	.section	.text._ZL38rocblas_trsm_small_left_device_sharedBILi32ELi32ELb1EffPKfPfEv13rocblas_fill_18rocblas_operation_17rocblas_diagonal_iiT3_T4_lilT5_lili,"axG",@progbits,_ZL38rocblas_trsm_small_left_device_sharedBILi32ELi32ELb1EffPKfPfEv13rocblas_fill_18rocblas_operation_17rocblas_diagonal_iiT3_T4_lilT5_lili,comdat
.Lfunc_end38:
	.size	_ZL38rocblas_trsm_small_left_device_sharedBILi32ELi32ELb1EffPKfPfEv13rocblas_fill_18rocblas_operation_17rocblas_diagonal_iiT3_T4_lilT5_lili, .Lfunc_end38-_ZL38rocblas_trsm_small_left_device_sharedBILi32ELi32ELb1EffPKfPfEv13rocblas_fill_18rocblas_operation_17rocblas_diagonal_iiT3_T4_lilT5_lili
                                        ; -- End function
	.set _ZL38rocblas_trsm_small_left_device_sharedBILi32ELi32ELb1EffPKfPfEv13rocblas_fill_18rocblas_operation_17rocblas_diagonal_iiT3_T4_lilT5_lili.num_vgpr, 107
	.set _ZL38rocblas_trsm_small_left_device_sharedBILi32ELi32ELb1EffPKfPfEv13rocblas_fill_18rocblas_operation_17rocblas_diagonal_iiT3_T4_lilT5_lili.num_agpr, 0
	.set _ZL38rocblas_trsm_small_left_device_sharedBILi32ELi32ELb1EffPKfPfEv13rocblas_fill_18rocblas_operation_17rocblas_diagonal_iiT3_T4_lilT5_lili.numbered_sgpr, 24
	.set _ZL38rocblas_trsm_small_left_device_sharedBILi32ELi32ELb1EffPKfPfEv13rocblas_fill_18rocblas_operation_17rocblas_diagonal_iiT3_T4_lilT5_lili.num_named_barrier, 0
	.set _ZL38rocblas_trsm_small_left_device_sharedBILi32ELi32ELb1EffPKfPfEv13rocblas_fill_18rocblas_operation_17rocblas_diagonal_iiT3_T4_lilT5_lili.private_seg_size, 0
	.set _ZL38rocblas_trsm_small_left_device_sharedBILi32ELi32ELb1EffPKfPfEv13rocblas_fill_18rocblas_operation_17rocblas_diagonal_iiT3_T4_lilT5_lili.uses_vcc, 1
	.set _ZL38rocblas_trsm_small_left_device_sharedBILi32ELi32ELb1EffPKfPfEv13rocblas_fill_18rocblas_operation_17rocblas_diagonal_iiT3_T4_lilT5_lili.uses_flat_scratch, 0
	.set _ZL38rocblas_trsm_small_left_device_sharedBILi32ELi32ELb1EffPKfPfEv13rocblas_fill_18rocblas_operation_17rocblas_diagonal_iiT3_T4_lilT5_lili.has_dyn_sized_stack, 0
	.set _ZL38rocblas_trsm_small_left_device_sharedBILi32ELi32ELb1EffPKfPfEv13rocblas_fill_18rocblas_operation_17rocblas_diagonal_iiT3_T4_lilT5_lili.has_recursion, 0
	.set _ZL38rocblas_trsm_small_left_device_sharedBILi32ELi32ELb1EffPKfPfEv13rocblas_fill_18rocblas_operation_17rocblas_diagonal_iiT3_T4_lilT5_lili.has_indirect_call, 0
	.section	.AMDGPU.csdata,"",@progbits
; Kernel info:
; codeLenInByte = 18448
; TotalNumSgprs: 28
; NumVgprs: 107
; ScratchSize: 0
; MemoryBound: 0
; FloatMode: 240
; IeeeMode: 1
; LDSByteSize: 8192 bytes/workgroup (compile time only)
; SGPRBlocks: 12
; VGPRBlocks: 26
; NumSGPRsForWavesPerEU: 102
; NumVGPRsForWavesPerEU: 107
; Occupancy: 2
; WaveLimiterHint : 0
; COMPUTE_PGM_RSRC2:SCRATCH_EN: 0
; COMPUTE_PGM_RSRC2:USER_SGPR: 6
; COMPUTE_PGM_RSRC2:TRAP_HANDLER: 0
; COMPUTE_PGM_RSRC2:TGID_X_EN: 1
; COMPUTE_PGM_RSRC2:TGID_Y_EN: 0
; COMPUTE_PGM_RSRC2:TGID_Z_EN: 1
; COMPUTE_PGM_RSRC2:TIDIG_COMP_CNT: 0
	.section	.text._ZL30rocblas_trsm_small_left_deviceILi32ELi32ELb1EffPKfPfEv13rocblas_fill_18rocblas_operation_17rocblas_diagonal_iiT3_T4_lilT5_lili,"axG",@progbits,_ZL30rocblas_trsm_small_left_deviceILi32ELi32ELb1EffPKfPfEv13rocblas_fill_18rocblas_operation_17rocblas_diagonal_iiT3_T4_lilT5_lili,comdat
	.globl	_ZL30rocblas_trsm_small_left_deviceILi32ELi32ELb1EffPKfPfEv13rocblas_fill_18rocblas_operation_17rocblas_diagonal_iiT3_T4_lilT5_lili ; -- Begin function _ZL30rocblas_trsm_small_left_deviceILi32ELi32ELb1EffPKfPfEv13rocblas_fill_18rocblas_operation_17rocblas_diagonal_iiT3_T4_lilT5_lili
	.p2align	8
	.type	_ZL30rocblas_trsm_small_left_deviceILi32ELi32ELb1EffPKfPfEv13rocblas_fill_18rocblas_operation_17rocblas_diagonal_iiT3_T4_lilT5_lili,@function
_ZL30rocblas_trsm_small_left_deviceILi32ELi32ELb1EffPKfPfEv13rocblas_fill_18rocblas_operation_17rocblas_diagonal_iiT3_T4_lilT5_lili: ; @_ZL30rocblas_trsm_small_left_deviceILi32ELi32ELb1EffPKfPfEv13rocblas_fill_18rocblas_operation_17rocblas_diagonal_iiT3_T4_lilT5_lili
; %bb.0:
	s_load_dwordx4 s[0:3], s[4:5], 0x4
	s_load_dword s16, s[4:5], 0x14
	s_load_dwordx4 s[8:11], s[4:5], 0x30
	s_load_dwordx2 s[12:13], s[4:5], 0x40
	s_waitcnt lgkmcnt(0)
	s_min_i32 s17, s2, 32
	v_cmp_gt_i32_e32 vcc, s17, v0
	s_and_saveexec_b64 s[14:15], vcc
	s_cbranch_execz .LBB39_6
; %bb.1:
	s_load_dword s18, s[4:5], 0x28
	s_load_dwordx4 s[20:23], s[4:5], 0x18
	s_mul_i32 s9, s9, s7
	s_mul_hi_u32 s19, s8, s7
	s_add_i32 s9, s19, s9
	s_mul_i32 s8, s8, s7
	s_waitcnt lgkmcnt(0)
	s_ashr_i32 s19, s18, 31
	s_lshl_b64 s[8:9], s[8:9], 2
	s_add_u32 s20, s20, s8
	s_addc_u32 s21, s21, s9
	s_lshl_b64 s[8:9], s[22:23], 2
	s_add_u32 s8, s20, s8
	s_addc_u32 s9, s21, s9
	v_lshlrev_b32_e32 v3, 2, v0
	v_mov_b32_e32 v2, s9
	v_add_co_u32_e32 v1, vcc, s8, v3
	s_lshl_b64 s[8:9], s[18:19], 2
	v_addc_co_u32_e32 v2, vcc, 0, v2, vcc
	v_mov_b32_e32 v4, s9
	v_mov_b32_e32 v5, v3
	s_mov_b32 s9, s17
.LBB39_2:                               ; =>This Inner Loop Header: Depth=1
	global_load_dword v6, v[1:2], off
	v_add_co_u32_e32 v1, vcc, s8, v1
	s_add_i32 s9, s9, -1
	v_addc_co_u32_e32 v2, vcc, v2, v4, vcc
	s_cmp_eq_u32 s9, 0
	s_waitcnt vmcnt(0)
	ds_write_b32 v5, v6
	v_add_u32_e32 v5, 0x80, v5
	s_cbranch_scc0 .LBB39_2
; %bb.3:
	v_lshlrev_b32_e32 v1, 7, v0
	s_cmpk_lg_i32 s1, 0x84
	v_mov_b32_e32 v2, 1.0
	v_add_u32_e32 v1, v3, v1
	s_cbranch_scc0 .LBB39_5
; %bb.4:
	ds_read_b32 v2, v1
	s_waitcnt lgkmcnt(0)
	v_div_scale_f32 v3, s[8:9], v2, v2, 1.0
	v_div_scale_f32 v4, vcc, 1.0, v2, 1.0
	v_rcp_f32_e32 v5, v3
	v_fma_f32 v6, -v3, v5, 1.0
	v_fmac_f32_e32 v5, v6, v5
	v_mul_f32_e32 v6, v4, v5
	v_fma_f32 v7, -v3, v6, v4
	v_fmac_f32_e32 v6, v7, v5
	v_fma_f32 v3, -v3, v6, v4
	v_div_fmas_f32 v3, v3, v5, v6
	v_div_fixup_f32 v2, v3, v2, 1.0
.LBB39_5:
	ds_write_b32 v1, v2
.LBB39_6:
	s_or_b64 exec, exec, s[14:15]
	s_load_dword s1, s[4:5], 0x60
	s_waitcnt lgkmcnt(0)
	; wave barrier
	s_add_i32 s8, s1, -1
	s_lshl_b32 s1, s6, 5
	s_sub_i32 s3, s3, s1
	s_cmp_ge_u32 s6, s8
	s_cselect_b32 s3, s3, 32
	v_cmp_gt_i32_e32 vcc, s3, v0
	s_and_saveexec_b64 s[8:9], vcc
	s_cbranch_execz .LBB39_118
; %bb.7:
	s_load_dwordx2 s[8:9], s[4:5], 0x50
	s_load_dword s3, s[4:5], 0x48
	v_add_u32_e32 v0, s1, v0
	s_waitcnt lgkmcnt(0)
	s_mul_i32 s1, s9, s7
	s_mul_hi_u32 s5, s8, s7
	s_mul_i32 s4, s8, s7
	s_add_i32 s5, s5, s1
	s_lshl_b64 s[4:5], s[4:5], 2
	s_add_u32 s1, s10, s4
	s_addc_u32 s6, s11, s5
	v_mad_i64_i32 v[0:1], s[4:5], s3, v0, 0
	s_lshl_b64 s[4:5], s[12:13], 2
	s_add_u32 s1, s1, s4
	v_lshlrev_b64 v[0:1], 2, v[0:1]
	s_addc_u32 s3, s6, s5
	v_mov_b32_e32 v2, s3
	v_add_co_u32_e32 v38, vcc, s1, v0
	v_addc_co_u32_e32 v39, vcc, v2, v1, vcc
	s_cmpk_eq_i32 s0, 0x6f
	s_mov_b64 s[0:1], -1
	s_cbranch_scc1 .LBB39_96
; %bb.8:
	s_add_i32 s3, s17, -1
	s_cmp_gt_i32 s2, 31
	s_mov_b32 s1, 0
	s_cbranch_scc0 .LBB39_18
; %bb.9:
	global_load_dwordx4 v[3:6], v[38:39], off offset:112
	global_load_dwordx4 v[7:10], v[38:39], off offset:96
	;; [unrolled: 1-line block ×7, first 2 shown]
	global_load_dwordx4 v[31:34], v[38:39], off
	s_movk_i32 s10, 0xffc
	s_mov_b64 s[4:5], 0
	s_movk_i32 s11, 0xf7c
	s_waitcnt vmcnt(7)
	v_mul_f32_e32 v0, s16, v6
	v_mul_f32_e32 v1, s16, v5
	v_mul_f32_e32 v2, s16, v4
	v_mul_f32_e32 v3, s16, v3
	s_waitcnt vmcnt(6)
	v_mul_f32_e32 v4, s16, v10
	v_mul_f32_e32 v5, s16, v9
	v_mul_f32_e32 v6, s16, v8
	v_mul_f32_e32 v7, s16, v7
	s_waitcnt vmcnt(5)
	v_mul_f32_e32 v8, s16, v14
	v_mul_f32_e32 v9, s16, v13
	v_mul_f32_e32 v10, s16, v12
	v_mul_f32_e32 v11, s16, v11
	s_waitcnt vmcnt(4)
	v_mul_f32_e32 v12, s16, v18
	v_mul_f32_e32 v13, s16, v17
	v_mul_f32_e32 v14, s16, v16
	v_mul_f32_e32 v15, s16, v15
	s_waitcnt vmcnt(3)
	v_mul_f32_e32 v16, s16, v22
	v_mul_f32_e32 v17, s16, v21
	v_mul_f32_e32 v18, s16, v20
	v_mul_f32_e32 v19, s16, v19
	s_waitcnt vmcnt(2)
	v_mul_f32_e32 v20, s16, v26
	v_mul_f32_e32 v21, s16, v25
	v_mul_f32_e32 v22, s16, v24
	v_mul_f32_e32 v23, s16, v23
	s_waitcnt vmcnt(1)
	v_mul_f32_e32 v24, s16, v30
	v_mul_f32_e32 v25, s16, v29
	v_mul_f32_e32 v26, s16, v28
	v_mul_f32_e32 v27, s16, v27
	s_waitcnt vmcnt(0)
	v_mul_f32_e32 v28, s16, v34
	v_mul_f32_e32 v29, s16, v33
	v_mul_f32_e32 v30, s16, v32
	v_mul_f32_e32 v31, s16, v31
.LBB39_10:                              ; =>This Loop Header: Depth=1
                                        ;     Child Loop BB39_12 Depth 2
                                        ;     Child Loop BB39_15 Depth 2
	s_cmp_eq_u32 s4, 0
	s_cbranch_scc1 .LBB39_13
; %bb.11:                               ;   in Loop: Header=BB39_10 Depth=1
	s_mov_b64 s[6:7], s[4:5]
	s_sub_i32 s0, 31, s4
	s_mov_b64 s[8:9], 0
	s_mov_b32 s7, s10
.LBB39_12:                              ;   Parent Loop BB39_10 Depth=1
                                        ; =>  This Inner Loop Header: Depth=2
	v_mov_b32_e32 v33, s7
	s_set_gpr_idx_on s8, gpr_idx(SRC0)
	v_mov_b32_e32 v32, v0
	s_set_gpr_idx_off
	ds_read_b32 v33, v33
	s_add_i32 s7, s7, -4
	s_add_u32 s8, s8, 1
	s_addc_u32 s9, s9, 0
	s_set_gpr_idx_on s4, gpr_idx(SRC0)
	v_mov_b32_e32 v34, v0
	s_set_gpr_idx_off
	s_cmp_eq_u32 s4, s8
	s_waitcnt lgkmcnt(0)
	v_fma_f32 v32, -v32, v33, v34
	s_set_gpr_idx_on s4, gpr_idx(DST)
	v_mov_b32_e32 v0, v32
	s_set_gpr_idx_off
	s_cbranch_scc0 .LBB39_12
	s_branch .LBB39_14
.LBB39_13:                              ;   in Loop: Header=BB39_10 Depth=1
	s_mov_b32 s0, 31
	s_mov_b64 s[6:7], 0
.LBB39_14:                              ;   in Loop: Header=BB39_10 Depth=1
	s_mul_i32 s7, s0, 0x84
	v_mov_b32_e32 v32, s7
	ds_read_b32 v32, v32
	s_lshl_b32 s0, s0, 2
	s_set_gpr_idx_on s6, gpr_idx(SRC0)
	v_mov_b32_e32 v33, v0
	s_set_gpr_idx_off
	s_add_u32 s8, s4, 1
	s_mov_b32 s9, s11
	s_waitcnt lgkmcnt(0)
	v_mul_f32_e32 v34, v33, v32
	v_add_co_u32_e32 v32, vcc, s0, v38
	v_addc_co_u32_e32 v33, vcc, 0, v39, vcc
	global_store_dword v[32:33], v34, off
	s_or_b32 s0, s4, 1
	s_set_gpr_idx_on s6, gpr_idx(DST)
	v_mov_b32_e32 v0, v34
	s_set_gpr_idx_off
	s_mov_b64 s[6:7], 0
.LBB39_15:                              ;   Parent Loop BB39_10 Depth=1
                                        ; =>  This Inner Loop Header: Depth=2
	v_mov_b32_e32 v33, s9
	s_set_gpr_idx_on s6, gpr_idx(SRC0)
	v_mov_b32_e32 v32, v0
	s_set_gpr_idx_off
	ds_read_b32 v33, v33
	s_add_i32 s9, s9, -4
	s_add_u32 s6, s6, 1
	s_set_gpr_idx_on s0, gpr_idx(SRC0)
	v_mov_b32_e32 v34, v0
	s_set_gpr_idx_off
	s_addc_u32 s7, s7, 0
	s_waitcnt lgkmcnt(0)
	v_fma_f32 v32, -v32, v33, v34
	s_cmp_lg_u32 s8, s6
	s_set_gpr_idx_on s0, gpr_idx(DST)
	v_mov_b32_e32 v0, v32
	s_set_gpr_idx_off
	s_cbranch_scc1 .LBB39_15
; %bb.16:                               ;   in Loop: Header=BB39_10 Depth=1
	s_sub_i32 s6, 31, s0
	s_lshl_b32 s7, s6, 7
	s_lshl_b32 s6, s6, 2
	s_or_b32 s6, s7, s6
	v_mov_b32_e32 v33, s6
	ds_read_b32 v33, v33
	s_bfe_i64 s[6:7], s[0:1], 0x200000
	s_lshl_b64 s[6:7], s[6:7], 2
	s_add_u32 s4, s4, 2
	v_mov_b32_e32 v34, s7
	s_waitcnt lgkmcnt(0)
	v_mul_f32_e32 v35, v32, v33
	v_subrev_co_u32_e32 v32, vcc, s6, v38
	s_addc_u32 s5, s5, 0
	s_addk_i32 s10, 0xff00
	s_addk_i32 s11, 0xff00
	v_subb_co_u32_e32 v33, vcc, v39, v34, vcc
	s_cmp_eq_u32 s4, 32
	s_set_gpr_idx_on s0, gpr_idx(DST)
	v_mov_b32_e32 v0, v35
	s_set_gpr_idx_off
	global_store_dword v[32:33], v35, off offset:124
	s_cbranch_scc0 .LBB39_10
; %bb.17:
	s_mov_b32 s0, -1
	s_cmp_gt_i32 s0, -1
	s_cbranch_scc1 .LBB39_19
	s_branch .LBB39_95
.LBB39_18:
	v_mov_b32_e32 v28, 0
	v_mov_b32_e32 v29, v28
	;; [unrolled: 1-line block ×4, first 2 shown]
	s_mov_b32 s0, s3
	s_cmp_gt_i32 s0, -1
	s_cbranch_scc0 .LBB39_95
.LBB39_19:
	s_cmp_lt_u32 s0, 27
	s_cbranch_scc1 .LBB39_78
; %bb.20:
	s_mov_b32 s5, 0
	s_mov_b32 s1, s5
	s_lshl_b64 s[6:7], s[0:1], 2
	v_mov_b32_e32 v0, s7
	v_add_co_u32_e32 v32, vcc, s6, v38
	v_addc_co_u32_e32 v33, vcc, v39, v0, vcc
	global_load_dwordx4 v[3:6], v[32:33], off offset:-12
	global_load_dwordx4 v[7:10], v[32:33], off offset:-28
	;; [unrolled: 1-line block ×7, first 2 shown]
	s_cmp_le_i32 s3, s0
	s_waitcnt vmcnt(6)
	v_mul_f32_e32 v0, s16, v6
	v_mul_f32_e32 v1, s16, v5
	v_mul_f32_e32 v2, s16, v4
	v_mul_f32_e32 v3, s16, v3
	s_waitcnt vmcnt(5)
	v_mul_f32_e32 v4, s16, v10
	v_mul_f32_e32 v5, s16, v9
	v_mul_f32_e32 v6, s16, v8
	v_mul_f32_e32 v7, s16, v7
	;; [unrolled: 5-line block ×7, first 2 shown]
	s_cbranch_scc1 .LBB39_23
; %bb.21:
	s_lshl_b32 s1, s0, 7
	s_lshl_b32 s4, s17, 2
	s_add_i32 s1, s1, s4
	s_addk_i32 s1, 0xf27c
	s_mov_b32 s4, s3
.LBB39_22:                              ; =>This Inner Loop Header: Depth=1
	s_lshl_b64 s[6:7], s[4:5], 2
	v_mov_b32_e32 v35, s7
	v_add_co_u32_e32 v34, vcc, s6, v38
	v_addc_co_u32_e32 v35, vcc, v39, v35, vcc
	global_load_dword v64, v[34:35], off
	v_mov_b32_e32 v42, s1
	v_add_u32_e32 v46, 0xc00, v42
	v_add_u32_e32 v54, 0x800, v42
	;; [unrolled: 1-line block ×3, first 2 shown]
	ds_read2_b32 v[34:35], v42 offset0:192 offset1:224
	ds_read2_b32 v[36:37], v42 offset0:128 offset1:160
	;; [unrolled: 1-line block ×3, first 2 shown]
	ds_read2_b32 v[42:43], v42 offset1:32
	ds_read2_b32 v[44:45], v46 offset0:64 offset1:96
	ds_read2_b32 v[46:47], v46 offset1:32
	ds_read2_b32 v[48:49], v54 offset0:192 offset1:224
	ds_read2_b32 v[50:51], v54 offset0:128 offset1:160
	;; [unrolled: 1-line block ×3, first 2 shown]
	ds_read2_b32 v[54:55], v54 offset1:32
	ds_read2_b32 v[56:57], v62 offset0:192 offset1:224
	ds_read2_b32 v[58:59], v62 offset0:128 offset1:160
	;; [unrolled: 1-line block ×3, first 2 shown]
	ds_read2_b32 v[62:63], v62 offset1:32
	s_add_i32 s4, s4, -1
	s_add_i32 s1, s1, -4
	s_cmp_gt_i32 s4, s0
	s_waitcnt vmcnt(0) lgkmcnt(9)
	v_fma_f32 v0, -v64, v45, v0
	v_fma_f32 v1, -v64, v44, v1
	s_waitcnt lgkmcnt(8)
	v_fma_f32 v2, -v64, v47, v2
	v_fma_f32 v3, -v64, v46, v3
	s_waitcnt lgkmcnt(7)
	;; [unrolled: 3-line block ×9, first 2 shown]
	v_fma_f32 v18, -v64, v63, v18
	v_fma_f32 v19, -v64, v62, v19
	;; [unrolled: 1-line block ×10, first 2 shown]
	s_cbranch_scc1 .LBB39_22
.LBB39_23:
	s_mul_i32 s6, s0, 0x84
	v_mov_b32_e32 v34, s6
	ds_read_b32 v34, v34
	s_add_i32 s1, s6, 0xffffff80
	s_mov_b64 s[4:5], 0
	s_waitcnt lgkmcnt(0)
	v_mul_f32_e32 v0, v0, v34
	global_store_dword v[32:33], v0, off
.LBB39_24:                              ; =>This Inner Loop Header: Depth=1
	v_mov_b32_e32 v33, s1
	s_set_gpr_idx_on s4, gpr_idx(SRC0)
	v_mov_b32_e32 v32, v0
	s_set_gpr_idx_off
	ds_read_b32 v33, v33
	s_add_u32 s4, s4, 1
	s_addc_u32 s5, s5, 0
	s_add_i32 s1, s1, -4
	s_cmp_lg_u32 s4, 1
	s_waitcnt lgkmcnt(0)
	v_fma_f32 v1, -v32, v33, v1
	s_cbranch_scc1 .LBB39_24
; %bb.25:
	s_add_i32 s7, s6, 0xffffff7c
	v_mov_b32_e32 v32, s7
	ds_read_b32 v32, v32
	s_ashr_i32 s1, s0, 31
	s_lshl_b64 s[4:5], s[0:1], 2
	v_mov_b32_e32 v33, s5
	s_add_i32 s1, s6, 0xffffff00
	s_waitcnt lgkmcnt(0)
	v_mul_f32_e32 v1, v1, v32
	v_add_co_u32_e32 v32, vcc, s4, v38
	v_addc_co_u32_e32 v33, vcc, v39, v33, vcc
	s_mov_b64 s[4:5], 0
	global_store_dword v[32:33], v1, off offset:-4
.LBB39_26:                              ; =>This Inner Loop Header: Depth=1
	v_mov_b32_e32 v35, s1
	s_set_gpr_idx_on s4, gpr_idx(SRC0)
	v_mov_b32_e32 v34, v0
	s_set_gpr_idx_off
	ds_read_b32 v35, v35
	s_add_u32 s4, s4, 1
	s_addc_u32 s5, s5, 0
	s_add_i32 s1, s1, -4
	s_cmp_lg_u32 s4, 2
	s_waitcnt lgkmcnt(0)
	v_fma_f32 v2, -v34, v35, v2
	s_cbranch_scc1 .LBB39_26
; %bb.27:
	s_add_i32 s1, s7, 0xffffff7c
	v_mov_b32_e32 v34, s1
	ds_read_b32 v34, v34
	s_add_i32 s7, s6, 0xfffffe80
	s_mov_b64 s[4:5], 0
	s_waitcnt lgkmcnt(0)
	v_mul_f32_e32 v2, v2, v34
	global_store_dword v[32:33], v2, off offset:-8
.LBB39_28:                              ; =>This Inner Loop Header: Depth=1
	v_mov_b32_e32 v35, s7
	s_set_gpr_idx_on s4, gpr_idx(SRC0)
	v_mov_b32_e32 v34, v0
	s_set_gpr_idx_off
	ds_read_b32 v35, v35
	s_add_u32 s4, s4, 1
	s_addc_u32 s5, s5, 0
	s_add_i32 s7, s7, -4
	s_cmp_lg_u32 s4, 3
	s_waitcnt lgkmcnt(0)
	v_fma_f32 v3, -v34, v35, v3
	s_cbranch_scc1 .LBB39_28
; %bb.29:
	s_addk_i32 s1, 0xff7c
	v_mov_b32_e32 v34, s1
	ds_read_b32 v34, v34
	s_add_i32 s7, s6, 0xfffffe00
	s_mov_b64 s[4:5], 0
	s_waitcnt lgkmcnt(0)
	v_mul_f32_e32 v3, v3, v34
	global_store_dword v[32:33], v3, off offset:-12
.LBB39_30:                              ; =>This Inner Loop Header: Depth=1
	v_mov_b32_e32 v35, s7
	s_set_gpr_idx_on s4, gpr_idx(SRC0)
	v_mov_b32_e32 v34, v0
	s_set_gpr_idx_off
	ds_read_b32 v35, v35
	s_add_u32 s4, s4, 1
	s_addc_u32 s5, s5, 0
	s_add_i32 s7, s7, -4
	s_cmp_lg_u32 s4, 4
	s_waitcnt lgkmcnt(0)
	v_fma_f32 v4, -v34, v35, v4
	s_cbranch_scc1 .LBB39_30
; %bb.31:
	s_addk_i32 s1, 0xff7c
	;; [unrolled: 22-line block ×24, first 2 shown]
	v_mov_b32_e32 v34, s1
	ds_read_b32 v34, v34
	s_addk_i32 s6, 0xf280
	s_mov_b64 s[4:5], 0
	s_waitcnt lgkmcnt(0)
	v_mul_f32_e32 v26, v26, v34
	global_store_dword v[32:33], v26, off offset:-104
.LBB39_76:                              ; =>This Inner Loop Header: Depth=1
	v_mov_b32_e32 v35, s6
	s_set_gpr_idx_on s4, gpr_idx(SRC0)
	v_mov_b32_e32 v34, v0
	s_set_gpr_idx_off
	ds_read_b32 v35, v35
	s_add_u32 s4, s4, 1
	s_addc_u32 s5, s5, 0
	s_add_i32 s6, s6, -4
	s_cmp_lg_u32 s4, 27
	s_waitcnt lgkmcnt(0)
	v_fma_f32 v27, -v34, v35, v27
	s_cbranch_scc1 .LBB39_76
; %bb.77:
	s_addk_i32 s1, 0xff7c
	v_mov_b32_e32 v0, s1
	ds_read_b32 v0, v0
	s_sub_i32 s0, s0, 28
	s_waitcnt lgkmcnt(0)
	v_mul_f32_e32 v0, v27, v0
	global_store_dword v[32:33], v0, off offset:-108
.LBB39_78:
	s_cmp_lt_i32 s0, 0
	s_cbranch_scc1 .LBB39_95
; %bb.79:
	s_and_b32 s1, s0, 3
	s_cmp_eq_u32 s1, 3
	s_mov_b32 s4, s0
	s_cbranch_scc1 .LBB39_84
; %bb.80:
	s_lshl_b32 s4, s0, 7
	s_lshl_b32 s5, s17, 2
	s_add_i32 s1, s0, 1
	s_add_i32 s4, s4, s5
	s_and_b32 s1, s1, 3
	s_add_i32 s8, s4, -4
	s_mov_b32 s7, 0
	s_mov_b32 s4, s0
	;; [unrolled: 1-line block ×3, first 2 shown]
	s_branch .LBB39_82
.LBB39_81:                              ;   in Loop: Header=BB39_82 Depth=1
	s_mul_i32 s5, s4, 0x84
	v_mov_b32_e32 v3, s5
	ds_read_b32 v3, v3
	s_add_i32 s4, s4, -1
	s_add_i32 s9, s9, 1
	s_addk_i32 s8, 0xff80
	s_cmp_lg_u32 s9, s1
	s_waitcnt lgkmcnt(0)
	v_mul_f32_e32 v2, v2, v3
	global_store_dword v[0:1], v2, off
	s_cbranch_scc0 .LBB39_84
.LBB39_82:                              ; =>This Loop Header: Depth=1
                                        ;     Child Loop BB39_83 Depth 2
	s_mov_b32 s5, s7
	s_lshl_b64 s[10:11], s[4:5], 2
	v_mov_b32_e32 v1, s11
	v_add_co_u32_e32 v0, vcc, s10, v38
	v_addc_co_u32_e32 v1, vcc, v39, v1, vcc
	global_load_dword v2, v[0:1], off
	s_mov_b32 s5, s8
	s_cmp_le_i32 s3, s4
	s_mov_b32 s6, s3
	s_waitcnt vmcnt(0)
	v_mul_f32_e32 v2, s16, v2
	s_cbranch_scc1 .LBB39_81
.LBB39_83:                              ;   Parent Loop BB39_82 Depth=1
                                        ; =>  This Inner Loop Header: Depth=2
	s_lshl_b64 s[10:11], s[6:7], 2
	v_mov_b32_e32 v4, s11
	v_add_co_u32_e32 v3, vcc, s10, v38
	v_addc_co_u32_e32 v4, vcc, v39, v4, vcc
	global_load_dword v3, v[3:4], off
	v_mov_b32_e32 v4, s5
	ds_read_b32 v4, v4
	s_add_i32 s6, s6, -1
	s_add_i32 s5, s5, -4
	s_cmp_gt_i32 s6, s4
	s_waitcnt vmcnt(0) lgkmcnt(0)
	v_fma_f32 v2, -v3, v4, v2
	s_cbranch_scc1 .LBB39_83
	s_branch .LBB39_81
.LBB39_84:
	s_cmp_lt_u32 s0, 3
	s_cbranch_scc1 .LBB39_95
; %bb.85:
	s_lshl_b32 s0, s4, 7
	s_lshl_b32 s1, s17, 2
	s_add_i32 s0, s0, s1
	s_add_i32 s8, s0, -4
	s_add_i32 s9, s0, 0xffffff7c
	s_add_i32 s10, s0, 0xfffffefc
	;; [unrolled: 1-line block ×3, first 2 shown]
	s_mov_b32 s1, 0
	s_branch .LBB39_87
.LBB39_86:                              ;   in Loop: Header=BB39_87 Depth=1
	s_add_i32 s0, s5, 0xffffff7c
	v_mov_b32_e32 v3, s0
	ds_read_b32 v3, v3
	s_add_i32 s0, s4, -4
	s_addk_i32 s8, 0xfe00
	s_addk_i32 s9, 0xfe00
	;; [unrolled: 1-line block ×4, first 2 shown]
	s_waitcnt lgkmcnt(0)
	v_mul_f32_e32 v2, v2, v3
	s_cmp_lt_i32 s4, 4
	s_mov_b32 s4, s0
	global_store_dword v[0:1], v2, off
	s_cbranch_scc1 .LBB39_95
.LBB39_87:                              ; =>This Loop Header: Depth=1
                                        ;     Child Loop BB39_88 Depth 2
                                        ;     Child Loop BB39_90 Depth 2
                                        ;     Child Loop BB39_92 Depth 2
                                        ;     Child Loop BB39_94 Depth 2
	s_mov_b32 s5, s1
	s_lshl_b64 s[6:7], s[4:5], 2
	v_mov_b32_e32 v0, s7
	v_add_co_u32_e32 v2, vcc, s6, v38
	v_addc_co_u32_e32 v3, vcc, v39, v0, vcc
	global_load_dword v0, v[2:3], off
	s_mov_b32 s5, s8
	s_cmp_le_i32 s3, s4
	s_mov_b32 s0, s3
	s_waitcnt vmcnt(0)
	v_mul_f32_e32 v4, s16, v0
	s_cbranch_scc1 .LBB39_89
.LBB39_88:                              ;   Parent Loop BB39_87 Depth=1
                                        ; =>  This Inner Loop Header: Depth=2
	s_lshl_b64 s[6:7], s[0:1], 2
	v_mov_b32_e32 v1, s7
	v_add_co_u32_e32 v0, vcc, s6, v38
	v_addc_co_u32_e32 v1, vcc, v39, v1, vcc
	global_load_dword v0, v[0:1], off
	v_mov_b32_e32 v1, s5
	ds_read_b32 v1, v1
	s_add_i32 s0, s0, -1
	s_add_i32 s5, s5, -4
	s_cmp_gt_i32 s0, s4
	s_waitcnt vmcnt(0) lgkmcnt(0)
	v_fma_f32 v4, -v0, v1, v4
	s_cbranch_scc1 .LBB39_88
.LBB39_89:                              ;   in Loop: Header=BB39_87 Depth=1
	s_add_i32 s0, s4, -1
	s_lshl_b64 s[6:7], s[0:1], 2
	v_mov_b32_e32 v1, s7
	v_add_co_u32_e32 v0, vcc, s6, v38
	v_addc_co_u32_e32 v1, vcc, v39, v1, vcc
	global_load_dword v5, v[0:1], off
	s_mul_i32 s5, s4, 0x84
	v_mov_b32_e32 v6, s5
	ds_read_b32 v6, v6
	s_mov_b32 s6, s9
	s_cmp_le_i32 s17, s4
	s_mov_b32 s0, s17
	s_waitcnt lgkmcnt(0)
	v_mul_f32_e32 v4, v4, v6
	global_store_dword v[2:3], v4, off
	s_waitcnt vmcnt(1)
	v_mul_f32_e32 v4, s16, v5
	s_cbranch_scc1 .LBB39_91
.LBB39_90:                              ;   Parent Loop BB39_87 Depth=1
                                        ; =>  This Inner Loop Header: Depth=2
	s_add_i32 s0, s0, -1
	s_lshl_b64 s[12:13], s[0:1], 2
	v_mov_b32_e32 v3, s13
	v_add_co_u32_e32 v2, vcc, s12, v38
	v_addc_co_u32_e32 v3, vcc, v39, v3, vcc
	global_load_dword v2, v[2:3], off
	v_mov_b32_e32 v3, s6
	ds_read_b32 v3, v3
	s_add_i32 s6, s6, -4
	s_cmp_gt_i32 s0, s4
	s_waitcnt vmcnt(0) lgkmcnt(0)
	v_fma_f32 v4, -v2, v3, v4
	s_cbranch_scc1 .LBB39_90
.LBB39_91:                              ;   in Loop: Header=BB39_87 Depth=1
	s_add_i32 s6, s4, -2
	s_mov_b32 s7, s1
	s_lshl_b64 s[12:13], s[6:7], 2
	v_mov_b32_e32 v3, s13
	v_add_co_u32_e32 v2, vcc, s12, v38
	v_addc_co_u32_e32 v3, vcc, v39, v3, vcc
	global_load_dword v5, v[2:3], off
	s_addk_i32 s5, 0xff7c
	v_mov_b32_e32 v6, s5
	ds_read_b32 v6, v6
	s_mov_b32 s7, s10
	s_cmp_le_i32 s3, s6
	s_mov_b32 s0, s3
	s_waitcnt lgkmcnt(0)
	v_mul_f32_e32 v4, v4, v6
	global_store_dword v[0:1], v4, off
	s_waitcnt vmcnt(1)
	v_mul_f32_e32 v4, s16, v5
	s_cbranch_scc1 .LBB39_93
.LBB39_92:                              ;   Parent Loop BB39_87 Depth=1
                                        ; =>  This Inner Loop Header: Depth=2
	s_lshl_b64 s[12:13], s[0:1], 2
	v_mov_b32_e32 v1, s13
	v_add_co_u32_e32 v0, vcc, s12, v38
	v_addc_co_u32_e32 v1, vcc, v39, v1, vcc
	global_load_dword v0, v[0:1], off
	v_mov_b32_e32 v1, s7
	ds_read_b32 v1, v1
	s_add_i32 s0, s0, -1
	s_add_i32 s7, s7, -4
	s_cmp_gt_i32 s0, s6
	s_waitcnt vmcnt(0) lgkmcnt(0)
	v_fma_f32 v4, -v0, v1, v4
	s_cbranch_scc1 .LBB39_92
.LBB39_93:                              ;   in Loop: Header=BB39_87 Depth=1
	s_add_i32 s6, s4, -3
	s_mov_b32 s7, s1
	s_lshl_b64 s[12:13], s[6:7], 2
	v_mov_b32_e32 v1, s13
	v_add_co_u32_e32 v0, vcc, s12, v38
	v_addc_co_u32_e32 v1, vcc, v39, v1, vcc
	global_load_dword v5, v[0:1], off
	s_addk_i32 s5, 0xff7c
	v_mov_b32_e32 v6, s5
	ds_read_b32 v6, v6
	s_mov_b32 s7, s11
	s_cmp_le_i32 s3, s6
	s_mov_b32 s0, s3
	s_waitcnt lgkmcnt(0)
	v_mul_f32_e32 v4, v4, v6
	global_store_dword v[2:3], v4, off
	s_waitcnt vmcnt(1)
	v_mul_f32_e32 v2, s16, v5
	s_cbranch_scc1 .LBB39_86
.LBB39_94:                              ;   Parent Loop BB39_87 Depth=1
                                        ; =>  This Inner Loop Header: Depth=2
	s_lshl_b64 s[12:13], s[0:1], 2
	v_mov_b32_e32 v4, s13
	v_add_co_u32_e32 v3, vcc, s12, v38
	v_addc_co_u32_e32 v4, vcc, v39, v4, vcc
	global_load_dword v3, v[3:4], off
	v_mov_b32_e32 v4, s7
	ds_read_b32 v4, v4
	s_add_i32 s0, s0, -1
	s_add_i32 s7, s7, -4
	s_cmp_gt_i32 s0, s6
	s_waitcnt vmcnt(0) lgkmcnt(0)
	v_fma_f32 v2, -v3, v4, v2
	s_cbranch_scc1 .LBB39_94
	s_branch .LBB39_86
.LBB39_95:
	s_mov_b64 s[0:1], 0
.LBB39_96:
	s_and_b64 vcc, exec, s[0:1]
	s_cbranch_vccz .LBB39_118
; %bb.97:
	s_cmp_gt_i32 s2, 31
	s_cselect_b64 s[2:3], -1, 0
	s_and_b64 vcc, exec, s[2:3]
	s_cbranch_vccz .LBB39_107
; %bb.98:
	global_load_dwordx4 v[0:3], v[38:39], off
	global_load_dwordx4 v[4:7], v[38:39], off offset:16
	global_load_dwordx4 v[8:11], v[38:39], off offset:32
	global_load_dwordx4 v[12:15], v[38:39], off offset:48
	global_load_dwordx4 v[16:19], v[38:39], off offset:64
	global_load_dwordx4 v[20:23], v[38:39], off offset:80
	global_load_dwordx4 v[24:27], v[38:39], off offset:96
	global_load_dwordx4 v[28:31], v[38:39], off offset:112
	s_mov_b32 s1, 0
	s_mov_b64 s[4:5], 0
	s_mov_b32 s10, 0
	s_waitcnt vmcnt(7)
	v_mul_f32_e32 v0, s16, v0
	v_mul_f32_e32 v1, s16, v1
	v_mul_f32_e32 v2, s16, v2
	v_mul_f32_e32 v3, s16, v3
	s_waitcnt vmcnt(6)
	v_mul_f32_e32 v4, s16, v4
	v_mul_f32_e32 v5, s16, v5
	v_mul_f32_e32 v6, s16, v6
	v_mul_f32_e32 v7, s16, v7
	;; [unrolled: 5-line block ×8, first 2 shown]
.LBB39_99:                              ; =>This Loop Header: Depth=1
                                        ;     Child Loop BB39_101 Depth 2
                                        ;     Child Loop BB39_104 Depth 2
	s_cmp_eq_u32 s4, 0
	s_cbranch_scc1 .LBB39_102
; %bb.100:                              ;   in Loop: Header=BB39_99 Depth=1
	s_mov_b32 s0, s4
	s_mov_b64 s[8:9], 0
	s_mov_b64 s[6:7], s[0:1]
	s_mov_b32 s11, s10
.LBB39_101:                             ;   Parent Loop BB39_99 Depth=1
                                        ; =>  This Inner Loop Header: Depth=2
	v_mov_b32_e32 v33, s11
	s_set_gpr_idx_on s8, gpr_idx(SRC0)
	v_mov_b32_e32 v32, v0
	s_set_gpr_idx_off
	ds_read_b32 v33, v33
	s_addk_i32 s11, 0x80
	s_add_u32 s8, s8, 1
	s_addc_u32 s9, s9, 0
	s_set_gpr_idx_on s0, gpr_idx(SRC0)
	v_mov_b32_e32 v34, v0
	s_set_gpr_idx_off
	s_cmp_eq_u32 s4, s8
	s_waitcnt lgkmcnt(0)
	v_fma_f32 v32, -v32, v33, v34
	s_set_gpr_idx_on s0, gpr_idx(DST)
	v_mov_b32_e32 v0, v32
	s_set_gpr_idx_off
	s_cbranch_scc0 .LBB39_101
	s_branch .LBB39_103
.LBB39_102:                             ;   in Loop: Header=BB39_99 Depth=1
	s_mov_b64 s[6:7], 0
.LBB39_103:                             ;   in Loop: Header=BB39_99 Depth=1
	s_lshl_b32 s0, s4, 2
	s_lshl_b32 s8, s4, 7
	s_add_i32 s0, s0, s8
	v_mov_b32_e32 v32, s0
	ds_read_b32 v32, v32
	s_lshl_b64 s[8:9], s[6:7], 2
	s_set_gpr_idx_on s6, gpr_idx(SRC0)
	v_mov_b32_e32 v34, v0
	s_set_gpr_idx_off
	v_mov_b32_e32 v33, s9
	s_add_u32 s9, s4, 1
	s_waitcnt lgkmcnt(0)
	v_mul_f32_e32 v34, v34, v32
	v_add_co_u32_e32 v32, vcc, s8, v38
	v_addc_co_u32_e32 v33, vcc, v39, v33, vcc
	global_store_dword v[32:33], v34, off
	s_or_b32 s8, s4, 1
	s_set_gpr_idx_on s6, gpr_idx(DST)
	v_mov_b32_e32 v0, v34
	s_set_gpr_idx_off
	s_mov_b64 s[6:7], 0
	s_mov_b32 s11, 4
.LBB39_104:                             ;   Parent Loop BB39_99 Depth=1
                                        ; =>  This Inner Loop Header: Depth=2
	s_add_i32 s12, s10, s11
	v_mov_b32_e32 v35, s12
	s_set_gpr_idx_on s6, gpr_idx(SRC0)
	v_mov_b32_e32 v34, v0
	s_set_gpr_idx_off
	ds_read_b32 v35, v35
	s_add_u32 s6, s6, 1
	s_set_gpr_idx_on s8, gpr_idx(SRC0)
	v_mov_b32_e32 v36, v0
	s_set_gpr_idx_off
	s_addc_u32 s7, s7, 0
	s_addk_i32 s11, 0x80
	s_cmp_lg_u32 s9, s6
	s_waitcnt lgkmcnt(0)
	v_fma_f32 v34, -v34, v35, v36
	s_set_gpr_idx_on s8, gpr_idx(DST)
	v_mov_b32_e32 v0, v34
	s_set_gpr_idx_off
	s_cbranch_scc1 .LBB39_104
; %bb.105:                              ;   in Loop: Header=BB39_99 Depth=1
	v_mov_b32_e32 v35, s0
	ds_read_b32 v35, v35 offset:132
	s_add_u32 s4, s4, 2
	s_addc_u32 s5, s5, 0
	s_add_i32 s10, s10, 8
	s_cmp_eq_u32 s4, 32
	s_waitcnt lgkmcnt(0)
	v_mul_f32_e32 v34, v34, v35
	s_set_gpr_idx_on s8, gpr_idx(DST)
	v_mov_b32_e32 v0, v34
	s_set_gpr_idx_off
	global_store_dword v[32:33], v34, off offset:4
	s_cbranch_scc0 .LBB39_99
; %bb.106:
	s_mov_b32 s0, 32
	s_cmp_lt_i32 s0, s17
	s_cbranch_scc1 .LBB39_108
	s_branch .LBB39_118
.LBB39_107:
	s_mov_b32 s0, 0
	s_cmp_lt_i32 s0, s17
	s_cbranch_scc0 .LBB39_118
.LBB39_108:
	s_or_b32 s1, s0, 27
	s_cmp_ge_u32 s1, s17
	s_cbranch_scc1 .LBB39_113
; %bb.109:
	s_lshl_b32 s4, s0, 2
	v_add_co_u32_e32 v40, vcc, s4, v38
	v_addc_co_u32_e32 v41, vcc, 0, v39, vcc
	global_load_dwordx4 v[0:3], v[40:41], off
	global_load_dwordx4 v[4:7], v[40:41], off offset:16
	global_load_dwordx4 v[8:11], v[40:41], off offset:32
	;; [unrolled: 1-line block ×6, first 2 shown]
	s_andn2_b64 vcc, exec, s[2:3]
	s_waitcnt vmcnt(6)
	v_mul_f32_e32 v12, s16, v0
	v_mul_f32_e32 v13, s16, v1
	v_mul_f32_e32 v14, s16, v2
	v_mul_f32_e32 v15, s16, v3
	s_waitcnt vmcnt(5)
	v_mul_f32_e32 v16, s16, v4
	v_mul_f32_e32 v17, s16, v5
	v_mul_f32_e32 v19, s16, v6
	v_mul_f32_e32 v18, s16, v7
	;; [unrolled: 5-line block ×7, first 2 shown]
	s_cbranch_vccnz .LBB39_112
; %bb.110:
	v_mov_b32_e32 v0, v38
	v_mov_b32_e32 v1, v39
	s_mov_b32 s2, s0
.LBB39_111:                             ; =>This Inner Loop Header: Depth=1
	global_load_dword v54, v[0:1], off
	v_mov_b32_e32 v55, s4
	ds_read_b128 v[26:29], v55
	ds_read_b128 v[30:33], v55 offset:16
	ds_read_b128 v[34:37], v55 offset:32
	;; [unrolled: 1-line block ×6, first 2 shown]
	s_add_i32 s2, s2, -1
	s_addk_i32 s4, 0x80
	v_add_co_u32_e32 v0, vcc, 4, v0
	v_addc_co_u32_e32 v1, vcc, 0, v1, vcc
	s_cmp_lg_u32 s2, 0
	s_waitcnt vmcnt(0) lgkmcnt(6)
	v_fma_f32 v12, -v54, v26, v12
	v_fma_f32 v13, -v54, v27, v13
	v_fma_f32 v14, -v54, v28, v14
	v_fma_f32 v15, -v54, v29, v15
	s_waitcnt lgkmcnt(5)
	v_fma_f32 v16, -v54, v30, v16
	v_fma_f32 v17, -v54, v31, v17
	v_fma_f32 v19, -v54, v32, v19
	v_fma_f32 v18, -v54, v33, v18
	s_waitcnt lgkmcnt(4)
	;; [unrolled: 5-line block ×6, first 2 shown]
	v_fma_f32 v59, -v54, v60, v59
	v_fma_f32 v58, -v54, v61, v58
	;; [unrolled: 1-line block ×4, first 2 shown]
	s_cbranch_scc1 .LBB39_111
.LBB39_112:
	s_lshl_b32 s2, s0, 2
	s_lshl_b32 s3, s0, 7
	s_add_i32 s3, s2, s3
	v_mov_b32_e32 v55, s3
	ds_read_b128 v[26:29], v55
	ds_read2_b32 v[0:1], v55 offset0:33 offset1:34
	ds_read_b128 v[30:33], v55 offset:16
	ds_read2_b64 v[34:37], v55 offset0:33 offset1:34
	ds_read2_b32 v[42:43], v55 offset0:35 offset1:36
	s_waitcnt lgkmcnt(4)
	v_mul_f32_e32 v12, v12, v26
	v_fma_f32 v13, -v12, v27, v13
	s_waitcnt lgkmcnt(3)
	v_mul_f32_e32 v13, v13, v0
	v_fma_f32 v0, -v12, v28, v14
	v_fma_f32 v14, -v13, v1, v0
	ds_read2_b32 v[0:1], v55 offset0:99 offset1:100
	v_fma_f32 v15, -v12, v29, v15
	s_waitcnt lgkmcnt(2)
	v_mul_f32_e32 v14, v14, v34
	s_waitcnt lgkmcnt(1)
	v_fma_f32 v15, -v13, v42, v15
	v_fma_f32 v15, -v14, v35, v15
	ds_read_b128 v[26:29], v55 offset:528
	s_waitcnt lgkmcnt(1)
	v_mul_f32_e32 v15, v15, v0
	v_fma_f32 v0, -v12, v30, v16
	v_fma_f32 v0, -v13, v43, v0
	;; [unrolled: 1-line block ×3, first 2 shown]
	ds_read2_b32 v[42:43], v55 offset0:37 offset1:38
	v_fma_f32 v0, -v15, v1, v0
	s_waitcnt lgkmcnt(1)
	v_mul_f32_e32 v16, v0, v26
	ds_read2_b32 v[0:1], v55 offset0:101 offset1:102
	v_fma_f32 v17, -v12, v31, v17
	ds_read2_b32 v[30:31], v55 offset0:165 offset1:166
	s_waitcnt lgkmcnt(2)
	v_fma_f32 v17, -v13, v42, v17
	v_fma_f32 v17, -v14, v37, v17
	ds_read2_b64 v[34:37], v55 offset0:35 offset1:36
	s_waitcnt lgkmcnt(2)
	v_fma_f32 v0, -v15, v0, v17
	v_fma_f32 v0, -v16, v27, v0
	s_waitcnt lgkmcnt(1)
	v_mul_f32_e32 v17, v0, v30
	v_fma_f32 v0, -v12, v32, v19
	v_fma_f32 v0, -v13, v43, v0
	s_waitcnt lgkmcnt(0)
	v_fma_f32 v0, -v14, v34, v0
	v_fma_f32 v0, -v15, v1, v0
	;; [unrolled: 1-line block ×3, first 2 shown]
	ds_read2_b32 v[0:1], v55 offset0:39 offset1:40
	v_fma_f32 v19, -v17, v31, v19
	ds_read2_b32 v[30:31], v55 offset0:103 offset1:104
	ds_read2_b64 v[42:45], v55 offset0:99 offset1:100
	v_fma_f32 v18, -v12, v33, v18
	ds_read2_b32 v[33:34], v55 offset0:167 offset1:168
	s_waitcnt lgkmcnt(3)
	v_fma_f32 v0, -v13, v0, v18
	v_fma_f32 v0, -v14, v35, v0
	s_waitcnt lgkmcnt(2)
	v_fma_f32 v0, -v15, v30, v0
	v_fma_f32 v0, -v16, v29, v0
	ds_read2_b32 v[46:47], v55 offset0:231 offset1:232
	ds_read_b128 v[26:29], v55 offset:32
	s_waitcnt lgkmcnt(3)
	v_mul_f32_e32 v18, v19, v42
	s_waitcnt lgkmcnt(2)
	v_fma_f32 v0, -v17, v33, v0
	v_fma_f32 v0, -v18, v43, v0
	s_waitcnt lgkmcnt(1)
	v_mul_f32_e32 v19, v0, v46
	s_waitcnt lgkmcnt(0)
	v_fma_f32 v0, -v12, v26, v25
	v_fma_f32 v25, -v13, v1, v0
	ds_read2_b32 v[0:1], v55 offset0:41 offset1:42
	ds_read2_b32 v[42:43], v55 offset0:105 offset1:106
	v_fma_f32 v25, -v14, v36, v25
	v_fma_f32 v25, -v15, v31, v25
	ds_read_b128 v[30:33], v55 offset:544
	ds_read2_b32 v[48:49], v55 offset0:169 offset1:170
	v_fma_f32 v21, -v12, v27, v21
	s_waitcnt lgkmcnt(3)
	v_fma_f32 v0, -v13, v0, v21
	v_fma_f32 v0, -v14, v37, v0
	s_waitcnt lgkmcnt(2)
	v_fma_f32 v0, -v15, v42, v0
	s_waitcnt lgkmcnt(1)
	v_fma_f32 v21, -v16, v30, v25
	v_fma_f32 v0, -v16, v31, v0
	;; [unrolled: 1-line block ×3, first 2 shown]
	s_waitcnt lgkmcnt(0)
	v_fma_f32 v0, -v17, v48, v0
	v_fma_f32 v21, -v18, v44, v21
	;; [unrolled: 1-line block ×3, first 2 shown]
	ds_read_b128 v[34:37], v55 offset:1056
	ds_read2_b32 v[44:45], v55 offset0:233 offset1:234
	v_fma_f32 v21, -v19, v47, v21
	v_fma_f32 v20, -v12, v28, v20
	;; [unrolled: 1-line block ×3, first 2 shown]
	s_waitcnt lgkmcnt(1)
	v_mul_f32_e32 v20, v21, v34
	s_waitcnt lgkmcnt(0)
	v_fma_f32 v0, -v19, v44, v0
	s_add_i32 s4, s3, 0x4a4
	v_fma_f32 v21, -v20, v35, v0
	v_mov_b32_e32 v0, s4
	ds_read2_b32 v[0:1], v0 offset1:1
	ds_read2_b32 v[46:47], v55 offset0:107 offset1:108
	s_add_i32 s4, s3, 0x4ac
	global_store_dwordx4 v[40:41], v[12:15], off
	global_store_dwordx4 v[40:41], v[16:19], off offset:16
	s_waitcnt lgkmcnt(1)
	v_mul_f32_e32 v21, v21, v0
	v_fma_f32 v0, -v12, v29, v24
	ds_read2_b64 v[24:27], v55 offset0:37 offset1:38
	s_mulk_i32 s1, 0x84
	ds_read_b128 v[60:63], v55 offset:1616
	s_waitcnt lgkmcnt(1)
	v_fma_f32 v24, -v14, v24, v28
	v_fma_f32 v24, -v15, v43, v24
	ds_read2_b32 v[42:43], v55 offset0:43 offset1:44
	ds_read2_b64 v[28:31], v55 offset0:101 offset1:102
	v_fma_f32 v24, -v16, v32, v24
	v_fma_f32 v24, -v17, v49, v24
	s_waitcnt lgkmcnt(1)
	v_fma_f32 v0, -v13, v42, v0
	v_fma_f32 v0, -v14, v25, v0
	;; [unrolled: 1-line block ×4, first 2 shown]
	s_waitcnt lgkmcnt(0)
	v_fma_f32 v0, -v18, v28, v24
	v_fma_f32 v0, -v19, v45, v0
	;; [unrolled: 1-line block ×3, first 2 shown]
	ds_read2_b32 v[35:36], v55 offset0:171 offset1:172
	v_fma_f32 v48, -v21, v1, v0
	ds_read2_b32 v[0:1], v55 offset0:235 offset1:236
	ds_read2_b32 v[45:46], v55 offset0:173 offset1:174
	s_waitcnt lgkmcnt(2)
	v_fma_f32 v24, -v17, v35, v25
	ds_read_b128 v[32:35], v55 offset:48
	v_fma_f32 v24, -v18, v29, v24
	s_waitcnt lgkmcnt(2)
	v_fma_f32 v0, -v19, v0, v24
	v_fma_f32 v42, -v20, v37, v0
	s_waitcnt lgkmcnt(0)
	v_fma_f32 v0, -v12, v32, v23
	v_fma_f32 v0, -v13, v43, v0
	;; [unrolled: 1-line block ×3, first 2 shown]
	ds_read_b128 v[23:26], v55 offset:560
	v_fma_f32 v0, -v15, v47, v0
	v_fma_f32 v8, -v12, v35, v8
	s_waitcnt lgkmcnt(0)
	v_fma_f32 v0, -v16, v23, v0
	v_fma_f32 v0, -v17, v36, v0
	ds_read2_b32 v[36:37], v55 offset0:45 offset1:46
	v_fma_f32 v0, -v18, v30, v0
	v_fma_f32 v32, -v19, v1, v0
	v_fma_f32 v0, -v12, v33, v22
	s_waitcnt lgkmcnt(0)
	v_fma_f32 v22, -v13, v36, v0
	ds_read2_b32 v[0:1], v55 offset0:109 offset1:110
	v_fma_f32 v27, -v14, v27, v22
	v_mov_b32_e32 v22, s4
	ds_read2_b32 v[22:23], v22 offset1:1
	s_add_i32 s4, s3, 0x4b4
	s_waitcnt lgkmcnt(1)
	v_fma_f32 v0, -v15, v0, v27
	v_fma_f32 v0, -v16, v24, v0
	ds_read_b128 v[27:30], v55 offset:1072
	v_fma_f32 v0, -v17, v45, v0
	s_waitcnt lgkmcnt(1)
	v_fma_f32 v24, -v21, v22, v42
	ds_read2_b64 v[42:45], v55 offset0:165 offset1:166
	v_fma_f32 v0, -v18, v31, v0
	s_waitcnt lgkmcnt(1)
	v_fma_f32 v22, -v20, v27, v32
	v_fma_f32 v23, -v21, v23, v22
	s_waitcnt lgkmcnt(0)
	v_mul_f32_e32 v22, v48, v42
	v_fma_f32 v33, -v22, v43, v24
	v_fma_f32 v36, -v22, v44, v23
	ds_read2_b32 v[23:24], v55 offset0:237 offset1:238
	ds_read2_b32 v[48:49], v55 offset0:239 offset1:240
	s_waitcnt lgkmcnt(1)
	v_fma_f32 v0, -v19, v23, v0
	v_mov_b32_e32 v23, s4
	v_fma_f32 v0, -v20, v28, v0
	ds_read2_b32 v[27:28], v23 offset1:1
	s_add_i32 s4, s3, 0x5ac
	s_waitcnt lgkmcnt(0)
	v_fma_f32 v0, -v21, v27, v0
	v_fma_f32 v50, -v22, v45, v0
	v_mov_b32_e32 v0, s4
	ds_read2_b32 v[31:32], v0 offset1:1
	v_fma_f32 v0, -v12, v34, v11
	v_fma_f32 v0, -v13, v37, v0
	ds_read2_b64 v[42:45], v55 offset0:103 offset1:104
	s_add_i32 s4, s3, 0x5b4
	s_waitcnt lgkmcnt(1)
	v_mul_f32_e32 v23, v33, v31
	v_fma_f32 v51, -v23, v32, v36
	ds_read2_b64 v[31:34], v55 offset0:39 offset1:40
	ds_read2_b32 v[35:36], v55 offset0:111 offset1:112
	global_store_dwordx4 v[40:41], v[20:23], off offset:32
	s_waitcnt lgkmcnt(1)
	v_fma_f32 v0, -v14, v31, v0
	v_fma_f32 v0, -v15, v1, v0
	;; [unrolled: 1-line block ×5, first 2 shown]
	ds_read2_b32 v[0:1], v55 offset0:47 offset1:48
	ds_read2_b32 v[46:47], v55 offset0:175 offset1:176
	v_fma_f32 v11, -v19, v24, v11
	v_fma_f32 v11, -v20, v29, v11
	;; [unrolled: 1-line block ×3, first 2 shown]
	s_waitcnt lgkmcnt(1)
	v_fma_f32 v0, -v13, v0, v8
	v_fma_f32 v0, -v14, v32, v0
	v_mov_b32_e32 v8, s4
	ds_read2_b32 v[28:29], v8 offset1:1
	v_fma_f32 v0, -v15, v35, v0
	v_fma_f32 v0, -v16, v26, v0
	ds_read2_b64 v[24:27], v55 offset0:167 offset1:168
	s_waitcnt lgkmcnt(2)
	v_fma_f32 v0, -v17, v46, v0
	v_fma_f32 v0, -v18, v43, v0
	;; [unrolled: 1-line block ×4, first 2 shown]
	s_waitcnt lgkmcnt(0)
	v_fma_f32 v8, -v22, v24, v11
	v_fma_f32 v32, -v23, v28, v50
	;; [unrolled: 1-line block ×3, first 2 shown]
	ds_read_b128 v[28:31], v55 offset:1584
	s_add_i32 s4, s3, 0x4bc
	s_waitcnt lgkmcnt(0)
	v_mul_f32_e32 v8, v51, v28
	v_fma_f32 v48, -v8, v30, v11
	v_mov_b32_e32 v11, s4
	ds_read2_b32 v[50:51], v11 offset1:1
	s_add_i32 s4, s3, 0x5bc
	v_mov_b32_e32 v11, s4
	v_fma_f32 v46, -v8, v29, v32
	s_add_i32 s4, s3, 0x4c4
	s_waitcnt lgkmcnt(0)
	v_fma_f32 v0, -v21, v50, v0
	v_fma_f32 v0, -v22, v25, v0
	ds_read2_b32 v[24:25], v11 offset1:1
	s_waitcnt lgkmcnt(0)
	v_fma_f32 v0, -v23, v24, v0
	v_fma_f32 v24, -v8, v31, v0
	ds_read_b128 v[28:31], v55 offset:64
	s_waitcnt lgkmcnt(0)
	v_fma_f32 v0, -v12, v28, v10
	v_fma_f32 v0, -v13, v1, v0
	;; [unrolled: 1-line block ×3, first 2 shown]
	ds_read2_b32 v[0:1], v55 offset0:49 offset1:50
	v_fma_f32 v9, -v12, v29, v9
	v_fma_f32 v6, -v12, v31, v6
	s_waitcnt lgkmcnt(0)
	v_fma_f32 v0, -v13, v0, v9
	v_fma_f32 v0, -v14, v34, v0
	;; [unrolled: 1-line block ×3, first 2 shown]
	ds_read_b128 v[32:35], v55 offset:576
	ds_read2_b32 v[10:11], v55 offset0:113 offset1:114
	ds_read2_b32 v[36:37], v55 offset0:241 offset1:242
	s_waitcnt lgkmcnt(2)
	v_fma_f32 v9, -v16, v32, v9
	s_waitcnt lgkmcnt(1)
	v_fma_f32 v0, -v15, v10, v0
	v_fma_f32 v0, -v16, v33, v0
	ds_read2_b32 v[32:33], v55 offset0:177 offset1:178
	v_fma_f32 v9, -v17, v47, v9
	v_fma_f32 v9, -v18, v44, v9
	;; [unrolled: 1-line block ×3, first 2 shown]
	s_waitcnt lgkmcnt(0)
	v_fma_f32 v0, -v17, v32, v0
	v_fma_f32 v0, -v18, v45, v0
	ds_read_b128 v[42:45], v55 offset:1088
	v_fma_f32 v0, -v19, v36, v0
	s_waitcnt lgkmcnt(0)
	v_fma_f32 v9, -v20, v42, v9
	v_fma_f32 v9, -v21, v51, v9
	;; [unrolled: 1-line block ×3, first 2 shown]
	v_mov_b32_e32 v9, s4
	v_fma_f32 v0, -v20, v43, v0
	ds_read2_b32 v[42:43], v9 offset1:1
	s_add_i32 s4, s3, 0x6b4
	v_mov_b32_e32 v9, s4
	s_add_i32 s4, s3, 0x6bc
	ds_read2_b32 v[9:10], v9 offset1:1
	s_waitcnt lgkmcnt(1)
	v_fma_f32 v0, -v21, v42, v0
	v_fma_f32 v29, -v23, v25, v26
	v_mov_b32_e32 v25, s4
	v_fma_f32 v0, -v22, v27, v0
	ds_read2_b32 v[27:28], v25 offset1:1
	s_waitcnt lgkmcnt(1)
	v_mul_f32_e32 v9, v46, v9
	v_fma_f32 v10, -v9, v10, v48
	ds_read2_b64 v[46:49], v55 offset0:231 offset1:232
	s_add_i32 s4, s3, 0x5c4
	s_waitcnt lgkmcnt(1)
	v_fma_f32 v32, -v9, v27, v24
	ds_read_b128 v[24:27], v55 offset:1600
	s_waitcnt lgkmcnt(1)
	v_mul_f32_e32 v10, v10, v46
	v_fma_f32 v51, -v10, v47, v32
	s_waitcnt lgkmcnt(0)
	v_fma_f32 v24, -v8, v24, v29
	v_fma_f32 v24, -v9, v28, v24
	;; [unrolled: 1-line block ×3, first 2 shown]
	v_mov_b32_e32 v24, s4
	ds_read2_b32 v[46:47], v24 offset1:1
	s_add_i32 s4, s3, 0x6c4
	v_mov_b32_e32 v24, s4
	s_add_i32 s4, s3, 0x4cc
	s_waitcnt lgkmcnt(0)
	v_fma_f32 v0, -v23, v46, v0
	v_fma_f32 v0, -v8, v25, v0
	ds_read2_b32 v[24:25], v24 offset1:1
	s_waitcnt lgkmcnt(0)
	v_fma_f32 v0, -v9, v24, v0
	v_fma_f32 v24, -v10, v49, v0
	;; [unrolled: 1-line block ×3, first 2 shown]
	ds_read2_b64 v[28:31], v55 offset0:41 offset1:42
	v_fma_f32 v0, -v13, v1, v0
	s_waitcnt lgkmcnt(0)
	v_fma_f32 v0, -v14, v28, v0
	v_fma_f32 v0, -v15, v11, v0
	;; [unrolled: 1-line block ×3, first 2 shown]
	ds_read2_b32 v[0:1], v55 offset0:51 offset1:52
	s_waitcnt lgkmcnt(0)
	v_fma_f32 v0, -v13, v0, v6
	ds_read2_b32 v[6:7], v55 offset0:115 offset1:116
	v_fma_f32 v0, -v14, v29, v0
	s_waitcnt lgkmcnt(0)
	v_fma_f32 v0, -v15, v6, v0
	v_fma_f32 v0, -v16, v35, v0
	;; [unrolled: 1-line block ×3, first 2 shown]
	ds_read2_b64 v[32:35], v55 offset0:105 offset1:106
	v_mov_b32_e32 v11, s4
	ds_read2_b32 v[49:50], v11 offset1:1
	s_add_i32 s4, s3, 0x5cc
	v_mov_b32_e32 v11, s4
	s_waitcnt lgkmcnt(1)
	v_fma_f32 v6, -v18, v32, v6
	v_fma_f32 v6, -v19, v37, v6
	ds_read2_b32 v[36:37], v55 offset0:179 offset1:180
	v_fma_f32 v6, -v20, v44, v6
	v_fma_f32 v6, -v21, v43, v6
	s_or_b32 s4, s0, 15
	s_mul_i32 s5, s4, 0x84
	s_waitcnt lgkmcnt(0)
	v_fma_f32 v0, -v17, v36, v0
	v_fma_f32 v0, -v18, v33, v0
	ds_read2_b32 v[32:33], v55 offset0:243 offset1:244
	s_lshl_b32 s4, s4, 7
	s_add_i32 s4, s2, s4
	v_mov_b32_e32 v53, s4
	ds_read2_b32 v[71:72], v53 offset0:21 offset1:22
	s_waitcnt lgkmcnt(1)
	v_fma_f32 v0, -v19, v32, v0
	v_fma_f32 v0, -v20, v45, v0
	ds_read2_b64 v[42:45], v55 offset0:169 offset1:170
	v_fma_f32 v0, -v21, v49, v0
	s_or_b32 s4, s0, 16
	s_waitcnt lgkmcnt(0)
	v_fma_f32 v6, -v22, v42, v6
	v_fma_f32 v0, -v22, v43, v0
	ds_read2_b32 v[42:43], v11 offset1:1
	v_fma_f32 v6, -v23, v47, v6
	v_fma_f32 v6, -v8, v26, v6
	;; [unrolled: 1-line block ×3, first 2 shown]
	s_waitcnt lgkmcnt(0)
	v_fma_f32 v0, -v23, v42, v0
	v_fma_f32 v29, -v8, v27, v0
	v_mov_b32_e32 v0, s5
	ds_read2_b32 v[26:27], v0 offset1:1
	s_mul_i32 s5, s4, 0x84
	s_lshl_b32 s4, s4, 7
	s_add_i32 s4, s2, s4
	s_waitcnt lgkmcnt(0)
	v_mul_f32_e32 v11, v51, v26
	v_fma_f32 v0, -v11, v27, v48
	ds_read2_b32 v[27:28], v53 offset0:17 offset1:18
	s_waitcnt lgkmcnt(0)
	v_fma_f32 v32, -v11, v27, v24
	ds_read2_b64 v[24:27], v55 offset0:233 offset1:234
	s_waitcnt lgkmcnt(0)
	v_fma_f32 v6, -v10, v24, v6
	v_mov_b32_e32 v24, s5
	ds_read_b128 v[46:49], v24
	v_fma_f32 v6, -v11, v28, v6
	s_add_i32 s5, s3, 0x6cc
	s_waitcnt lgkmcnt(0)
	v_mul_f32_e32 v0, v0, v46
	v_fma_f32 v54, -v0, v48, v6
	v_mov_b32_e32 v6, s5
	ds_read2_b32 v[51:52], v6 offset1:1
	v_fma_f32 v42, -v0, v47, v32
	s_add_i32 s5, s3, 0x4d4
	s_waitcnt lgkmcnt(0)
	v_fma_f32 v6, -v9, v51, v29
	v_fma_f32 v6, -v10, v25, v6
	ds_read2_b32 v[24:25], v53 offset0:19 offset1:20
	s_waitcnt lgkmcnt(0)
	v_fma_f32 v6, -v11, v24, v6
	v_fma_f32 v64, -v0, v49, v6
	ds_read_b128 v[46:49], v55 offset:80
	s_waitcnt lgkmcnt(0)
	v_fma_f32 v5, -v12, v46, v5
	v_fma_f32 v1, -v13, v1, v5
	ds_read2_b32 v[5:6], v55 offset0:53 offset1:54
	v_fma_f32 v2, -v12, v47, v2
	ds_read2_b32 v[46:47], v55 offset0:181 offset1:182
	v_fma_f32 v1, -v14, v30, v1
	v_fma_f32 v1, -v15, v7, v1
	s_waitcnt lgkmcnt(1)
	v_fma_f32 v2, -v13, v5, v2
	v_fma_f32 v2, -v14, v31, v2
	ds_read_b128 v[28:31], v55 offset:592
	v_mov_b32_e32 v5, s5
	ds_read2_b32 v[67:68], v5 offset1:1
	s_add_i32 s5, s3, 0x5d4
	v_fma_f32 v4, -v12, v48, v4
	s_waitcnt lgkmcnt(1)
	v_fma_f32 v1, -v16, v28, v1
	v_fma_f32 v1, -v17, v37, v1
	ds_read2_b32 v[36:37], v55 offset0:117 offset1:118
	v_fma_f32 v1, -v18, v34, v1
	v_fma_f32 v1, -v19, v33, v1
	;; [unrolled: 1-line block ×4, first 2 shown]
	s_waitcnt lgkmcnt(0)
	v_fma_f32 v2, -v15, v36, v2
	v_fma_f32 v2, -v16, v29, v2
	;; [unrolled: 1-line block ×4, first 2 shown]
	ds_read_b128 v[32:35], v55 offset:1104
	s_waitcnt lgkmcnt(0)
	v_fma_f32 v1, -v20, v32, v1
	v_fma_f32 v1, -v21, v50, v1
	;; [unrolled: 1-line block ×3, first 2 shown]
	ds_read2_b32 v[50:51], v55 offset0:245 offset1:246
	v_fma_f32 v1, -v23, v43, v1
	v_fma_f32 v1, -v8, v60, v1
	;; [unrolled: 1-line block ×4, first 2 shown]
	v_mov_b32_e32 v1, s5
	ds_read2_b32 v[69:70], v1 offset1:1
	ds_read2_b32 v[43:44], v55 offset0:55 offset1:56
	s_waitcnt lgkmcnt(2)
	v_fma_f32 v2, -v19, v50, v2
	v_fma_f32 v2, -v20, v33, v2
	;; [unrolled: 1-line block ×4, first 2 shown]
	s_add_i32 s5, s3, 0x6d4
	s_waitcnt lgkmcnt(1)
	v_fma_f32 v1, -v23, v69, v2
	v_mov_b32_e32 v2, s5
	v_fma_f32 v1, -v8, v61, v1
	ds_read2_b32 v[60:61], v2 offset1:1
	s_or_b32 s5, s0, 17
	s_mul_i32 s6, s5, 0x84
	s_lshl_b32 s5, s5, 7
	s_add_i32 s5, s2, s5
	s_waitcnt lgkmcnt(0)
	v_fma_f32 v1, -v9, v60, v1
	v_fma_f32 v7, -v10, v27, v1
	v_mov_b32_e32 v1, s6
	ds_read2_b32 v[1:2], v1 offset1:1
	ds_read2_b32 v[45:46], v55 offset0:183 offset1:184
	v_fma_f32 v5, -v11, v25, v5
	v_mov_b32_e32 v60, s4
	s_or_b32 s4, s0, 18
	s_waitcnt lgkmcnt(1)
	v_mul_f32_e32 v1, v42, v1
	v_fma_f32 v2, -v1, v2, v54
	v_mov_b32_e32 v54, s5
	ds_read2_b32 v[24:25], v54 offset0:19 offset1:20
	s_mul_i32 s5, s4, 0x84
	v_fma_f32 v3, -v13, v43, v3
	ds_read2_b32 v[73:74], v54 offset0:25 offset1:26
	s_lshl_b32 s4, s4, 7
	s_waitcnt lgkmcnt(1)
	v_fma_f32 v28, -v1, v24, v64
	ds_read_b128 v[64:67], v60 offset:80
	v_mov_b32_e32 v24, s5
	s_add_i32 s5, s3, 0x4dc
	s_add_i32 s4, s2, s4
	s_waitcnt lgkmcnt(0)
	v_fma_f32 v5, -v0, v64, v5
	v_fma_f32 v5, -v1, v25, v5
	ds_read2_b64 v[24:27], v24 offset1:1
	s_waitcnt lgkmcnt(0)
	v_mul_f32_e32 v2, v2, v24
	v_fma_f32 v52, -v2, v26, v5
	v_fma_f32 v5, -v11, v71, v7
	;; [unrolled: 1-line block ×3, first 2 shown]
	ds_read2_b32 v[64:65], v54 offset0:21 offset1:22
	ds_read2_b32 v[6:7], v55 offset0:119 offset1:120
	v_fma_f32 v36, -v2, v25, v28
	s_waitcnt lgkmcnt(1)
	v_fma_f32 v5, -v1, v64, v5
	v_fma_f32 v64, -v2, v27, v5
	ds_read2_b64 v[26:29], v55 offset0:43 offset1:44
	s_waitcnt lgkmcnt(0)
	v_fma_f32 v4, -v14, v26, v4
	v_fma_f32 v3, -v14, v27, v3
	;; [unrolled: 1-line block ×6, first 2 shown]
	ds_read2_b64 v[30:33], v55 offset0:107 offset1:108
	v_fma_f32 v4, -v17, v47, v4
	v_fma_f32 v3, -v17, v45, v3
	v_mov_b32_e32 v45, s4
	s_or_b32 s4, s0, 20
	s_waitcnt lgkmcnt(0)
	v_fma_f32 v4, -v18, v30, v4
	v_fma_f32 v3, -v18, v31, v3
	ds_read2_b32 v[30:31], v55 offset0:247 offset1:248
	v_fma_f32 v4, -v19, v51, v4
	v_fma_f32 v4, -v20, v34, v4
	;; [unrolled: 1-line block ×3, first 2 shown]
	s_waitcnt lgkmcnt(0)
	v_fma_f32 v3, -v19, v30, v3
	v_fma_f32 v24, -v20, v35, v3
	ds_read2_b64 v[3:6], v55 offset0:171 offset1:172
	s_waitcnt lgkmcnt(0)
	v_fma_f32 v3, -v22, v3, v25
	v_mov_b32_e32 v25, s5
	ds_read2_b32 v[47:48], v25 offset1:1
	s_add_i32 s5, s3, 0x5dc
	v_fma_f32 v3, -v23, v70, v3
	ds_read2_b32 v[69:70], v55 offset0:249 offset1:250
	v_fma_f32 v3, -v8, v62, v3
	s_waitcnt lgkmcnt(1)
	v_fma_f32 v24, -v21, v47, v24
	v_fma_f32 v4, -v22, v4, v24
	v_mov_b32_e32 v24, s5
	ds_read2_b32 v[42:43], v24 offset1:1
	ds_read2_b64 v[24:27], v55 offset0:235 offset1:236
	v_fma_f32 v3, -v9, v61, v3
	s_add_i32 s5, s3, 0x6dc
	s_waitcnt lgkmcnt(1)
	v_fma_f32 v4, -v23, v42, v4
	s_waitcnt lgkmcnt(0)
	v_fma_f32 v3, -v10, v24, v3
	v_fma_f32 v3, -v11, v72, v3
	;; [unrolled: 1-line block ×3, first 2 shown]
	v_mov_b32_e32 v3, s5
	ds_read2_b32 v[49:50], v3 offset1:1
	v_fma_f32 v4, -v8, v63, v4
	s_or_b32 s5, s0, 19
	s_mul_i32 s6, s5, 0x84
	s_lshl_b32 s5, s5, 7
	s_waitcnt lgkmcnt(0)
	v_fma_f32 v3, -v9, v49, v4
	v_fma_f32 v3, -v10, v25, v3
	ds_read2_b32 v[24:25], v53 offset0:23 offset1:24
	s_add_i32 s5, s2, s5
	v_fma_f32 v30, -v1, v65, v30
	v_mov_b32_e32 v42, s5
	s_mul_i32 s5, s4, 0x84
	s_waitcnt lgkmcnt(0)
	v_fma_f32 v3, -v11, v24, v3
	v_fma_f32 v24, -v0, v67, v3
	v_mov_b32_e32 v3, s6
	ds_read2_b32 v[3:4], v3 offset1:1
	ds_read_b128 v[65:68], v55 offset:608
	s_lshl_b32 s4, s4, 7
	s_add_i32 s4, s2, s4
	s_waitcnt lgkmcnt(1)
	v_mul_f32_e32 v3, v36, v3
	v_fma_f32 v4, -v3, v4, v52
	ds_read2_b32 v[51:52], v42 offset0:21 offset1:22
	ds_read2_b64 v[34:37], v45 offset0:11 offset1:12
	s_waitcnt lgkmcnt(1)
	v_fma_f32 v47, -v3, v51, v64
	s_waitcnt lgkmcnt(0)
	v_fma_f32 v30, -v2, v34, v30
	v_mov_b32_e32 v34, s5
	v_fma_f32 v30, -v3, v52, v30
	ds_read_b128 v[61:64], v34
	ds_read2_b32 v[51:52], v54 offset0:23 offset1:24
	s_add_i32 s5, s3, 0x4e4
	s_waitcnt lgkmcnt(1)
	v_mul_f32_e32 v4, v4, v61
	s_waitcnt lgkmcnt(0)
	v_fma_f32 v24, -v1, v51, v24
	v_fma_f32 v24, -v2, v35, v24
	ds_read2_b32 v[34:35], v42 offset0:23 offset1:24
	v_fma_f32 v47, -v4, v62, v47
	v_fma_f32 v49, -v4, v63, v30
	s_waitcnt lgkmcnt(0)
	v_fma_f32 v24, -v3, v34, v24
	v_fma_f32 v24, -v4, v64, v24
	ds_read_b128 v[61:64], v55 offset:96
	s_waitcnt lgkmcnt(0)
	v_fma_f32 v30, -v12, v61, v59
	v_fma_f32 v30, -v13, v44, v30
	;; [unrolled: 1-line block ×4, first 2 shown]
	ds_read2_b32 v[58:59], v55 offset0:57 offset1:58
	ds_read2_b32 v[61:62], v55 offset0:121 offset1:122
	v_fma_f32 v7, -v15, v7, v28
	v_fma_f32 v7, -v16, v65, v7
	;; [unrolled: 1-line block ×3, first 2 shown]
	s_waitcnt lgkmcnt(1)
	v_fma_f32 v30, -v13, v58, v30
	v_fma_f32 v29, -v14, v29, v30
	s_waitcnt lgkmcnt(0)
	v_fma_f32 v28, -v15, v61, v29
	v_fma_f32 v28, -v16, v66, v28
	ds_read2_b32 v[65:66], v55 offset0:185 offset1:186
	v_fma_f32 v7, -v18, v32, v7
	v_fma_f32 v7, -v19, v31, v7
	s_waitcnt lgkmcnt(0)
	v_fma_f32 v28, -v17, v65, v28
	v_fma_f32 v28, -v18, v33, v28
	ds_read_b128 v[30:33], v55 offset:1120
	s_waitcnt lgkmcnt(0)
	v_fma_f32 v7, -v20, v30, v7
	v_fma_f32 v7, -v21, v48, v7
	;; [unrolled: 1-line block ×4, first 2 shown]
	v_mov_b32_e32 v28, s5
	ds_read2_b32 v[71:72], v28 offset1:1
	v_fma_f32 v7, -v20, v31, v7
	ds_read_b128 v[28:31], v55 offset:1632
	s_add_i32 s5, s3, 0x5e4
	v_fma_f32 v5, -v23, v43, v5
	s_waitcnt lgkmcnt(1)
	v_fma_f32 v7, -v21, v71, v7
	v_fma_f32 v6, -v22, v6, v7
	v_mov_b32_e32 v7, s5
	ds_read2_b32 v[43:44], v7 offset1:1
	s_addk_i32 s3, 0x6e4
	s_waitcnt lgkmcnt(1)
	v_fma_f32 v5, -v8, v28, v5
	v_mov_b32_e32 v7, s3
	v_fma_f32 v5, -v9, v50, v5
	ds_read2_b32 v[50:51], v7 offset1:1
	s_waitcnt lgkmcnt(1)
	v_fma_f32 v6, -v23, v43, v6
	v_fma_f32 v6, -v8, v29, v6
	;; [unrolled: 1-line block ×4, first 2 shown]
	s_waitcnt lgkmcnt(0)
	v_fma_f32 v6, -v9, v50, v6
	v_fma_f32 v6, -v10, v27, v6
	ds_read_b128 v[26:29], v60 offset:96
	ds_read2_b32 v[60:61], v53 offset0:25 offset1:26
	s_or_b32 s3, s0, 21
	s_mul_i32 s5, s3, 0x84
	s_lshl_b32 s3, s3, 7
	s_waitcnt lgkmcnt(1)
	v_fma_f32 v5, -v0, v26, v5
	v_fma_f32 v5, -v1, v52, v5
	;; [unrolled: 1-line block ×3, first 2 shown]
	s_waitcnt lgkmcnt(0)
	v_fma_f32 v5, -v11, v60, v6
	v_fma_f32 v5, -v0, v27, v5
	;; [unrolled: 1-line block ×4, first 2 shown]
	v_mov_b32_e32 v5, s5
	ds_read2_b32 v[5:6], v5 offset1:1
	s_add_i32 s3, s2, s3
	v_mov_b32_e32 v34, s3
	v_fma_f32 v35, -v3, v35, v7
	s_or_b32 s3, s0, 22
	s_waitcnt lgkmcnt(0)
	v_mul_f32_e32 v5, v47, v5
	v_fma_f32 v36, -v5, v6, v49
	ds_read2_b32 v[6:7], v34 offset0:23 offset1:24
	s_waitcnt lgkmcnt(0)
	v_fma_f32 v43, -v5, v6, v24
	v_mov_b32_e32 v6, s4
	ds_read_b128 v[24:27], v6 offset:96
	s_mul_i32 s4, s3, 0x84
	s_lshl_b32 s3, s3, 7
	s_add_i32 s3, s2, s3
	s_waitcnt lgkmcnt(0)
	v_fma_f32 v6, -v4, v24, v35
	v_fma_f32 v7, -v5, v7, v6
	v_mov_b32_e32 v6, s4
	ds_read2_b64 v[46:49], v6 offset1:1
	s_or_b32 s4, s0, 23
	s_mul_i32 s5, s4, 0x84
	s_lshl_b32 s4, s4, 7
	s_add_i32 s4, s2, s4
	s_waitcnt lgkmcnt(0)
	v_mul_f32_e32 v6, v36, v46
	ds_read2_b32 v[35:36], v42 offset0:25 offset1:26
	v_fma_f32 v43, -v6, v47, v43
	ds_read2_b32 v[46:47], v34 offset0:25 offset1:26
	v_fma_f32 v48, -v6, v48, v7
	s_waitcnt lgkmcnt(1)
	v_fma_f32 v7, -v3, v35, v37
	v_fma_f32 v7, -v4, v25, v7
	ds_read_b64 v[24:25], v55 offset:360
	s_waitcnt lgkmcnt(1)
	v_fma_f32 v7, -v5, v46, v7
	v_fma_f32 v35, -v6, v49, v7
	;; [unrolled: 1-line block ×4, first 2 shown]
	s_waitcnt lgkmcnt(0)
	v_fma_f32 v7, -v14, v24, v7
	ds_read_b32 v24, v55 offset:236
	v_fma_f32 v37, -v12, v64, v56
	v_fma_f32 v7, -v15, v62, v7
	;; [unrolled: 1-line block ×4, first 2 shown]
	s_waitcnt lgkmcnt(0)
	v_fma_f32 v24, -v13, v24, v37
	ds_read2_b32 v[12:13], v55 offset0:123 offset1:187
	v_fma_f32 v24, -v14, v25, v24
	v_add_u32_e32 v37, 0xec, v55
	s_waitcnt lgkmcnt(0)
	v_fma_f32 v12, -v15, v12, v24
	ds_read_b64 v[14:15], v55 offset:872
	v_fma_f32 v12, -v16, v68, v12
	v_fma_f32 v12, -v17, v13, v12
	ds_read_b64 v[24:25], v55 offset:1896
	s_waitcnt lgkmcnt(1)
	v_fma_f32 v12, -v18, v15, v12
	ds_read2st64_b32 v[15:16], v37 offset0:3 offset1:4
	v_fma_f32 v7, -v18, v14, v7
	v_fma_f32 v7, -v19, v70, v7
	;; [unrolled: 1-line block ×3, first 2 shown]
	v_mov_b32_e32 v7, s5
	s_waitcnt lgkmcnt(0)
	v_fma_f32 v12, -v19, v15, v12
	v_fma_f32 v32, -v20, v33, v12
	ds_read2_b32 v[12:13], v7 offset1:1
	ds_read_b64 v[18:19], v55 offset:1384
	s_or_b32 s5, s0, 24
	s_mulk_i32 s5, 0x84
	v_fma_f32 v16, -v21, v16, v32
	s_waitcnt lgkmcnt(1)
	v_mul_f32_e32 v7, v43, v12
	v_fma_f32 v12, -v21, v72, v14
	s_waitcnt lgkmcnt(0)
	v_fma_f32 v12, -v22, v18, v12
	v_fma_f32 v12, -v23, v44, v12
	;; [unrolled: 1-line block ×4, first 2 shown]
	ds_read_b64 v[17:18], v45 offset:104
	v_fma_f32 v12, -v10, v24, v12
	v_fma_f32 v12, -v11, v61, v12
	;; [unrolled: 1-line block ×4, first 2 shown]
	ds_read2st64_b32 v[32:33], v37 offset0:5 offset1:6
	v_fma_f32 v43, -v7, v13, v48
	v_mov_b32_e32 v13, s5
	s_waitcnt lgkmcnt(1)
	v_fma_f32 v12, -v2, v17, v12
	v_mov_b32_e32 v24, s4
	v_fma_f32 v28, -v3, v36, v12
	ds_read_b128 v[12:15], v13
	v_fma_f32 v19, -v22, v19, v16
	ds_read2_b32 v[16:17], v24 offset0:25 offset1:26
	s_waitcnt lgkmcnt(2)
	v_fma_f32 v21, -v23, v32, v19
	v_mov_b32_e32 v19, s3
	s_or_b32 s4, s0, 25
	ds_read_b64 v[19:20], v19 offset:104
	s_waitcnt lgkmcnt(2)
	v_mul_f32_e32 v12, v43, v12
	s_waitcnt lgkmcnt(1)
	v_fma_f32 v16, -v7, v16, v35
	s_mul_i32 s5, s4, 0x84
	v_fma_f32 v13, -v12, v13, v16
	v_mov_b32_e32 v16, s5
	ds_read2_b32 v[22:23], v16 offset1:1
	v_fma_f32 v16, -v4, v26, v28
	v_fma_f32 v16, -v5, v47, v16
	s_or_b32 s3, s0, 26
	s_waitcnt lgkmcnt(1)
	v_fma_f32 v16, -v6, v19, v16
	s_mulk_i32 s3, 0x84
	global_store_dwordx4 v[40:41], v[8:11], off offset:48
	global_store_dwordx4 v[40:41], v[0:3], off offset:64
	;; [unrolled: 1-line block ×3, first 2 shown]
	v_fma_f32 v19, -v7, v17, v16
	v_mov_b32_e32 v16, s3
	ds_read_b64 v[16:17], v16
	s_waitcnt lgkmcnt(1)
	v_mul_f32_e32 v13, v13, v22
	v_fma_f32 v14, -v12, v14, v19
	v_fma_f32 v8, -v8, v31, v21
	;; [unrolled: 1-line block ×5, first 2 shown]
	ds_read_b32 v10, v42 offset:108
	s_waitcnt lgkmcnt(1)
	v_mul_f32_e32 v14, v14, v16
	ds_read_b32 v16, v53 offset:108
	ds_read_b32 v9, v54 offset:108
	s_lshl_b32 s3, s4, 7
	s_add_i32 s2, s2, s3
	s_or_b32 s0, s0, 28
	s_waitcnt lgkmcnt(1)
	v_fma_f32 v8, -v11, v16, v8
	v_fma_f32 v0, -v0, v29, v8
	ds_read_b32 v8, v34 offset:108
	s_waitcnt lgkmcnt(1)
	v_fma_f32 v0, -v1, v9, v0
	v_fma_f32 v0, -v2, v18, v0
	ds_read_b32 v1, v24 offset:108
	v_fma_f32 v0, -v3, v10, v0
	v_mov_b32_e32 v2, s2
	v_fma_f32 v0, -v4, v27, v0
	ds_read_b32 v2, v2 offset:108
	s_waitcnt lgkmcnt(2)
	v_fma_f32 v0, -v5, v8, v0
	v_mov_b32_e32 v3, s1
	v_fma_f32 v0, -v6, v20, v0
	ds_read_b32 v3, v3
	s_waitcnt lgkmcnt(2)
	v_fma_f32 v0, -v7, v1, v0
	v_fma_f32 v0, -v12, v15, v0
	s_waitcnt lgkmcnt(1)
	v_fma_f32 v0, -v13, v2, v0
	v_fma_f32 v0, -v14, v17, v0
	s_waitcnt lgkmcnt(0)
	v_mul_f32_e32 v15, v0, v3
	global_store_dwordx4 v[40:41], v[12:15], off offset:96
.LBB39_113:
	s_cmp_ge_i32 s0, s17
	s_cbranch_scc1 .LBB39_118
; %bb.114:
	s_lshl_b32 s2, s0, 2
	s_branch .LBB39_116
.LBB39_115:                             ;   in Loop: Header=BB39_116 Depth=1
	s_mul_i32 s1, s0, 0x84
	v_mov_b32_e32 v2, s1
	ds_read_b32 v2, v2
	s_add_i32 s0, s0, 1
	s_add_i32 s2, s2, 4
	s_cmp_ge_i32 s0, s17
	s_waitcnt lgkmcnt(0)
	v_mul_f32_e32 v2, v4, v2
	global_store_dword v[0:1], v2, off
	s_cbranch_scc1 .LBB39_118
.LBB39_116:                             ; =>This Loop Header: Depth=1
                                        ;     Child Loop BB39_117 Depth 2
	s_ashr_i32 s1, s0, 31
	s_lshl_b64 s[4:5], s[0:1], 2
	v_mov_b32_e32 v1, s5
	v_add_co_u32_e32 v0, vcc, s4, v38
	v_addc_co_u32_e32 v1, vcc, v39, v1, vcc
	global_load_dword v4, v[0:1], off
	v_mov_b32_e32 v2, v38
	v_mov_b32_e32 v3, v39
	s_mov_b32 s1, s2
	s_cmp_eq_u32 s0, 0
	s_mov_b32 s3, s0
	s_waitcnt vmcnt(0)
	v_mul_f32_e32 v4, s16, v4
	s_cbranch_scc1 .LBB39_115
.LBB39_117:                             ;   Parent Loop BB39_116 Depth=1
                                        ; =>  This Inner Loop Header: Depth=2
	global_load_dword v5, v[2:3], off
	v_mov_b32_e32 v6, s1
	ds_read_b32 v6, v6
	s_add_i32 s3, s3, -1
	s_addk_i32 s1, 0x80
	v_add_co_u32_e32 v2, vcc, 4, v2
	v_addc_co_u32_e32 v3, vcc, 0, v3, vcc
	s_cmp_lg_u32 s3, 0
	s_waitcnt vmcnt(0) lgkmcnt(0)
	v_fma_f32 v4, -v5, v6, v4
	s_cbranch_scc1 .LBB39_117
	s_branch .LBB39_115
.LBB39_118:
	s_endpgm
	.section	.rodata,"a",@progbits
	.p2align	6, 0x0
	.amdhsa_kernel _ZL30rocblas_trsm_small_left_deviceILi32ELi32ELb1EffPKfPfEv13rocblas_fill_18rocblas_operation_17rocblas_diagonal_iiT3_T4_lilT5_lili
		.amdhsa_group_segment_fixed_size 4096
		.amdhsa_private_segment_fixed_size 0
		.amdhsa_kernarg_size 352
		.amdhsa_user_sgpr_count 6
		.amdhsa_user_sgpr_private_segment_buffer 1
		.amdhsa_user_sgpr_dispatch_ptr 0
		.amdhsa_user_sgpr_queue_ptr 0
		.amdhsa_user_sgpr_kernarg_segment_ptr 1
		.amdhsa_user_sgpr_dispatch_id 0
		.amdhsa_user_sgpr_flat_scratch_init 0
		.amdhsa_user_sgpr_private_segment_size 0
		.amdhsa_uses_dynamic_stack 0
		.amdhsa_system_sgpr_private_segment_wavefront_offset 0
		.amdhsa_system_sgpr_workgroup_id_x 1
		.amdhsa_system_sgpr_workgroup_id_y 0
		.amdhsa_system_sgpr_workgroup_id_z 1
		.amdhsa_system_sgpr_workgroup_info 0
		.amdhsa_system_vgpr_workitem_id 0
		.amdhsa_next_free_vgpr 75
		.amdhsa_next_free_sgpr 98
		.amdhsa_reserve_vcc 1
		.amdhsa_reserve_flat_scratch 0
		.amdhsa_float_round_mode_32 0
		.amdhsa_float_round_mode_16_64 0
		.amdhsa_float_denorm_mode_32 3
		.amdhsa_float_denorm_mode_16_64 3
		.amdhsa_dx10_clamp 1
		.amdhsa_ieee_mode 1
		.amdhsa_fp16_overflow 0
		.amdhsa_exception_fp_ieee_invalid_op 0
		.amdhsa_exception_fp_denorm_src 0
		.amdhsa_exception_fp_ieee_div_zero 0
		.amdhsa_exception_fp_ieee_overflow 0
		.amdhsa_exception_fp_ieee_underflow 0
		.amdhsa_exception_fp_ieee_inexact 0
		.amdhsa_exception_int_div_zero 0
	.end_amdhsa_kernel
	.section	.text._ZL30rocblas_trsm_small_left_deviceILi32ELi32ELb1EffPKfPfEv13rocblas_fill_18rocblas_operation_17rocblas_diagonal_iiT3_T4_lilT5_lili,"axG",@progbits,_ZL30rocblas_trsm_small_left_deviceILi32ELi32ELb1EffPKfPfEv13rocblas_fill_18rocblas_operation_17rocblas_diagonal_iiT3_T4_lilT5_lili,comdat
.Lfunc_end39:
	.size	_ZL30rocblas_trsm_small_left_deviceILi32ELi32ELb1EffPKfPfEv13rocblas_fill_18rocblas_operation_17rocblas_diagonal_iiT3_T4_lilT5_lili, .Lfunc_end39-_ZL30rocblas_trsm_small_left_deviceILi32ELi32ELb1EffPKfPfEv13rocblas_fill_18rocblas_operation_17rocblas_diagonal_iiT3_T4_lilT5_lili
                                        ; -- End function
	.set _ZL30rocblas_trsm_small_left_deviceILi32ELi32ELb1EffPKfPfEv13rocblas_fill_18rocblas_operation_17rocblas_diagonal_iiT3_T4_lilT5_lili.num_vgpr, 75
	.set _ZL30rocblas_trsm_small_left_deviceILi32ELi32ELb1EffPKfPfEv13rocblas_fill_18rocblas_operation_17rocblas_diagonal_iiT3_T4_lilT5_lili.num_agpr, 0
	.set _ZL30rocblas_trsm_small_left_deviceILi32ELi32ELb1EffPKfPfEv13rocblas_fill_18rocblas_operation_17rocblas_diagonal_iiT3_T4_lilT5_lili.numbered_sgpr, 24
	.set _ZL30rocblas_trsm_small_left_deviceILi32ELi32ELb1EffPKfPfEv13rocblas_fill_18rocblas_operation_17rocblas_diagonal_iiT3_T4_lilT5_lili.num_named_barrier, 0
	.set _ZL30rocblas_trsm_small_left_deviceILi32ELi32ELb1EffPKfPfEv13rocblas_fill_18rocblas_operation_17rocblas_diagonal_iiT3_T4_lilT5_lili.private_seg_size, 0
	.set _ZL30rocblas_trsm_small_left_deviceILi32ELi32ELb1EffPKfPfEv13rocblas_fill_18rocblas_operation_17rocblas_diagonal_iiT3_T4_lilT5_lili.uses_vcc, 1
	.set _ZL30rocblas_trsm_small_left_deviceILi32ELi32ELb1EffPKfPfEv13rocblas_fill_18rocblas_operation_17rocblas_diagonal_iiT3_T4_lilT5_lili.uses_flat_scratch, 0
	.set _ZL30rocblas_trsm_small_left_deviceILi32ELi32ELb1EffPKfPfEv13rocblas_fill_18rocblas_operation_17rocblas_diagonal_iiT3_T4_lilT5_lili.has_dyn_sized_stack, 0
	.set _ZL30rocblas_trsm_small_left_deviceILi32ELi32ELb1EffPKfPfEv13rocblas_fill_18rocblas_operation_17rocblas_diagonal_iiT3_T4_lilT5_lili.has_recursion, 0
	.set _ZL30rocblas_trsm_small_left_deviceILi32ELi32ELb1EffPKfPfEv13rocblas_fill_18rocblas_operation_17rocblas_diagonal_iiT3_T4_lilT5_lili.has_indirect_call, 0
	.section	.AMDGPU.csdata,"",@progbits
; Kernel info:
; codeLenInByte = 12596
; TotalNumSgprs: 28
; NumVgprs: 75
; ScratchSize: 0
; MemoryBound: 0
; FloatMode: 240
; IeeeMode: 1
; LDSByteSize: 4096 bytes/workgroup (compile time only)
; SGPRBlocks: 12
; VGPRBlocks: 18
; NumSGPRsForWavesPerEU: 102
; NumVGPRsForWavesPerEU: 75
; Occupancy: 3
; WaveLimiterHint : 0
; COMPUTE_PGM_RSRC2:SCRATCH_EN: 0
; COMPUTE_PGM_RSRC2:USER_SGPR: 6
; COMPUTE_PGM_RSRC2:TRAP_HANDLER: 0
; COMPUTE_PGM_RSRC2:TGID_X_EN: 1
; COMPUTE_PGM_RSRC2:TGID_Y_EN: 0
; COMPUTE_PGM_RSRC2:TGID_Z_EN: 1
; COMPUTE_PGM_RSRC2:TIDIG_COMP_CNT: 0
	.section	.text._ZL31rocblas_trsm_small_right_deviceIffPKfPfLi32EEv13rocblas_fill_18rocblas_operation_17rocblas_diagonal_iiT0_T1_lilT2_lili,"axG",@progbits,_ZL31rocblas_trsm_small_right_deviceIffPKfPfLi32EEv13rocblas_fill_18rocblas_operation_17rocblas_diagonal_iiT0_T1_lilT2_lili,comdat
	.globl	_ZL31rocblas_trsm_small_right_deviceIffPKfPfLi32EEv13rocblas_fill_18rocblas_operation_17rocblas_diagonal_iiT0_T1_lilT2_lili ; -- Begin function _ZL31rocblas_trsm_small_right_deviceIffPKfPfLi32EEv13rocblas_fill_18rocblas_operation_17rocblas_diagonal_iiT0_T1_lilT2_lili
	.p2align	8
	.type	_ZL31rocblas_trsm_small_right_deviceIffPKfPfLi32EEv13rocblas_fill_18rocblas_operation_17rocblas_diagonal_iiT0_T1_lilT2_lili,@function
_ZL31rocblas_trsm_small_right_deviceIffPKfPfLi32EEv13rocblas_fill_18rocblas_operation_17rocblas_diagonal_iiT0_T1_lilT2_lili: ; @_ZL31rocblas_trsm_small_right_deviceIffPKfPfLi32EEv13rocblas_fill_18rocblas_operation_17rocblas_diagonal_iiT0_T1_lilT2_lili
; %bb.0:
	s_load_dwordx4 s[8:11], s[4:5], 0x0
	s_load_dwordx2 s[12:13], s[4:5], 0x10
	s_load_dwordx4 s[0:3], s[4:5], 0x30
	s_load_dwordx2 s[14:15], s[4:5], 0x40
	s_waitcnt lgkmcnt(0)
	s_min_i32 s18, s12, 32
	v_cmp_gt_i32_e32 vcc, s18, v0
	s_and_saveexec_b64 s[16:17], vcc
	s_cbranch_execz .LBB40_5
; %bb.1:
	s_load_dword s24, s[4:5], 0x28
	s_load_dwordx4 s[20:23], s[4:5], 0x18
	s_mul_i32 s1, s1, s7
	s_mul_hi_u32 s19, s0, s7
	s_add_i32 s1, s19, s1
	s_mul_i32 s0, s0, s7
	s_waitcnt lgkmcnt(0)
	s_ashr_i32 s25, s24, 31
	s_lshl_b64 s[0:1], s[0:1], 2
	s_add_u32 s19, s20, s0
	s_addc_u32 s20, s21, s1
	s_lshl_b64 s[0:1], s[22:23], 2
	s_add_u32 s0, s19, s0
	s_addc_u32 s1, s20, s1
	v_lshlrev_b32_e32 v3, 2, v0
	v_mov_b32_e32 v2, s1
	v_add_co_u32_e32 v1, vcc, s0, v3
	s_lshl_b64 s[0:1], s[24:25], 2
	v_addc_co_u32_e32 v2, vcc, 0, v2, vcc
	v_mov_b32_e32 v4, s1
	v_mov_b32_e32 v5, v3
	s_mov_b32 s1, s18
.LBB40_2:                               ; =>This Inner Loop Header: Depth=1
	global_load_dword v6, v[1:2], off
	v_add_co_u32_e32 v1, vcc, s0, v1
	s_add_i32 s1, s1, -1
	v_addc_co_u32_e32 v2, vcc, v2, v4, vcc
	s_cmp_eq_u32 s1, 0
	s_waitcnt vmcnt(0)
	ds_write_b32 v5, v6
	v_add_u32_e32 v5, 0x80, v5
	s_cbranch_scc0 .LBB40_2
; %bb.3:
	s_cmpk_eq_i32 s10, 0x84
	s_cbranch_scc0 .LBB40_5
; %bb.4:
	v_lshl_or_b32 v1, v0, 7, v3
	v_mov_b32_e32 v2, 1.0
	ds_write_b32 v1, v2
.LBB40_5:
	s_or_b64 exec, exec, s[16:17]
	s_load_dword s0, s[4:5], 0x60
	s_load_dwordx2 s[16:17], s[4:5], 0x50
	s_load_dword s10, s[4:5], 0x48
	s_waitcnt lgkmcnt(0)
	s_mul_i32 s1, s17, s7
	s_mul_hi_u32 s5, s16, s7
	s_mul_i32 s4, s16, s7
	s_add_i32 s5, s5, s1
	s_lshl_b64 s[4:5], s[4:5], 2
	s_add_u32 s1, s2, s4
	s_addc_u32 s4, s3, s5
	s_lshl_b64 s[2:3], s[14:15], 2
	s_add_u32 s2, s1, s2
	s_addc_u32 s3, s4, s3
	s_lshl_b32 s1, s6, 5
	s_add_i32 s0, s0, -1
	s_sub_i32 s1, s11, s1
	s_cmp_ge_u32 s6, s0
	s_cselect_b32 s4, s1, 32
	s_ashr_i32 s7, s6, 31
	s_lshl_b64 s[0:1], s[6:7], 7
	s_add_u32 s14, s2, s0
	s_addc_u32 s15, s3, s1
	v_cmp_gt_i32_e64 s[0:1], s4, v0
	s_and_saveexec_b64 s[2:3], s[0:1]
	s_cbranch_execz .LBB40_9
; %bb.6:
	s_cmp_lt_i32 s12, 1
	s_cbranch_scc1 .LBB40_9
; %bb.7:
	s_ashr_i32 s11, s10, 31
	v_lshlrev_b32_e32 v3, 2, v0
	v_mov_b32_e32 v2, s15
	v_add_co_u32_e32 v1, vcc, s14, v3
	s_lshl_b64 s[4:5], s[10:11], 2
	v_addc_co_u32_e32 v2, vcc, 0, v2, vcc
	v_or_b32_e32 v3, 0x1000, v3
	v_mov_b32_e32 v4, s5
	s_mov_b32 s5, s12
.LBB40_8:                               ; =>This Inner Loop Header: Depth=1
	global_load_dword v5, v[1:2], off
	s_add_i32 s5, s5, -1
	v_add_co_u32_e32 v1, vcc, s4, v1
	v_addc_co_u32_e32 v2, vcc, v2, v4, vcc
	s_cmp_lg_u32 s5, 0
	s_waitcnt vmcnt(0)
	v_mul_f32_e32 v5, s13, v5
	ds_write_b32 v3, v5
	v_add_u32_e32 v3, 0x80, v3
	s_cbranch_scc1 .LBB40_8
.LBB40_9:
	s_or_b64 exec, exec, s[2:3]
	s_cmpk_eq_i32 s9, 0x6f
	s_cselect_b64 s[2:3], -1, 0
	s_cmpk_lg_i32 s8, 0x79
	s_cselect_b64 s[4:5], -1, 0
	s_cmpk_eq_i32 s8, 0x79
	s_cselect_b64 s[6:7], -1, 0
	s_and_b64 s[6:7], s[6:7], s[2:3]
	s_andn2_b64 vcc, exec, s[6:7]
	s_mov_b64 s[6:7], -1
	s_waitcnt lgkmcnt(0)
	; wave barrier
	s_cbranch_vccz .LBB40_66
; %bb.10:
	s_cmpk_lg_i32 s8, 0x7a
	s_cselect_b64 s[16:17], -1, 0
	s_xor_b64 s[2:3], s[2:3], -1
	s_add_i32 s8, s18, -1
	s_or_b64 s[16:17], s[16:17], s[2:3]
	v_mov_b32_e32 v1, 0x1000
	s_cmp_gt_i32 s12, 3
	v_lshl_or_b32 v3, v0, 2, v1
	s_cselect_b64 s[2:3], -1, 0
	s_and_b64 vcc, exec, s[16:17]
	s_cbranch_vccz .LBB40_45
; %bb.11:
	s_andn2_b64 vcc, exec, s[4:5]
	s_mov_b64 s[4:5], -1
	s_cbranch_vccnz .LBB40_24
; %bb.12:
	s_andn2_b64 vcc, exec, s[2:3]
	s_mov_b32 s6, 0
	s_cbranch_vccnz .LBB40_18
; %bb.13:
	v_mov_b32_e32 v1, 0x1000
	v_lshl_or_b32 v4, v0, 2, v1
	s_mov_b32 s4, 0
	s_mov_b32 s5, 0
.LBB40_14:                              ; =>This Loop Header: Depth=1
                                        ;     Child Loop BB40_15 Depth 2
	s_lshl_b32 s7, s5, 7
	s_or_b32 s6, s5, 1
	v_add_u32_e32 v5, s7, v3
	v_lshl_add_u32 v7, s6, 7, v3
	s_or_b32 s9, s7, 0x180
	ds_read2st64_b32 v[1:2], v5 offset1:1
	v_add_u32_e32 v6, s9, v3
	ds_read_b32 v10, v7
	ds_read_b32 v8, v6
	s_cmp_eq_u32 s5, 0
	v_mov_b32_e32 v9, v4
	s_mov_b32 s9, s4
	s_mov_b32 s11, s5
	s_cbranch_scc1 .LBB40_16
.LBB40_15:                              ;   Parent Loop BB40_14 Depth=1
                                        ; =>  This Inner Loop Header: Depth=2
	v_mov_b32_e32 v11, s9
	ds_read_b32 v15, v9
	ds_read_b128 v[11:14], v11
	s_add_i32 s11, s11, -1
	s_addk_i32 s9, 0x80
	v_add_u32_e32 v9, 0x80, v9
	s_cmp_eq_u32 s11, 0
	s_waitcnt lgkmcnt(0)
	v_fma_f32 v1, -v15, v11, v1
	v_fma_f32 v10, -v15, v12, v10
	;; [unrolled: 1-line block ×4, first 2 shown]
	s_cbranch_scc0 .LBB40_15
.LBB40_16:                              ;   in Loop: Header=BB40_14 Depth=1
	s_lshl_b32 s9, s5, 2
	s_add_i32 s7, s9, s7
	v_mov_b32_e32 v17, s7
	ds_read_b128 v[11:14], v17
	ds_read2_b32 v[15:16], v17 offset0:33 offset1:34
	s_lshl_b32 s6, s6, 2
	s_addk_i32 s7, 0x84
	s_sub_i32 s6, s7, s6
	s_waitcnt lgkmcnt(1)
	v_div_scale_f32 v18, s[16:17], v11, v11, v1
	v_div_scale_f32 v19, vcc, v1, v11, v1
	s_add_i32 s6, s6, s9
	s_add_i32 s4, s4, 16
	v_add_u32_e32 v9, 0x100, v5
	v_rcp_f32_e32 v20, v18
	v_fma_f32 v21, -v18, v20, 1.0
	v_fmac_f32_e32 v20, v21, v20
	v_mul_f32_e32 v21, v19, v20
	v_fma_f32 v22, -v18, v21, v19
	v_fmac_f32_e32 v21, v22, v20
	v_fma_f32 v18, -v18, v21, v19
	v_div_fmas_f32 v18, v18, v20, v21
	v_div_fixup_f32 v1, v18, v11, v1
	v_fma_f32 v12, -v1, v12, v10
	s_waitcnt lgkmcnt(0)
	v_div_scale_f32 v10, s[16:17], v15, v15, v12
	v_div_scale_f32 v11, vcc, v12, v15, v12
	v_fma_f32 v2, -v1, v13, v2
	v_fma_f32 v8, -v1, v14, v8
	v_rcp_f32_e32 v18, v10
	v_fma_f32 v19, -v10, v18, 1.0
	v_fmac_f32_e32 v18, v19, v18
	v_mul_f32_e32 v19, v11, v18
	v_fma_f32 v20, -v10, v19, v11
	v_fmac_f32_e32 v19, v20, v18
	v_fma_f32 v10, -v10, v19, v11
	v_div_fmas_f32 v18, v10, v18, v19
	ds_read_b64 v[10:11], v17 offset:264
	ds_read_b32 v17, v17 offset:396
	v_div_fixup_f32 v12, v18, v15, v12
	v_fma_f32 v2, -v12, v16, v2
	s_waitcnt lgkmcnt(1)
	v_div_scale_f32 v13, s[16:17], v10, v10, v2
	v_div_scale_f32 v15, vcc, v2, v10, v2
	v_rcp_f32_e32 v16, v13
	v_fma_f32 v18, -v13, v16, 1.0
	v_fmac_f32_e32 v16, v18, v16
	v_mul_f32_e32 v18, v15, v16
	v_fma_f32 v19, -v13, v18, v15
	v_fmac_f32_e32 v18, v19, v16
	v_fma_f32 v13, -v13, v18, v15
	v_div_fmas_f32 v13, v13, v16, v18
	v_mov_b32_e32 v15, s6
	ds_read_b32 v15, v15 offset:12
	s_waitcnt lgkmcnt(0)
	v_fma_f32 v8, -v12, v15, v8
	v_div_fixup_f32 v2, v13, v10, v2
	v_fma_f32 v8, -v2, v11, v8
	v_div_scale_f32 v10, s[6:7], v17, v17, v8
	v_div_scale_f32 v11, vcc, v8, v17, v8
	s_add_i32 s6, s5, 4
	s_add_i32 s5, s5, 7
	ds_write_b32 v5, v1
	ds_write_b32 v7, v12
	;; [unrolled: 1-line block ×3, first 2 shown]
	s_cmp_ge_i32 s5, s18
	v_rcp_f32_e32 v13, v10
	v_fma_f32 v14, -v10, v13, 1.0
	v_fmac_f32_e32 v13, v14, v13
	v_mul_f32_e32 v14, v11, v13
	v_fma_f32 v15, -v10, v14, v11
	v_fmac_f32_e32 v14, v15, v13
	v_fma_f32 v10, -v10, v14, v11
	v_div_fmas_f32 v10, v10, v13, v14
	v_div_fixup_f32 v1, v10, v17, v8
	ds_write_b32 v6, v1
	s_cbranch_scc1 .LBB40_18
; %bb.17:                               ;   in Loop: Header=BB40_14 Depth=1
	s_mov_b32 s5, s6
	s_branch .LBB40_14
.LBB40_18:
	s_cmp_ge_i32 s6, s18
	s_cbranch_scc1 .LBB40_23
; %bb.19:
	v_mov_b32_e32 v1, 0x1000
	s_lshl_b32 s4, s6, 2
	v_lshl_or_b32 v1, v0, 2, v1
	s_branch .LBB40_21
.LBB40_20:                              ;   in Loop: Header=BB40_21 Depth=1
	s_lshl_b32 s7, s6, 2
	s_add_i32 s5, s7, s5
	v_mov_b32_e32 v5, s5
	ds_read_b32 v5, v5
	s_add_i32 s6, s6, 1
	s_add_i32 s4, s4, 4
	s_cmp_ge_i32 s6, s18
	s_waitcnt lgkmcnt(0)
	v_div_scale_f32 v6, s[16:17], v5, v5, v4
	v_div_scale_f32 v7, vcc, v4, v5, v4
	v_rcp_f32_e32 v8, v6
	v_fma_f32 v9, -v6, v8, 1.0
	v_fmac_f32_e32 v8, v9, v8
	v_mul_f32_e32 v9, v7, v8
	v_fma_f32 v10, -v6, v9, v7
	v_fmac_f32_e32 v9, v10, v8
	v_fma_f32 v6, -v6, v9, v7
	v_div_fmas_f32 v6, v6, v8, v9
	v_div_fixup_f32 v4, v6, v5, v4
	ds_write_b32 v2, v4
	s_cbranch_scc1 .LBB40_23
.LBB40_21:                              ; =>This Loop Header: Depth=1
                                        ;     Child Loop BB40_22 Depth 2
	s_lshl_b32 s5, s6, 7
	v_add_u32_e32 v2, s5, v3
	ds_read_b32 v4, v2
	s_cmp_eq_u32 s6, 0
	v_mov_b32_e32 v5, v1
	s_mov_b32 s7, s4
	s_mov_b32 s9, s6
	s_cbranch_scc1 .LBB40_20
.LBB40_22:                              ;   Parent Loop BB40_21 Depth=1
                                        ; =>  This Inner Loop Header: Depth=2
	v_mov_b32_e32 v7, s7
	ds_read_b32 v6, v5
	ds_read_b32 v7, v7
	s_add_i32 s9, s9, -1
	s_addk_i32 s7, 0x80
	v_add_u32_e32 v5, 0x80, v5
	s_cmp_eq_u32 s9, 0
	s_waitcnt lgkmcnt(0)
	v_fma_f32 v4, -v6, v7, v4
	s_cbranch_scc0 .LBB40_22
	s_branch .LBB40_20
.LBB40_23:
	s_mov_b64 s[4:5], 0
.LBB40_24:
	s_and_b64 vcc, exec, s[4:5]
	s_cbranch_vccz .LBB40_44
; %bb.25:
	s_andn2_b64 vcc, exec, s[2:3]
	s_mov_b32 s6, s8
	s_cbranch_vccnz .LBB40_31
; %bb.26:
	v_lshlrev_b32_e32 v1, 2, v0
	s_mul_i32 s4, s18, 0x84
	v_lshl_or_b32 v1, s18, 7, v1
	s_addk_i32 s4, 0xff70
	v_add_u32_e32 v1, 0xf80, v1
	s_mov_b32 s5, s8
.LBB40_27:                              ; =>This Loop Header: Depth=1
                                        ;     Child Loop BB40_28 Depth 2
	s_add_i32 s11, s5, -3
	v_lshl_add_u32 v2, s5, 7, v3
	s_add_i32 s9, s5, -1
	s_add_i32 s6, s5, -2
	s_lshl_b32 s7, s11, 7
	v_lshl_add_u32 v4, s9, 7, v3
	v_lshl_add_u32 v5, s6, 7, v3
	v_add_u32_e32 v6, s7, v3
	ds_read_b32 v10, v2
	ds_read_b32 v9, v4
	;; [unrolled: 1-line block ×4, first 2 shown]
	s_cmp_le_i32 s8, s5
	v_mov_b32_e32 v11, v1
	s_mov_b32 s13, s4
	s_mov_b32 s16, s8
	s_cbranch_scc1 .LBB40_29
.LBB40_28:                              ;   Parent Loop BB40_27 Depth=1
                                        ; =>  This Inner Loop Header: Depth=2
	v_mov_b32_e32 v14, s13
	ds_read_b32 v16, v11
	ds_read2_b32 v[12:13], v14 offset0:2 offset1:3
	ds_read2_b32 v[14:15], v14 offset1:1
	s_add_i32 s16, s16, -1
	s_addk_i32 s13, 0xff80
	v_add_u32_e32 v11, 0xffffff80, v11
	s_cmp_le_i32 s16, s5
	s_waitcnt lgkmcnt(1)
	v_fma_f32 v10, -v16, v13, v10
	v_fma_f32 v9, -v16, v12, v9
	s_waitcnt lgkmcnt(0)
	v_fma_f32 v8, -v16, v15, v8
	v_fma_f32 v7, -v16, v14, v7
	s_cbranch_scc0 .LBB40_28
.LBB40_29:                              ;   in Loop: Header=BB40_27 Depth=1
	s_lshl_b32 s13, s5, 2
	s_lshl_b32 s16, s9, 7
	s_add_i32 s16, s13, s16
	s_lshl_b32 s17, s5, 7
	s_add_i32 s16, s16, -4
	s_lshl_b32 s9, s9, 2
	s_add_i32 s17, s13, s17
	s_sub_i32 s9, s16, s9
	s_lshl_b32 s11, s11, 2
	s_add_i32 s19, s17, -4
	s_add_i32 s17, s17, -12
	s_add_i32 s9, s9, s11
	v_mov_b32_e32 v11, s19
	v_mov_b32_e32 v13, s16
	;; [unrolled: 1-line block ×4, first 2 shown]
	ds_read2_b32 v[11:12], v11 offset1:1
	ds_read_b32 v17, v13
	ds_read2_b32 v[13:14], v14 offset1:1
	ds_read2_b32 v[15:16], v15 offset1:1
	s_lshl_b32 s9, s6, 7
	s_waitcnt lgkmcnt(3)
	v_div_scale_f32 v18, s[16:17], v12, v12, v10
	v_div_scale_f32 v19, vcc, v10, v12, v10
	s_lshl_b32 s6, s6, 2
	s_add_i32 s9, s13, s9
	s_sub_i32 s6, s9, s6
	s_add_i32 s7, s13, s7
	s_add_i32 s6, s6, s11
	s_add_i32 s7, s7, -12
	s_add_i32 s6, s6, -8
	;; [unrolled: 1-line block ×3, first 2 shown]
	v_rcp_f32_e32 v20, v18
	v_fma_f32 v21, -v18, v20, 1.0
	v_fmac_f32_e32 v20, v21, v20
	v_mul_f32_e32 v21, v19, v20
	v_fma_f32 v22, -v18, v21, v19
	v_fmac_f32_e32 v21, v22, v20
	v_fma_f32 v18, -v18, v21, v19
	v_div_fmas_f32 v18, v18, v20, v21
	v_div_fixup_f32 v12, v18, v12, v10
	v_fma_f32 v11, -v12, v11, v9
	s_waitcnt lgkmcnt(2)
	v_div_scale_f32 v9, s[16:17], v17, v17, v11
	v_div_scale_f32 v10, vcc, v11, v17, v11
	s_waitcnt lgkmcnt(1)
	v_fma_f32 v8, -v12, v14, v8
	v_fma_f32 v7, -v12, v13, v7
	v_rcp_f32_e32 v18, v9
	v_fma_f32 v19, -v9, v18, 1.0
	v_fmac_f32_e32 v18, v19, v18
	v_mul_f32_e32 v19, v10, v18
	v_fma_f32 v20, -v9, v19, v10
	v_fmac_f32_e32 v19, v20, v18
	v_fma_f32 v9, -v9, v19, v10
	v_div_fmas_f32 v18, v9, v18, v19
	v_mov_b32_e32 v19, s7
	v_mov_b32_e32 v9, s6
	ds_read2_b32 v[9:10], v9 offset1:1
	ds_read_b32 v19, v19
	v_div_fixup_f32 v11, v18, v17, v11
	s_waitcnt lgkmcnt(2)
	v_fma_f32 v8, -v11, v16, v8
	s_waitcnt lgkmcnt(1)
	v_div_scale_f32 v14, s[6:7], v10, v10, v8
	v_div_scale_f32 v16, vcc, v8, v10, v8
	v_fma_f32 v7, -v11, v15, v7
	v_rcp_f32_e32 v17, v14
	v_fma_f32 v18, -v14, v17, 1.0
	v_fmac_f32_e32 v17, v18, v17
	v_mul_f32_e32 v18, v16, v17
	v_fma_f32 v20, -v14, v18, v16
	v_fmac_f32_e32 v18, v20, v17
	v_fma_f32 v14, -v14, v18, v16
	v_div_fmas_f32 v14, v14, v17, v18
	v_div_fixup_f32 v8, v14, v10, v8
	v_fma_f32 v7, -v8, v9, v7
	s_waitcnt lgkmcnt(0)
	v_div_scale_f32 v9, s[6:7], v19, v19, v7
	v_div_scale_f32 v10, vcc, v7, v19, v7
	s_add_i32 s6, s5, -4
	ds_write_b32 v2, v12
	ds_write_b32 v4, v11
	ds_write_b32 v5, v8
	s_cmp_lt_i32 s5, 7
	v_rcp_f32_e32 v13, v9
	v_fma_f32 v14, -v9, v13, 1.0
	v_fmac_f32_e32 v13, v14, v13
	v_mul_f32_e32 v14, v10, v13
	v_fma_f32 v15, -v9, v14, v10
	v_fmac_f32_e32 v14, v15, v13
	v_fma_f32 v9, -v9, v14, v10
	v_div_fmas_f32 v9, v9, v13, v14
	v_div_fixup_f32 v2, v9, v19, v7
	ds_write_b32 v6, v2
	s_cbranch_scc1 .LBB40_31
; %bb.30:                               ;   in Loop: Header=BB40_27 Depth=1
	s_mov_b32 s5, s6
	s_branch .LBB40_27
.LBB40_31:
	s_cmp_lt_i32 s6, 0
	s_cbranch_scc1 .LBB40_44
; %bb.32:
	s_bitcmp1_b32 s6, 0
	s_cselect_b64 s[4:5], -1, 0
	s_and_b64 vcc, exec, s[4:5]
	s_mov_b32 s4, s6
	s_cbranch_vccnz .LBB40_37
; %bb.33:
	s_lshl_b32 s4, s6, 7
	v_add_u32_e32 v1, s4, v3
	ds_read_b32 v2, v1
	s_cmp_le_i32 s8, s6
	s_cbranch_scc1 .LBB40_36
; %bb.34:
	s_lshl_b32 s7, s18, 7
	s_lshl_b32 s5, s6, 2
	s_add_i32 s5, s7, s5
	v_lshl_or_b32 v4, v0, 2, s7
	s_addk_i32 s5, 0xff80
	v_add_u32_e32 v4, 0xf80, v4
	s_mov_b32 s7, s8
.LBB40_35:                              ; =>This Inner Loop Header: Depth=1
	v_mov_b32_e32 v6, s5
	ds_read_b32 v5, v4
	ds_read_b32 v6, v6
	s_add_i32 s7, s7, -1
	s_addk_i32 s5, 0xff80
	v_add_u32_e32 v4, 0xffffff80, v4
	s_cmp_gt_u32 s7, s6
	s_waitcnt lgkmcnt(0)
	v_fma_f32 v2, -v5, v6, v2
	s_cbranch_scc1 .LBB40_35
.LBB40_36:
	s_lshl_b32 s5, s6, 2
	s_add_i32 s4, s5, s4
	v_mov_b32_e32 v4, s4
	ds_read_b32 v4, v4
	s_waitcnt lgkmcnt(0)
	v_div_scale_f32 v5, s[4:5], v4, v4, v2
	v_div_scale_f32 v6, vcc, v2, v4, v2
	s_add_i32 s4, s6, -1
	v_rcp_f32_e32 v7, v5
	v_fma_f32 v8, -v5, v7, 1.0
	v_fmac_f32_e32 v7, v8, v7
	v_mul_f32_e32 v8, v6, v7
	v_fma_f32 v9, -v5, v8, v6
	v_fmac_f32_e32 v8, v9, v7
	v_fma_f32 v5, -v5, v8, v6
	v_div_fmas_f32 v5, v5, v7, v8
	v_div_fixup_f32 v2, v5, v4, v2
	ds_write_b32 v1, v2
.LBB40_37:
	s_cmp_eq_u32 s6, 0
	s_cbranch_scc1 .LBB40_44
; %bb.38:
	s_lshl_b32 s6, s18, 7
	s_lshl_b32 s5, s4, 2
	s_add_i32 s7, s6, s5
	v_lshl_or_b32 v1, v0, 2, s6
	s_add_i32 s5, s7, 0xffffff80
	v_add_u32_e32 v1, 0xf80, v1
	s_add_i32 s6, s7, 0xffffff7c
	s_branch .LBB40_40
.LBB40_39:                              ;   in Loop: Header=BB40_40 Depth=1
	s_add_i32 s9, s9, s11
	s_add_i32 s9, s9, -4
	v_mov_b32_e32 v4, s9
	ds_read_b32 v4, v4
	s_add_i32 s4, s4, -2
	s_add_i32 s5, s5, -8
	;; [unrolled: 1-line block ×3, first 2 shown]
	s_cmp_eq_u32 s7, 0
	s_waitcnt lgkmcnt(0)
	v_div_scale_f32 v6, s[16:17], v4, v4, v5
	v_div_scale_f32 v7, vcc, v5, v4, v5
	v_rcp_f32_e32 v8, v6
	v_fma_f32 v9, -v6, v8, 1.0
	v_fmac_f32_e32 v8, v9, v8
	v_mul_f32_e32 v9, v7, v8
	v_fma_f32 v10, -v6, v9, v7
	v_fmac_f32_e32 v9, v10, v8
	v_fma_f32 v6, -v6, v9, v7
	v_div_fmas_f32 v6, v6, v8, v9
	v_div_fixup_f32 v4, v6, v4, v5
	ds_write_b32 v2, v4
	s_cbranch_scc1 .LBB40_44
.LBB40_40:                              ; =>This Loop Header: Depth=1
                                        ;     Child Loop BB40_41 Depth 2
                                        ;     Child Loop BB40_43 Depth 2
	s_lshl_b32 s7, s4, 7
	v_add_u32_e32 v4, s7, v3
	ds_read_b32 v6, v4
	s_cmp_le_i32 s8, s4
	v_mov_b32_e32 v2, v1
	s_mov_b32 s9, s5
	s_mov_b32 s11, s8
	s_cbranch_scc1 .LBB40_42
.LBB40_41:                              ;   Parent Loop BB40_40 Depth=1
                                        ; =>  This Inner Loop Header: Depth=2
	v_mov_b32_e32 v7, s9
	ds_read_b32 v5, v2
	ds_read_b32 v7, v7
	s_add_i32 s11, s11, -1
	s_addk_i32 s9, 0xff80
	v_add_u32_e32 v2, 0xffffff80, v2
	s_cmp_le_u32 s11, s4
	s_waitcnt lgkmcnt(0)
	v_fma_f32 v6, -v5, v7, v6
	s_cbranch_scc0 .LBB40_41
.LBB40_42:                              ;   in Loop: Header=BB40_40 Depth=1
	s_lshl_b32 s9, s4, 2
	s_add_i32 s7, s9, s7
	v_mov_b32_e32 v2, s7
	ds_read_b32 v8, v2
	s_add_i32 s7, s4, -1
	s_lshl_b32 s11, s7, 7
	v_add_u32_e32 v2, s11, v3
	ds_read_b32 v5, v2
	s_waitcnt lgkmcnt(1)
	v_div_scale_f32 v7, s[16:17], v8, v8, v6
	v_div_scale_f32 v9, vcc, v6, v8, v6
	s_mov_b32 s13, s6
	s_cmp_le_i32 s18, s4
	s_mov_b32 s16, s8
	v_rcp_f32_e32 v10, v7
	v_fma_f32 v11, -v7, v10, 1.0
	v_fmac_f32_e32 v10, v11, v10
	v_mul_f32_e32 v11, v9, v10
	v_fma_f32 v12, -v7, v11, v9
	v_fmac_f32_e32 v11, v12, v10
	v_fma_f32 v7, -v7, v11, v9
	v_div_fmas_f32 v9, v7, v10, v11
	v_mov_b32_e32 v7, v1
	v_div_fixup_f32 v6, v9, v8, v6
	ds_write_b32 v4, v6
	s_cbranch_scc1 .LBB40_39
.LBB40_43:                              ;   Parent Loop BB40_40 Depth=1
                                        ; =>  This Inner Loop Header: Depth=2
	v_mov_b32_e32 v6, s13
	ds_read_b32 v4, v7
	ds_read_b32 v6, v6
	s_add_i32 s16, s16, -1
	s_addk_i32 s13, 0xff80
	v_add_u32_e32 v7, 0xffffff80, v7
	s_cmp_gt_u32 s16, s7
	s_waitcnt lgkmcnt(0)
	v_fma_f32 v5, -v4, v6, v5
	s_cbranch_scc1 .LBB40_43
	s_branch .LBB40_39
.LBB40_44:
	s_mov_b64 s[6:7], 0
.LBB40_45:
	s_andn2_b64 vcc, exec, s[6:7]
	s_cbranch_vccnz .LBB40_65
; %bb.46:
	s_andn2_b64 vcc, exec, s[2:3]
	s_mov_b32 s4, s8
	s_cbranch_vccnz .LBB40_52
; %bb.47:
	v_lshlrev_b32_e32 v1, 2, v0
	v_lshl_or_b32 v1, s18, 7, v1
	s_mul_i32 s2, s18, 0x84
	v_add_u32_e32 v1, 0xf80, v1
	s_addk_i32 s2, 0xfdfc
	s_mov_b32 s3, s8
.LBB40_48:                              ; =>This Loop Header: Depth=1
                                        ;     Child Loop BB40_49 Depth 2
	v_lshl_add_u32 v2, s3, 7, v3
	s_add_i32 s7, s3, -1
	s_add_i32 s5, s3, -2
	;; [unrolled: 1-line block ×3, first 2 shown]
	v_lshl_add_u32 v4, s7, 7, v3
	v_lshl_add_u32 v5, s5, 7, v3
	v_lshl_add_u32 v6, s4, 7, v3
	ds_read_b32 v10, v2
	ds_read_b32 v9, v4
	;; [unrolled: 1-line block ×4, first 2 shown]
	s_cmp_le_i32 s8, s3
	s_mov_b32 s6, s2
	v_mov_b32_e32 v11, v1
	s_mov_b32 s9, s8
	s_cbranch_scc1 .LBB40_50
.LBB40_49:                              ;   Parent Loop BB40_48 Depth=1
                                        ; =>  This Inner Loop Header: Depth=2
	v_mov_b32_e32 v14, s6
	ds_read_b32 v16, v11
	ds_read2_b32 v[12:13], v14 offset0:64 offset1:96
	ds_read2_b32 v[14:15], v14 offset1:32
	s_add_i32 s9, s9, -1
	s_add_i32 s6, s6, -4
	v_add_u32_e32 v11, 0xffffff80, v11
	s_cmp_le_i32 s9, s3
	s_waitcnt lgkmcnt(1)
	v_fma_f32 v10, -v16, v13, v10
	v_fma_f32 v9, -v16, v12, v9
	s_waitcnt lgkmcnt(0)
	v_fma_f32 v8, -v16, v15, v8
	v_fma_f32 v7, -v16, v14, v7
	s_cbranch_scc0 .LBB40_49
.LBB40_50:                              ;   in Loop: Header=BB40_48 Depth=1
	s_lshl_b32 s11, s7, 5
	s_lshl_b32 s11, s11, 2
	;; [unrolled: 1-line block ×4, first 2 shown]
	s_add_i32 s7, s11, s7
	v_mov_b32_e32 v12, s7
	s_lshl_b32 s7, s9, 2
	s_lshl_b32 s9, s3, 2
	s_lshl_b32 s5, s5, 2
	s_mul_i32 s13, s3, 0x84
	s_add_i32 s11, s7, s9
	s_add_i32 s5, s7, s5
	v_mov_b32_e32 v11, s13
	v_mov_b32_e32 v13, s11
	;; [unrolled: 1-line block ×3, first 2 shown]
	ds_read_b32 v15, v11
	ds_read2_b32 v[11:12], v12 offset1:1
	ds_read_b32 v16, v13
	ds_read2_b32 v[13:14], v14 offset1:1
	s_lshl_b32 s6, s4, 5
	s_waitcnt lgkmcnt(3)
	v_div_scale_f32 v17, s[16:17], v15, v15, v10
	v_div_scale_f32 v18, vcc, v10, v15, v10
	s_lshl_b32 s5, s6, 2
	s_add_i32 s6, s5, s9
	s_add_i32 s6, s6, -4
	s_lshl_b32 s4, s4, 2
	s_add_i32 s4, s5, s4
	s_addk_i32 s2, 0xfe00
	v_rcp_f32_e32 v19, v17
	v_fma_f32 v20, -v17, v19, 1.0
	v_fmac_f32_e32 v19, v20, v19
	v_mul_f32_e32 v20, v18, v19
	v_fma_f32 v21, -v17, v20, v18
	v_fmac_f32_e32 v20, v21, v19
	v_fma_f32 v17, -v17, v20, v18
	v_div_fmas_f32 v17, v17, v19, v20
	v_div_fixup_f32 v15, v17, v15, v10
	s_waitcnt lgkmcnt(2)
	v_fma_f32 v9, -v15, v12, v9
	v_div_scale_f32 v10, s[16:17], v11, v11, v9
	v_div_scale_f32 v12, vcc, v9, v11, v9
	s_waitcnt lgkmcnt(1)
	v_fma_f32 v8, -v15, v16, v8
	v_rcp_f32_e32 v17, v10
	v_fma_f32 v18, -v10, v17, 1.0
	v_fmac_f32_e32 v17, v18, v17
	v_mul_f32_e32 v18, v12, v17
	v_fma_f32 v19, -v10, v18, v12
	v_fmac_f32_e32 v18, v19, v17
	v_fma_f32 v10, -v10, v18, v12
	v_div_fmas_f32 v10, v10, v17, v18
	v_div_fixup_f32 v12, v10, v11, v9
	s_waitcnt lgkmcnt(0)
	v_fma_f32 v14, -v12, v14, v8
	v_div_scale_f32 v8, s[16:17], v13, v13, v14
	v_div_scale_f32 v9, vcc, v14, v13, v14
	v_rcp_f32_e32 v10, v8
	v_fma_f32 v11, -v8, v10, 1.0
	v_fmac_f32_e32 v10, v11, v10
	v_mul_f32_e32 v11, v9, v10
	v_fma_f32 v16, -v8, v11, v9
	v_fmac_f32_e32 v11, v16, v10
	v_fma_f32 v8, -v8, v11, v9
	v_div_fmas_f32 v16, v8, v10, v11
	v_mov_b32_e32 v8, s6
	ds_read2_b32 v[8:9], v8 offset1:1
	v_mov_b32_e32 v10, s4
	ds_read2_b32 v[10:11], v10 offset1:1
	s_waitcnt lgkmcnt(1)
	v_fma_f32 v7, -v15, v9, v7
	v_fma_f32 v7, -v12, v8, v7
	v_div_fixup_f32 v8, v16, v13, v14
	s_waitcnt lgkmcnt(0)
	v_fma_f32 v7, -v8, v11, v7
	v_div_scale_f32 v9, s[4:5], v10, v10, v7
	v_div_scale_f32 v11, vcc, v7, v10, v7
	s_add_i32 s4, s3, -4
	ds_write_b32 v2, v15
	ds_write_b32 v4, v12
	;; [unrolled: 1-line block ×3, first 2 shown]
	s_cmp_lt_i32 s3, 7
	v_rcp_f32_e32 v13, v9
	v_fma_f32 v14, -v9, v13, 1.0
	v_fmac_f32_e32 v13, v14, v13
	v_mul_f32_e32 v14, v11, v13
	v_fma_f32 v16, -v9, v14, v11
	v_fmac_f32_e32 v14, v16, v13
	v_fma_f32 v9, -v9, v14, v11
	v_div_fmas_f32 v9, v9, v13, v14
	v_div_fixup_f32 v2, v9, v10, v7
	ds_write_b32 v6, v2
	s_cbranch_scc1 .LBB40_52
; %bb.51:                               ;   in Loop: Header=BB40_48 Depth=1
	s_mov_b32 s3, s4
	s_branch .LBB40_48
.LBB40_52:
	s_cmp_lt_i32 s4, 0
	s_cbranch_scc1 .LBB40_65
; %bb.53:
	s_bitcmp1_b32 s4, 0
	s_cselect_b64 s[2:3], -1, 0
	s_and_b64 vcc, exec, s[2:3]
	s_mov_b32 s2, s4
	s_cbranch_vccnz .LBB40_58
; %bb.54:
	v_lshl_add_u32 v1, s4, 7, v3
	ds_read_b32 v2, v1
	s_cmp_le_i32 s8, s4
	s_cbranch_scc1 .LBB40_57
; %bb.55:
	s_lshl_b32 s2, s4, 7
	s_lshl_b32 s3, s18, 2
	v_lshlrev_b32_e32 v4, 2, v0
	s_add_i32 s2, s2, s3
	v_lshl_or_b32 v4, s18, 7, v4
	s_add_i32 s2, s2, -4
	v_add_u32_e32 v4, 0xf80, v4
	s_mov_b32 s3, s8
.LBB40_56:                              ; =>This Inner Loop Header: Depth=1
	v_mov_b32_e32 v6, s2
	ds_read_b32 v5, v4
	ds_read_b32 v6, v6
	s_add_i32 s3, s3, -1
	s_add_i32 s2, s2, -4
	v_add_u32_e32 v4, 0xffffff80, v4
	s_cmp_gt_u32 s3, s4
	s_waitcnt lgkmcnt(0)
	v_fma_f32 v2, -v5, v6, v2
	s_cbranch_scc1 .LBB40_56
.LBB40_57:
	s_mul_i32 s2, s4, 0x84
	v_mov_b32_e32 v4, s2
	ds_read_b32 v4, v4
	s_waitcnt lgkmcnt(0)
	v_div_scale_f32 v5, s[2:3], v4, v4, v2
	v_div_scale_f32 v6, vcc, v2, v4, v2
	s_add_i32 s2, s4, -1
	v_rcp_f32_e32 v7, v5
	v_fma_f32 v8, -v5, v7, 1.0
	v_fmac_f32_e32 v7, v8, v7
	v_mul_f32_e32 v8, v6, v7
	v_fma_f32 v9, -v5, v8, v6
	v_fmac_f32_e32 v8, v9, v7
	v_fma_f32 v5, -v5, v8, v6
	v_div_fmas_f32 v5, v5, v7, v8
	v_div_fixup_f32 v2, v5, v4, v2
	ds_write_b32 v1, v2
.LBB40_58:
	s_cmp_eq_u32 s4, 0
	s_cbranch_scc1 .LBB40_65
; %bb.59:
	v_lshlrev_b32_e32 v1, 2, v0
	s_lshl_b32 s3, s2, 7
	s_lshl_b32 s4, s18, 2
	v_lshl_or_b32 v1, s18, 7, v1
	s_add_i32 s4, s3, s4
	v_add_u32_e32 v1, 0xf80, v1
	s_add_i32 s3, s4, -4
	s_addk_i32 s4, 0xff7c
	s_branch .LBB40_61
.LBB40_60:                              ;   in Loop: Header=BB40_61 Depth=1
	s_addk_i32 s6, 0xff7c
	v_mov_b32_e32 v4, s6
	ds_read_b32 v4, v4
	s_add_i32 s2, s2, -2
	s_addk_i32 s3, 0xff00
	s_addk_i32 s4, 0xff00
	s_cmp_eq_u32 s5, 0
	s_waitcnt lgkmcnt(0)
	v_div_scale_f32 v6, s[6:7], v4, v4, v5
	v_div_scale_f32 v7, vcc, v5, v4, v5
	v_rcp_f32_e32 v8, v6
	v_fma_f32 v9, -v6, v8, 1.0
	v_fmac_f32_e32 v8, v9, v8
	v_mul_f32_e32 v9, v7, v8
	v_fma_f32 v10, -v6, v9, v7
	v_fmac_f32_e32 v9, v10, v8
	v_fma_f32 v6, -v6, v9, v7
	v_div_fmas_f32 v6, v6, v8, v9
	v_div_fixup_f32 v4, v6, v4, v5
	ds_write_b32 v2, v4
	s_cbranch_scc1 .LBB40_65
.LBB40_61:                              ; =>This Loop Header: Depth=1
                                        ;     Child Loop BB40_62 Depth 2
                                        ;     Child Loop BB40_64 Depth 2
	v_lshl_add_u32 v4, s2, 7, v3
	ds_read_b32 v6, v4
	s_cmp_le_i32 s8, s2
	s_mov_b32 s5, s3
	v_mov_b32_e32 v2, v1
	s_mov_b32 s6, s8
	s_cbranch_scc1 .LBB40_63
.LBB40_62:                              ;   Parent Loop BB40_61 Depth=1
                                        ; =>  This Inner Loop Header: Depth=2
	v_mov_b32_e32 v7, s5
	ds_read_b32 v5, v2
	ds_read_b32 v7, v7
	s_add_i32 s6, s6, -1
	s_add_i32 s5, s5, -4
	v_add_u32_e32 v2, 0xffffff80, v2
	s_cmp_le_u32 s6, s2
	s_waitcnt lgkmcnt(0)
	v_fma_f32 v6, -v5, v7, v6
	s_cbranch_scc0 .LBB40_62
.LBB40_63:                              ;   in Loop: Header=BB40_61 Depth=1
	s_mul_i32 s6, s2, 0x84
	v_mov_b32_e32 v2, s6
	ds_read_b32 v8, v2
	s_add_i32 s5, s2, -1
	v_lshl_add_u32 v2, s5, 7, v3
	ds_read_b32 v5, v2
	s_mov_b32 s7, s4
	s_waitcnt lgkmcnt(1)
	v_div_scale_f32 v7, s[16:17], v8, v8, v6
	v_div_scale_f32 v9, vcc, v6, v8, v6
	s_cmp_le_i32 s18, s2
	s_mov_b32 s9, s8
	v_rcp_f32_e32 v10, v7
	v_fma_f32 v11, -v7, v10, 1.0
	v_fmac_f32_e32 v10, v11, v10
	v_mul_f32_e32 v11, v9, v10
	v_fma_f32 v12, -v7, v11, v9
	v_fmac_f32_e32 v11, v12, v10
	v_fma_f32 v7, -v7, v11, v9
	v_div_fmas_f32 v9, v7, v10, v11
	v_mov_b32_e32 v7, v1
	v_div_fixup_f32 v6, v9, v8, v6
	ds_write_b32 v4, v6
	s_cbranch_scc1 .LBB40_60
.LBB40_64:                              ;   Parent Loop BB40_61 Depth=1
                                        ; =>  This Inner Loop Header: Depth=2
	v_mov_b32_e32 v6, s7
	ds_read_b32 v4, v7
	ds_read_b32 v6, v6
	s_add_i32 s9, s9, -1
	s_add_i32 s7, s7, -4
	v_add_u32_e32 v7, 0xffffff80, v7
	s_cmp_gt_u32 s9, s5
	s_waitcnt lgkmcnt(0)
	v_fma_f32 v5, -v4, v6, v5
	s_cbranch_scc1 .LBB40_64
	s_branch .LBB40_60
.LBB40_65:
	s_mov_b64 s[6:7], 0
.LBB40_66:
	s_andn2_b64 vcc, exec, s[6:7]
	s_cbranch_vccnz .LBB40_78
; %bb.67:
	v_mov_b32_e32 v1, 0x1000
	v_lshl_or_b32 v1, v0, 2, v1
	s_cmp_lt_i32 s12, 4
	s_mov_b32 s4, 0
	s_cbranch_scc1 .LBB40_73
; %bb.68:
	s_mov_b32 s2, 0
	s_mov_b32 s3, 0
.LBB40_69:                              ; =>This Loop Header: Depth=1
                                        ;     Child Loop BB40_70 Depth 2
	s_or_b32 s4, s3, 3
	v_lshl_add_u32 v2, s3, 7, v1
	s_or_b32 s5, s3, 1
	s_or_b32 s6, s3, 2
	v_lshl_add_u32 v3, s5, 7, v1
	v_lshl_add_u32 v5, s6, 7, v1
	;; [unrolled: 1-line block ×3, first 2 shown]
	ds_read_b32 v9, v2
	ds_read_b32 v8, v3
	;; [unrolled: 1-line block ×4, first 2 shown]
	s_cmp_eq_u32 s3, 0
	s_mov_b32 s7, s2
	v_mov_b32_e32 v10, v1
	s_mov_b32 s8, s3
	s_cbranch_scc1 .LBB40_71
.LBB40_70:                              ;   Parent Loop BB40_69 Depth=1
                                        ; =>  This Inner Loop Header: Depth=2
	v_mov_b32_e32 v13, s7
	ds_read_b32 v15, v10
	ds_read2_b32 v[11:12], v13 offset1:32
	ds_read2_b32 v[13:14], v13 offset0:64 offset1:96
	s_add_i32 s8, s8, -1
	s_add_i32 s7, s7, 4
	v_add_u32_e32 v10, 0x80, v10
	s_cmp_eq_u32 s8, 0
	s_waitcnt lgkmcnt(1)
	v_fma_f32 v9, -v15, v11, v9
	v_fma_f32 v8, -v15, v12, v8
	s_waitcnt lgkmcnt(0)
	v_fma_f32 v7, -v15, v13, v7
	v_fma_f32 v6, -v15, v14, v6
	s_cbranch_scc0 .LBB40_70
.LBB40_71:                              ;   in Loop: Header=BB40_69 Depth=1
	s_lshl_b32 s7, s5, 5
	s_lshl_b32 s5, s6, 5
	s_mul_i32 s6, s3, 0x84
	v_mov_b32_e32 v10, s6
	ds_read_b32 v15, v10
	s_lshl_b32 s6, s7, 2
	s_lshl_b32 s8, s3, 2
	s_add_i32 s6, s6, s8
	v_mov_b32_e32 v10, s6
	s_waitcnt lgkmcnt(0)
	v_div_scale_f32 v16, s[6:7], v15, v15, v9
	v_div_scale_f32 v17, vcc, v9, v15, v9
	s_lshl_b32 s5, s5, 2
	s_add_i32 s5, s5, s8
	v_mov_b32_e32 v11, s5
	ds_read_b64 v[13:14], v10
	ds_read_b96 v[10:12], v11
	s_lshl_b32 s4, s4, 5
	s_lshl_b32 s4, s4, 2
	s_add_i32 s4, s4, s8
	s_addk_i32 s2, 0x200
	v_rcp_f32_e32 v18, v16
	v_fma_f32 v19, -v16, v18, 1.0
	v_fmac_f32_e32 v18, v19, v18
	v_mul_f32_e32 v19, v17, v18
	v_fma_f32 v20, -v16, v19, v17
	v_fmac_f32_e32 v19, v20, v18
	v_fma_f32 v16, -v16, v19, v17
	v_div_fmas_f32 v16, v16, v18, v19
	v_div_fixup_f32 v15, v16, v15, v9
	s_waitcnt lgkmcnt(1)
	v_fma_f32 v8, -v15, v13, v8
	v_div_scale_f32 v9, s[6:7], v14, v14, v8
	v_div_scale_f32 v13, vcc, v8, v14, v8
	s_waitcnt lgkmcnt(0)
	v_fma_f32 v7, -v15, v10, v7
	v_rcp_f32_e32 v16, v9
	v_fma_f32 v17, -v9, v16, 1.0
	v_fmac_f32_e32 v16, v17, v16
	v_mul_f32_e32 v17, v13, v16
	v_fma_f32 v18, -v9, v17, v13
	v_fmac_f32_e32 v17, v18, v16
	v_fma_f32 v9, -v9, v17, v13
	v_div_fmas_f32 v9, v9, v16, v17
	v_div_fixup_f32 v13, v9, v14, v8
	v_fma_f32 v11, -v13, v11, v7
	v_div_scale_f32 v7, s[6:7], v12, v12, v11
	v_div_scale_f32 v8, vcc, v11, v12, v11
	v_rcp_f32_e32 v9, v7
	v_fma_f32 v10, -v7, v9, 1.0
	v_fmac_f32_e32 v9, v10, v9
	v_mul_f32_e32 v10, v8, v9
	v_fma_f32 v14, -v7, v10, v8
	v_fmac_f32_e32 v10, v14, v9
	v_fma_f32 v7, -v7, v10, v8
	v_div_fmas_f32 v14, v7, v9, v10
	v_mov_b32_e32 v7, s4
	ds_read_b128 v[7:10], v7
	s_waitcnt lgkmcnt(0)
	v_fma_f32 v6, -v15, v7, v6
	v_fma_f32 v6, -v13, v8, v6
	v_div_fixup_f32 v7, v14, v12, v11
	v_fma_f32 v6, -v7, v9, v6
	v_div_scale_f32 v8, s[4:5], v10, v10, v6
	v_div_scale_f32 v9, vcc, v6, v10, v6
	s_add_i32 s4, s3, 4
	s_add_i32 s3, s3, 7
	ds_write_b32 v2, v15
	ds_write_b32 v3, v13
	;; [unrolled: 1-line block ×3, first 2 shown]
	s_cmp_ge_i32 s3, s18
	v_rcp_f32_e32 v11, v8
	v_fma_f32 v12, -v8, v11, 1.0
	v_fmac_f32_e32 v11, v12, v11
	v_mul_f32_e32 v12, v9, v11
	v_fma_f32 v14, -v8, v12, v9
	v_fmac_f32_e32 v12, v14, v11
	v_fma_f32 v8, -v8, v12, v9
	v_div_fmas_f32 v8, v8, v11, v12
	v_div_fixup_f32 v2, v8, v10, v6
	ds_write_b32 v4, v2
	s_cbranch_scc1 .LBB40_73
; %bb.72:                               ;   in Loop: Header=BB40_69 Depth=1
	s_mov_b32 s3, s4
	s_branch .LBB40_69
.LBB40_73:
	s_cmp_ge_i32 s4, s18
	s_cbranch_scc1 .LBB40_78
; %bb.74:
	v_mov_b32_e32 v2, 0x1000
	v_lshl_or_b32 v2, v0, 2, v2
	s_lshl_b32 s2, s4, 7
	s_branch .LBB40_76
.LBB40_75:                              ;   in Loop: Header=BB40_76 Depth=1
	s_mul_i32 s3, s4, 0x84
	v_mov_b32_e32 v5, s3
	ds_read_b32 v5, v5
	s_add_i32 s4, s4, 1
	s_addk_i32 s2, 0x80
	s_cmp_ge_i32 s4, s18
	s_waitcnt lgkmcnt(0)
	v_div_scale_f32 v6, s[6:7], v5, v5, v4
	v_div_scale_f32 v7, vcc, v4, v5, v4
	v_rcp_f32_e32 v8, v6
	v_fma_f32 v9, -v6, v8, 1.0
	v_fmac_f32_e32 v8, v9, v8
	v_mul_f32_e32 v9, v7, v8
	v_fma_f32 v10, -v6, v9, v7
	v_fmac_f32_e32 v9, v10, v8
	v_fma_f32 v6, -v6, v9, v7
	v_div_fmas_f32 v6, v6, v8, v9
	v_div_fixup_f32 v4, v6, v5, v4
	ds_write_b32 v3, v4
	s_cbranch_scc1 .LBB40_78
.LBB40_76:                              ; =>This Loop Header: Depth=1
                                        ;     Child Loop BB40_77 Depth 2
	v_lshl_add_u32 v3, s4, 7, v1
	ds_read_b32 v4, v3
	s_cmp_eq_u32 s4, 0
	s_mov_b32 s3, s2
	v_mov_b32_e32 v5, v2
	s_mov_b32 s5, s4
	s_cbranch_scc1 .LBB40_75
.LBB40_77:                              ;   Parent Loop BB40_76 Depth=1
                                        ; =>  This Inner Loop Header: Depth=2
	v_mov_b32_e32 v7, s3
	ds_read_b32 v6, v5
	ds_read_b32 v7, v7
	s_add_i32 s5, s5, -1
	s_add_i32 s3, s3, 4
	v_add_u32_e32 v5, 0x80, v5
	s_cmp_eq_u32 s5, 0
	s_waitcnt lgkmcnt(0)
	v_fma_f32 v4, -v6, v7, v4
	s_cbranch_scc0 .LBB40_77
	s_branch .LBB40_75
.LBB40_78:
	s_and_saveexec_b64 s[2:3], s[0:1]
	s_cbranch_execz .LBB40_82
; %bb.79:
	s_cmp_lt_i32 s12, 1
	s_cbranch_scc1 .LBB40_82
; %bb.80:
	s_ashr_i32 s11, s10, 31
	v_lshlrev_b32_e32 v2, 2, v0
	v_mov_b32_e32 v1, s15
	v_add_co_u32_e32 v0, vcc, s14, v2
	s_lshl_b64 s[0:1], s[10:11], 2
	v_addc_co_u32_e32 v1, vcc, 0, v1, vcc
	v_or_b32_e32 v2, 0x1000, v2
	v_mov_b32_e32 v3, s1
.LBB40_81:                              ; =>This Inner Loop Header: Depth=1
	ds_read_b32 v4, v2
	s_add_i32 s12, s12, -1
	v_add_u32_e32 v2, 0x80, v2
	s_cmp_lg_u32 s12, 0
	s_waitcnt lgkmcnt(0)
	global_store_dword v[0:1], v4, off
	v_add_co_u32_e32 v0, vcc, s0, v0
	v_addc_co_u32_e32 v1, vcc, v1, v3, vcc
	s_cbranch_scc1 .LBB40_81
.LBB40_82:
	s_endpgm
	.section	.rodata,"a",@progbits
	.p2align	6, 0x0
	.amdhsa_kernel _ZL31rocblas_trsm_small_right_deviceIffPKfPfLi32EEv13rocblas_fill_18rocblas_operation_17rocblas_diagonal_iiT0_T1_lilT2_lili
		.amdhsa_group_segment_fixed_size 8192
		.amdhsa_private_segment_fixed_size 0
		.amdhsa_kernarg_size 352
		.amdhsa_user_sgpr_count 6
		.amdhsa_user_sgpr_private_segment_buffer 1
		.amdhsa_user_sgpr_dispatch_ptr 0
		.amdhsa_user_sgpr_queue_ptr 0
		.amdhsa_user_sgpr_kernarg_segment_ptr 1
		.amdhsa_user_sgpr_dispatch_id 0
		.amdhsa_user_sgpr_flat_scratch_init 0
		.amdhsa_user_sgpr_private_segment_size 0
		.amdhsa_uses_dynamic_stack 0
		.amdhsa_system_sgpr_private_segment_wavefront_offset 0
		.amdhsa_system_sgpr_workgroup_id_x 1
		.amdhsa_system_sgpr_workgroup_id_y 0
		.amdhsa_system_sgpr_workgroup_id_z 1
		.amdhsa_system_sgpr_workgroup_info 0
		.amdhsa_system_vgpr_workitem_id 0
		.amdhsa_next_free_vgpr 85
		.amdhsa_next_free_sgpr 98
		.amdhsa_reserve_vcc 1
		.amdhsa_reserve_flat_scratch 0
		.amdhsa_float_round_mode_32 0
		.amdhsa_float_round_mode_16_64 0
		.amdhsa_float_denorm_mode_32 3
		.amdhsa_float_denorm_mode_16_64 3
		.amdhsa_dx10_clamp 1
		.amdhsa_ieee_mode 1
		.amdhsa_fp16_overflow 0
		.amdhsa_exception_fp_ieee_invalid_op 0
		.amdhsa_exception_fp_denorm_src 0
		.amdhsa_exception_fp_ieee_div_zero 0
		.amdhsa_exception_fp_ieee_overflow 0
		.amdhsa_exception_fp_ieee_underflow 0
		.amdhsa_exception_fp_ieee_inexact 0
		.amdhsa_exception_int_div_zero 0
	.end_amdhsa_kernel
	.section	.text._ZL31rocblas_trsm_small_right_deviceIffPKfPfLi32EEv13rocblas_fill_18rocblas_operation_17rocblas_diagonal_iiT0_T1_lilT2_lili,"axG",@progbits,_ZL31rocblas_trsm_small_right_deviceIffPKfPfLi32EEv13rocblas_fill_18rocblas_operation_17rocblas_diagonal_iiT0_T1_lilT2_lili,comdat
.Lfunc_end40:
	.size	_ZL31rocblas_trsm_small_right_deviceIffPKfPfLi32EEv13rocblas_fill_18rocblas_operation_17rocblas_diagonal_iiT0_T1_lilT2_lili, .Lfunc_end40-_ZL31rocblas_trsm_small_right_deviceIffPKfPfLi32EEv13rocblas_fill_18rocblas_operation_17rocblas_diagonal_iiT0_T1_lilT2_lili
                                        ; -- End function
	.set _ZL31rocblas_trsm_small_right_deviceIffPKfPfLi32EEv13rocblas_fill_18rocblas_operation_17rocblas_diagonal_iiT0_T1_lilT2_lili.num_vgpr, 23
	.set _ZL31rocblas_trsm_small_right_deviceIffPKfPfLi32EEv13rocblas_fill_18rocblas_operation_17rocblas_diagonal_iiT0_T1_lilT2_lili.num_agpr, 0
	.set _ZL31rocblas_trsm_small_right_deviceIffPKfPfLi32EEv13rocblas_fill_18rocblas_operation_17rocblas_diagonal_iiT0_T1_lilT2_lili.numbered_sgpr, 26
	.set _ZL31rocblas_trsm_small_right_deviceIffPKfPfLi32EEv13rocblas_fill_18rocblas_operation_17rocblas_diagonal_iiT0_T1_lilT2_lili.num_named_barrier, 0
	.set _ZL31rocblas_trsm_small_right_deviceIffPKfPfLi32EEv13rocblas_fill_18rocblas_operation_17rocblas_diagonal_iiT0_T1_lilT2_lili.private_seg_size, 0
	.set _ZL31rocblas_trsm_small_right_deviceIffPKfPfLi32EEv13rocblas_fill_18rocblas_operation_17rocblas_diagonal_iiT0_T1_lilT2_lili.uses_vcc, 1
	.set _ZL31rocblas_trsm_small_right_deviceIffPKfPfLi32EEv13rocblas_fill_18rocblas_operation_17rocblas_diagonal_iiT0_T1_lilT2_lili.uses_flat_scratch, 0
	.set _ZL31rocblas_trsm_small_right_deviceIffPKfPfLi32EEv13rocblas_fill_18rocblas_operation_17rocblas_diagonal_iiT0_T1_lilT2_lili.has_dyn_sized_stack, 0
	.set _ZL31rocblas_trsm_small_right_deviceIffPKfPfLi32EEv13rocblas_fill_18rocblas_operation_17rocblas_diagonal_iiT0_T1_lilT2_lili.has_recursion, 0
	.set _ZL31rocblas_trsm_small_right_deviceIffPKfPfLi32EEv13rocblas_fill_18rocblas_operation_17rocblas_diagonal_iiT0_T1_lilT2_lili.has_indirect_call, 0
	.section	.AMDGPU.csdata,"",@progbits
; Kernel info:
; codeLenInByte = 5664
; TotalNumSgprs: 30
; NumVgprs: 23
; ScratchSize: 0
; MemoryBound: 0
; FloatMode: 240
; IeeeMode: 1
; LDSByteSize: 8192 bytes/workgroup (compile time only)
; SGPRBlocks: 12
; VGPRBlocks: 21
; NumSGPRsForWavesPerEU: 102
; NumVGPRsForWavesPerEU: 85
; Occupancy: 2
; WaveLimiterHint : 0
; COMPUTE_PGM_RSRC2:SCRATCH_EN: 0
; COMPUTE_PGM_RSRC2:USER_SGPR: 6
; COMPUTE_PGM_RSRC2:TRAP_HANDLER: 0
; COMPUTE_PGM_RSRC2:TGID_X_EN: 1
; COMPUTE_PGM_RSRC2:TGID_Y_EN: 0
; COMPUTE_PGM_RSRC2:TGID_Z_EN: 1
; COMPUTE_PGM_RSRC2:TIDIG_COMP_CNT: 0
	.section	.text._ZL38rocblas_trsm_small_left_device_sharedBILi64ELi32ELb0EffPKfPfEv13rocblas_fill_18rocblas_operation_17rocblas_diagonal_iiT3_T4_lilT5_lili,"axG",@progbits,_ZL38rocblas_trsm_small_left_device_sharedBILi64ELi32ELb0EffPKfPfEv13rocblas_fill_18rocblas_operation_17rocblas_diagonal_iiT3_T4_lilT5_lili,comdat
	.globl	_ZL38rocblas_trsm_small_left_device_sharedBILi64ELi32ELb0EffPKfPfEv13rocblas_fill_18rocblas_operation_17rocblas_diagonal_iiT3_T4_lilT5_lili ; -- Begin function _ZL38rocblas_trsm_small_left_device_sharedBILi64ELi32ELb0EffPKfPfEv13rocblas_fill_18rocblas_operation_17rocblas_diagonal_iiT3_T4_lilT5_lili
	.p2align	8
	.type	_ZL38rocblas_trsm_small_left_device_sharedBILi64ELi32ELb0EffPKfPfEv13rocblas_fill_18rocblas_operation_17rocblas_diagonal_iiT3_T4_lilT5_lili,@function
_ZL38rocblas_trsm_small_left_device_sharedBILi64ELi32ELb0EffPKfPfEv13rocblas_fill_18rocblas_operation_17rocblas_diagonal_iiT3_T4_lilT5_lili: ; @_ZL38rocblas_trsm_small_left_device_sharedBILi64ELi32ELb0EffPKfPfEv13rocblas_fill_18rocblas_operation_17rocblas_diagonal_iiT3_T4_lilT5_lili
; %bb.0:
	s_load_dwordx4 s[8:11], s[4:5], 0x4
	s_load_dword s17, s[4:5], 0x14
	s_load_dwordx4 s[0:3], s[4:5], 0x30
	s_load_dwordx2 s[12:13], s[4:5], 0x40
	s_waitcnt lgkmcnt(0)
	s_min_i32 s16, s10, 64
	v_cmp_gt_i32_e32 vcc, s16, v0
	s_and_saveexec_b64 s[14:15], vcc
	s_cbranch_execz .LBB41_6
; %bb.1:
	s_load_dword s18, s[4:5], 0x28
	s_load_dwordx4 s[20:23], s[4:5], 0x18
	s_mul_i32 s1, s1, s7
	s_mul_hi_u32 s19, s0, s7
	s_add_i32 s1, s19, s1
	s_mul_i32 s0, s0, s7
	s_waitcnt lgkmcnt(0)
	s_ashr_i32 s19, s18, 31
	s_lshl_b64 s[0:1], s[0:1], 2
	s_add_u32 s20, s20, s0
	s_addc_u32 s21, s21, s1
	s_lshl_b64 s[0:1], s[22:23], 2
	s_add_u32 s0, s20, s0
	s_addc_u32 s1, s21, s1
	v_lshlrev_b32_e32 v3, 2, v0
	v_mov_b32_e32 v2, s1
	v_add_co_u32_e32 v1, vcc, s0, v3
	s_lshl_b64 s[0:1], s[18:19], 2
	v_addc_co_u32_e32 v2, vcc, 0, v2, vcc
	v_mov_b32_e32 v4, s1
	v_mov_b32_e32 v5, v3
	s_mov_b32 s1, s16
.LBB41_2:                               ; =>This Inner Loop Header: Depth=1
	global_load_dword v6, v[1:2], off
	v_add_co_u32_e32 v1, vcc, s0, v1
	s_add_i32 s1, s1, -1
	v_addc_co_u32_e32 v2, vcc, v2, v4, vcc
	s_cmp_eq_u32 s1, 0
	s_waitcnt vmcnt(0)
	ds_write_b32 v5, v6
	v_add_u32_e32 v5, 0x100, v5
	s_cbranch_scc0 .LBB41_2
; %bb.3:
	v_lshlrev_b32_e32 v1, 8, v0
	s_cmpk_lg_i32 s9, 0x84
	v_mov_b32_e32 v2, 1.0
	v_add_u32_e32 v1, v3, v1
	s_cbranch_scc0 .LBB41_5
; %bb.4:
	ds_read_b32 v2, v1
	s_waitcnt lgkmcnt(0)
	v_div_scale_f32 v3, s[0:1], v2, v2, 1.0
	v_div_scale_f32 v4, vcc, 1.0, v2, 1.0
	v_rcp_f32_e32 v5, v3
	v_fma_f32 v6, -v3, v5, 1.0
	v_fmac_f32_e32 v5, v6, v5
	v_mul_f32_e32 v6, v4, v5
	v_fma_f32 v7, -v3, v6, v4
	v_fmac_f32_e32 v6, v7, v5
	v_fma_f32 v3, -v3, v6, v4
	v_div_fmas_f32 v3, v3, v5, v6
	v_div_fixup_f32 v2, v3, v2, 1.0
.LBB41_5:
	ds_write_b32 v1, v2
.LBB41_6:
	s_or_b64 exec, exec, s[14:15]
	s_load_dword s0, s[4:5], 0x60
	s_load_dwordx2 s[18:19], s[4:5], 0x50
	s_load_dword s14, s[4:5], 0x48
	s_waitcnt lgkmcnt(0)
	s_mul_i32 s1, s19, s7
	s_mul_hi_u32 s5, s18, s7
	s_mul_i32 s4, s18, s7
	s_add_i32 s5, s5, s1
	s_lshl_b64 s[4:5], s[4:5], 2
	s_add_u32 s1, s2, s4
	s_addc_u32 s4, s3, s5
	s_lshl_b64 s[2:3], s[12:13], 2
	s_add_u32 s2, s1, s2
	s_addc_u32 s3, s4, s3
	s_lshl_b32 s4, s6, 6
	s_add_i32 s0, s0, -1
	s_sub_i32 s1, s11, s4
	s_cmp_ge_u32 s6, s0
	s_cselect_b32 s5, s1, 64
	s_mul_hi_i32 s1, s14, s4
	s_mul_i32 s0, s14, s4
	s_lshl_b64 s[0:1], s[0:1], 2
	s_add_u32 s11, s2, s0
	s_addc_u32 s12, s3, s1
	s_cmp_gt_i32 s10, 0
	v_cmp_gt_i32_e64 s[0:1], s5, v0
	s_cselect_b64 s[2:3], -1, 0
	s_and_b64 s[6:7], s[0:1], s[2:3]
	s_and_saveexec_b64 s[4:5], s[6:7]
	s_cbranch_execz .LBB41_9
; %bb.7:
	v_mad_i64_i32 v[1:2], s[6:7], s14, v0, 0
	v_mov_b32_e32 v3, s12
	s_mov_b32 s6, s16
	v_lshlrev_b64 v[1:2], 2, v[1:2]
	v_add_co_u32_e32 v1, vcc, s11, v1
	v_addc_co_u32_e32 v2, vcc, v3, v2, vcc
	v_mov_b32_e32 v3, 0x4000
	v_lshl_or_b32 v3, v0, 2, v3
.LBB41_8:                               ; =>This Inner Loop Header: Depth=1
	global_load_dword v4, v[1:2], off
	s_add_i32 s6, s6, -1
	v_add_co_u32_e32 v1, vcc, 4, v1
	v_addc_co_u32_e32 v2, vcc, 0, v2, vcc
	s_cmp_lg_u32 s6, 0
	s_waitcnt vmcnt(0)
	v_mul_f32_e32 v4, s17, v4
	ds_write_b32 v3, v4
	v_add_u32_e32 v3, 0x100, v3
	s_cbranch_scc1 .LBB41_8
.LBB41_9:
	s_or_b64 exec, exec, s[4:5]
	v_mov_b32_e32 v1, 0x4000
	s_cmpk_eq_i32 s8, 0x6f
	v_lshl_or_b32 v33, v0, 2, v1
	s_mov_b64 s[4:5], -1
	s_waitcnt lgkmcnt(0)
	; wave barrier
	s_cbranch_scc1 .LBB41_45
; %bb.10:
	s_cmp_lt_i32 s10, 32
	s_cbranch_scc1 .LBB41_25
; %bb.11:
	v_mov_b32_e32 v1, 0x4000
	v_lshl_or_b32 v34, v0, 2, v1
	s_mov_b32 s13, 0
	s_mov_b32 s15, 0
	;; [unrolled: 1-line block ×3, first 2 shown]
.LBB41_12:                              ; =>This Loop Header: Depth=1
                                        ;     Child Loop BB41_14 Depth 2
                                        ;     Child Loop BB41_16 Depth 2
                                        ;       Child Loop BB41_18 Depth 3
                                        ;       Child Loop BB41_21 Depth 3
	s_lshl_b32 s18, s17, 8
	v_add_u32_e32 v31, s18, v33
	ds_read2st64_b32 v[1:2], v31 offset1:1
	ds_read2st64_b32 v[3:4], v31 offset0:2 offset1:3
	ds_read2st64_b32 v[5:6], v31 offset0:4 offset1:5
	ds_read2st64_b32 v[7:8], v31 offset0:6 offset1:7
	ds_read2st64_b32 v[9:10], v31 offset0:8 offset1:9
	ds_read2st64_b32 v[11:12], v31 offset0:10 offset1:11
	ds_read2st64_b32 v[13:14], v31 offset0:12 offset1:13
	ds_read2st64_b32 v[15:16], v31 offset0:14 offset1:15
	ds_read2st64_b32 v[17:18], v31 offset0:16 offset1:17
	ds_read2st64_b32 v[19:20], v31 offset0:18 offset1:19
	ds_read2st64_b32 v[21:22], v31 offset0:20 offset1:21
	ds_read2st64_b32 v[23:24], v31 offset0:22 offset1:23
	ds_read2st64_b32 v[25:26], v31 offset0:24 offset1:25
	ds_read2st64_b32 v[27:28], v31 offset0:26 offset1:27
	ds_read2st64_b32 v[29:30], v31 offset0:28 offset1:29
	ds_read2st64_b32 v[31:32], v31 offset0:30 offset1:31
	s_cmp_eq_u32 s17, 0
	s_cbranch_scc1 .LBB41_15
; %bb.13:                               ;   in Loop: Header=BB41_12 Depth=1
	s_mov_b32 s4, s17
	v_mov_b32_e32 v35, v34
	s_mov_b32 s5, s15
.LBB41_14:                              ;   Parent Loop BB41_12 Depth=1
                                        ; =>  This Inner Loop Header: Depth=2
	v_mov_b32_e32 v52, s5
	v_add_u32_e32 v64, 0x800, v52
	v_add_u32_e32 v80, 0x1000, v52
	;; [unrolled: 1-line block ×3, first 2 shown]
	ds_read2st64_b32 v[100:101], v35 offset1:1
	ds_read2_b64 v[36:39], v52 offset1:32
	ds_read2_b64 v[40:43], v52 offset0:64 offset1:96
	ds_read2_b64 v[44:47], v52 offset0:128 offset1:160
	ds_read2_b64 v[48:51], v52 offset0:192 offset1:224
	ds_read2_b64 v[52:55], v64 offset1:32
	ds_read2_b64 v[56:59], v64 offset0:64 offset1:96
	ds_read2_b64 v[60:63], v64 offset0:128 offset1:160
	ds_read2_b64 v[64:67], v64 offset0:192 offset1:224
	;; [unrolled: 4-line block ×4, first 2 shown]
	s_add_i32 s5, s5, 8
	s_add_i32 s4, s4, -2
	s_waitcnt lgkmcnt(14)
	v_fma_f32 v1, -v100, v36, v1
	v_fma_f32 v2, -v100, v38, v2
	;; [unrolled: 1-line block ×4, first 2 shown]
	s_waitcnt lgkmcnt(13)
	v_fma_f32 v5, -v100, v44, v5
	v_fma_f32 v6, -v100, v46, v6
	s_waitcnt lgkmcnt(12)
	v_fma_f32 v7, -v100, v48, v7
	v_fma_f32 v8, -v100, v50, v8
	;; [unrolled: 3-line block ×14, first 2 shown]
	v_add_u32_e32 v35, 0x200, v35
	s_cmp_eq_u32 s4, 0
	v_fma_f32 v1, -v101, v37, v1
	v_fma_f32 v2, -v101, v39, v2
	;; [unrolled: 1-line block ×32, first 2 shown]
	s_cbranch_scc0 .LBB41_14
.LBB41_15:                              ;   in Loop: Header=BB41_12 Depth=1
	s_mov_b64 s[4:5], 0
	s_mov_b32 s19, s13
.LBB41_16:                              ;   Parent Loop BB41_12 Depth=1
                                        ; =>  This Loop Header: Depth=2
                                        ;       Child Loop BB41_18 Depth 3
                                        ;       Child Loop BB41_21 Depth 3
	s_cmp_eq_u32 s4, 0
	s_cbranch_scc1 .LBB41_19
; %bb.17:                               ;   in Loop: Header=BB41_16 Depth=2
	s_add_i32 s21, s4, s17
	s_mov_b64 s[6:7], s[4:5]
	s_lshl_b32 s20, s21, 8
	s_mov_b64 s[8:9], 0
	s_mov_b32 s7, s19
.LBB41_18:                              ;   Parent Loop BB41_12 Depth=1
                                        ;     Parent Loop BB41_16 Depth=2
                                        ; =>    This Inner Loop Header: Depth=3
	v_mov_b32_e32 v36, s7
	s_waitcnt lgkmcnt(0)
	s_set_gpr_idx_on s8, gpr_idx(SRC0)
	v_mov_b32_e32 v35, v1
	s_set_gpr_idx_off
	ds_read_b32 v36, v36
	s_add_u32 s8, s8, 1
	s_addc_u32 s9, s9, 0
	s_add_i32 s7, s7, 4
	s_set_gpr_idx_on s4, gpr_idx(SRC0)
	v_mov_b32_e32 v37, v1
	s_set_gpr_idx_off
	s_cmp_eq_u32 s4, s8
	s_waitcnt lgkmcnt(0)
	v_fma_f32 v35, -v35, v36, v37
	s_set_gpr_idx_on s4, gpr_idx(DST)
	v_mov_b32_e32 v1, v35
	s_set_gpr_idx_off
	s_cbranch_scc0 .LBB41_18
	s_branch .LBB41_20
.LBB41_19:                              ;   in Loop: Header=BB41_16 Depth=2
	s_mov_b32 s21, s17
	s_mov_b64 s[6:7], 0
	s_mov_b32 s20, s18
.LBB41_20:                              ;   in Loop: Header=BB41_16 Depth=2
	s_mul_i32 s7, s21, 0x104
	v_mov_b32_e32 v35, s7
	ds_read_b32 v35, v35
	s_waitcnt lgkmcnt(1)
	s_set_gpr_idx_on s6, gpr_idx(SRC0)
	v_mov_b32_e32 v37, v1
	s_set_gpr_idx_off
	v_add_u32_e32 v36, s20, v33
	s_or_b32 s8, s4, 1
	s_add_u32 s9, s4, 1
	s_waitcnt lgkmcnt(0)
	v_mul_f32_e32 v35, v37, v35
	ds_write_b32 v36, v35
	s_set_gpr_idx_on s6, gpr_idx(DST)
	v_mov_b32_e32 v1, v35
	s_set_gpr_idx_off
	s_mov_b64 s[6:7], 0
	s_movk_i32 s20, 0x100
.LBB41_21:                              ;   Parent Loop BB41_12 Depth=1
                                        ;     Parent Loop BB41_16 Depth=2
                                        ; =>    This Inner Loop Header: Depth=3
	s_add_i32 s21, s19, s20
	v_mov_b32_e32 v36, s21
	s_set_gpr_idx_on s6, gpr_idx(SRC0)
	v_mov_b32_e32 v35, v1
	s_set_gpr_idx_off
	ds_read_b32 v36, v36
	s_add_u32 s6, s6, 1
	s_set_gpr_idx_on s8, gpr_idx(SRC0)
	v_mov_b32_e32 v37, v1
	s_set_gpr_idx_off
	s_addc_u32 s7, s7, 0
	s_add_i32 s20, s20, 4
	s_cmp_lg_u32 s9, s6
	s_waitcnt lgkmcnt(0)
	v_fma_f32 v35, -v35, v36, v37
	s_set_gpr_idx_on s8, gpr_idx(DST)
	v_mov_b32_e32 v1, v35
	s_set_gpr_idx_off
	s_cbranch_scc1 .LBB41_21
; %bb.22:                               ;   in Loop: Header=BB41_16 Depth=2
	s_add_i32 s6, s8, s17
	s_mul_i32 s7, s6, 0x104
	v_mov_b32_e32 v36, s7
	ds_read_b32 v36, v36
	s_add_u32 s4, s4, 2
	s_addc_u32 s5, s5, 0
	s_addk_i32 s19, 0x200
	v_lshl_add_u32 v37, s6, 8, v33
	s_waitcnt lgkmcnt(0)
	v_mul_f32_e32 v35, v35, v36
	s_cmp_eq_u32 s4, 32
	s_set_gpr_idx_on s8, gpr_idx(DST)
	v_mov_b32_e32 v1, v35
	s_set_gpr_idx_off
	ds_write_b32 v37, v35
	s_cbranch_scc0 .LBB41_16
; %bb.23:                               ;   in Loop: Header=BB41_12 Depth=1
	s_add_i32 s4, s17, 32
	s_add_i32 s5, s17, 63
	s_addk_i32 s15, 0x2000
	s_addk_i32 s13, 0x2080
	s_cmp_ge_i32 s5, s16
	s_cbranch_scc1 .LBB41_26
; %bb.24:                               ;   in Loop: Header=BB41_12 Depth=1
	s_mov_b32 s17, s4
	s_branch .LBB41_12
.LBB41_25:
	s_mov_b32 s4, 0
.LBB41_26:
	s_cmp_lt_i32 s4, s16
	s_cbranch_scc0 .LBB41_44
; %bb.27:
	s_add_i32 s5, s4, 3
	s_cmp_ge_i32 s5, s16
	s_cbranch_scc1 .LBB41_38
; %bb.28:
	v_mov_b32_e32 v1, 0x4000
	s_add_i32 s5, s4, -1
	s_lshl_b32 s6, s4, 8
	v_lshl_or_b32 v5, v0, 2, v1
	s_mov_b32 s7, 0
	s_mov_b32 s8, s4
.LBB41_29:                              ; =>This Loop Header: Depth=1
                                        ;     Child Loop BB41_32 Depth 2
                                        ;     Child Loop BB41_35 Depth 2
	s_lshl_b32 s9, s4, 8
	v_add_u32_e32 v6, s9, v33
	ds_read2st64_b32 v[3:4], v6 offset1:1
	ds_read2st64_b32 v[1:2], v6 offset0:2 offset1:3
	s_cmp_eq_u32 s4, 0
	s_cbranch_scc1 .LBB41_36
; %bb.30:                               ;   in Loop: Header=BB41_29 Depth=1
	s_lshl_b32 s13, s7, 2
	s_add_i32 s13, s5, s13
	s_cmp_lt_u32 s13, 7
	s_mov_b32 s13, 0
	s_cbranch_scc1 .LBB41_33
; %bb.31:                               ;   in Loop: Header=BB41_29 Depth=1
	s_and_b32 s13, s4, -8
	s_mov_b32 s15, 0
	v_mov_b32_e32 v7, v5
	s_mov_b32 s17, s6
.LBB41_32:                              ;   Parent Loop BB41_29 Depth=1
                                        ; =>  This Inner Loop Header: Depth=2
	v_mov_b32_e32 v32, s17
	ds_read2st64_b32 v[42:43], v7 offset1:1
	ds_read2st64_b32 v[44:45], v7 offset0:2 offset1:3
	ds_read2st64_b32 v[46:47], v7 offset0:4 offset1:5
	;; [unrolled: 1-line block ×3, first 2 shown]
	ds_read_b128 v[8:11], v32
	ds_read_b128 v[12:15], v32 offset:16
	ds_read_b128 v[16:19], v32 offset:256
	;; [unrolled: 1-line block ×7, first 2 shown]
	s_waitcnt lgkmcnt(7)
	v_fma_f32 v3, -v42, v8, v3
	s_waitcnt lgkmcnt(5)
	v_fma_f32 v4, -v42, v16, v4
	;; [unrolled: 2-line block ×4, first 2 shown]
	v_fma_f32 v3, -v43, v9, v3
	v_fma_f32 v4, -v43, v17, v4
	;; [unrolled: 1-line block ×15, first 2 shown]
	s_waitcnt lgkmcnt(0)
	v_fma_f32 v2, -v46, v38, v2
	v_fma_f32 v3, -v47, v13, v3
	;; [unrolled: 1-line block ×5, first 2 shown]
	s_add_i32 s15, s15, 8
	s_add_i32 s17, s17, 32
	v_fma_f32 v3, -v48, v14, v3
	v_fma_f32 v4, -v48, v22, v4
	;; [unrolled: 1-line block ×4, first 2 shown]
	v_add_u32_e32 v7, 0x800, v7
	s_cmp_lg_u32 s13, s15
	v_fma_f32 v3, -v49, v15, v3
	v_fma_f32 v4, -v49, v23, v4
	v_fma_f32 v1, -v49, v31, v1
	v_fma_f32 v2, -v49, v41, v2
	s_cbranch_scc1 .LBB41_32
.LBB41_33:                              ;   in Loop: Header=BB41_29 Depth=1
	s_and_b32 s15, s4, 7
	s_cmp_eq_u32 s15, 0
	s_cbranch_scc1 .LBB41_36
; %bb.34:                               ;   in Loop: Header=BB41_29 Depth=1
	s_and_b32 s15, s8, 7
	s_lshl_b32 s17, s13, 2
	v_lshl_add_u32 v7, s13, 8, v5
.LBB41_35:                              ;   Parent Loop BB41_29 Depth=1
                                        ; =>  This Inner Loop Header: Depth=2
	s_add_i32 s13, s6, s17
	v_mov_b32_e32 v10, s13
	ds_read_b32 v12, v7
	ds_read2st64_b32 v[8:9], v10 offset1:1
	ds_read2st64_b32 v[10:11], v10 offset0:2 offset1:3
	s_add_i32 s17, s17, 4
	s_add_i32 s15, s15, -1
	v_add_u32_e32 v7, 0x100, v7
	s_cmp_lg_u32 s15, 0
	s_waitcnt lgkmcnt(1)
	v_fma_f32 v3, -v12, v8, v3
	v_fma_f32 v4, -v12, v9, v4
	s_waitcnt lgkmcnt(0)
	v_fma_f32 v1, -v12, v10, v1
	v_fma_f32 v2, -v12, v11, v2
	s_cbranch_scc1 .LBB41_35
.LBB41_36:                              ;   in Loop: Header=BB41_29 Depth=1
	s_lshl_b32 s13, s4, 2
	s_add_i32 s15, s13, s9
	v_mov_b32_e32 v7, s15
	ds_read2_b32 v[7:8], v7 offset1:130
	s_add_i32 s15, s9, 0x100
	s_add_i32 s17, s13, s15
	v_mov_b32_e32 v9, s17
	ds_read2_b32 v[9:10], v9 offset1:1
	s_add_i32 s17, s9, 0x200
	s_addk_i32 s9, 0x300
	s_waitcnt lgkmcnt(1)
	v_mul_f32_e32 v3, v3, v7
	s_add_i32 s18, s13, s17
	s_add_i32 s13, s13, s9
	ds_write_b32 v6, v3
	v_mov_b32_e32 v6, s18
	v_mov_b32_e32 v13, s13
	ds_read2_b32 v[6:7], v6 offset1:1
	ds_read2_b32 v[11:12], v13 offset1:1
	ds_read2_b32 v[13:14], v13 offset0:2 offset1:3
	s_waitcnt lgkmcnt(4)
	v_fma_f32 v4, -v3, v9, v4
	v_mul_f32_e32 v4, v4, v10
	s_waitcnt lgkmcnt(2)
	v_fma_f32 v1, -v3, v6, v1
	v_fma_f32 v1, -v4, v7, v1
	s_waitcnt lgkmcnt(1)
	v_fma_f32 v2, -v3, v11, v2
	v_mul_f32_e32 v1, v1, v8
	v_add_u32_e32 v6, s17, v33
	v_fma_f32 v2, -v4, v12, v2
	ds_write_b32 v6, v1
	s_waitcnt lgkmcnt(1)
	v_fma_f32 v1, -v1, v13, v2
	v_add_u32_e32 v2, s9, v33
	s_add_i32 s9, s4, 4
	s_add_i32 s4, s4, 7
	s_add_i32 s7, s7, 1
	s_addk_i32 s6, 0x400
	s_add_i32 s8, s8, 4
	v_add_u32_e32 v9, s15, v33
	v_mul_f32_e32 v1, v1, v14
	s_cmp_lt_i32 s4, s16
	ds_write_b32 v9, v4
	ds_write_b32 v2, v1
	s_cbranch_scc0 .LBB41_39
; %bb.37:                               ;   in Loop: Header=BB41_29 Depth=1
	s_mov_b32 s4, s9
	s_branch .LBB41_29
.LBB41_38:
	s_mov_b32 s9, s4
.LBB41_39:
	s_cmp_ge_i32 s9, s16
	s_cbranch_scc1 .LBB41_44
; %bb.40:
	v_mov_b32_e32 v1, 0x4000
	s_lshl_b32 s4, s9, 8
	v_lshl_or_b32 v1, v0, 2, v1
	s_branch .LBB41_42
.LBB41_41:                              ;   in Loop: Header=BB41_42 Depth=1
	s_mul_i32 s5, s9, 0x104
	v_mov_b32_e32 v4, s5
	ds_read_b32 v4, v4
	s_add_i32 s9, s9, 1
	s_addk_i32 s4, 0x100
	s_cmp_ge_i32 s9, s16
	s_waitcnt lgkmcnt(0)
	v_mul_f32_e32 v3, v3, v4
	ds_write_b32 v2, v3
	s_cbranch_scc1 .LBB41_44
.LBB41_42:                              ; =>This Loop Header: Depth=1
                                        ;     Child Loop BB41_43 Depth 2
	s_lshl_b32 s5, s9, 8
	v_add_u32_e32 v2, s5, v33
	ds_read_b32 v3, v2
	s_cmp_eq_u32 s9, 0
	v_mov_b32_e32 v4, v1
	s_mov_b32 s5, s9
	s_mov_b32 s6, s4
	s_cbranch_scc1 .LBB41_41
.LBB41_43:                              ;   Parent Loop BB41_42 Depth=1
                                        ; =>  This Inner Loop Header: Depth=2
	v_mov_b32_e32 v6, s6
	ds_read_b32 v5, v4
	ds_read_b32 v6, v6
	s_add_i32 s6, s6, 4
	s_add_i32 s5, s5, -1
	v_add_u32_e32 v4, 0x100, v4
	s_cmp_lg_u32 s5, 0
	s_waitcnt lgkmcnt(0)
	v_fma_f32 v3, -v5, v6, v3
	s_cbranch_scc1 .LBB41_43
	s_branch .LBB41_41
.LBB41_44:
	s_mov_b64 s[4:5], 0
.LBB41_45:
	s_and_b64 vcc, exec, s[4:5]
	s_cbranch_vccz .LBB41_87
; %bb.46:
	s_add_i32 s13, s16, -1
	s_cmp_lt_i32 s10, 32
	s_cbranch_scc1 .LBB41_62
; %bb.47:
	s_lshl_b32 s10, s16, 8
	v_lshl_or_b32 v1, v0, 2, s10
	v_add_u32_e32 v34, 0x3f00, v1
	s_addk_i32 s10, 0xfe84
	s_mov_b32 s4, s13
.LBB41_48:                              ; =>This Loop Header: Depth=1
                                        ;     Child Loop BB41_50 Depth 2
                                        ;     Child Loop BB41_52 Depth 2
                                        ;       Child Loop BB41_54 Depth 3
                                        ;       Child Loop BB41_58 Depth 3
	s_lshl_b32 s17, s4, 8
	v_add_u32_e32 v25, s17, v33
	v_add_u32_e32 v2, 0xffffff00, v25
	;; [unrolled: 1-line block ×31, first 2 shown]
	ds_read_b32 v1, v25
	ds_read_b32 v2, v2
	;; [unrolled: 1-line block ×24, first 2 shown]
	v_add_u32_e32 v35, 0xffffe100, v25
	ds_read_b32 v25, v26
	ds_read_b32 v26, v27
	;; [unrolled: 1-line block ×8, first 2 shown]
	s_mov_b32 s15, s4
	s_cmp_le_i32 s13, s4
	s_cbranch_scc1 .LBB41_51
; %bb.49:                               ;   in Loop: Header=BB41_48 Depth=1
	s_lshl_b32 s4, s15, 2
	s_add_i32 s4, s10, s4
	v_mov_b32_e32 v35, v34
	s_mov_b32 s5, s13
.LBB41_50:                              ;   Parent Loop BB41_48 Depth=1
                                        ; =>  This Inner Loop Header: Depth=2
	v_mov_b32_e32 v66, s4
	ds_read_b32 v68, v35
	ds_read2_b32 v[36:37], v66 offset0:30 offset1:31
	ds_read2_b32 v[38:39], v66 offset0:28 offset1:29
	ds_read2_b32 v[40:41], v66 offset0:26 offset1:27
	ds_read2_b32 v[42:43], v66 offset0:24 offset1:25
	ds_read2_b32 v[44:45], v66 offset0:22 offset1:23
	ds_read2_b32 v[46:47], v66 offset0:20 offset1:21
	ds_read2_b32 v[48:49], v66 offset0:18 offset1:19
	ds_read2_b32 v[50:51], v66 offset0:16 offset1:17
	ds_read2_b32 v[52:53], v66 offset0:14 offset1:15
	ds_read2_b32 v[54:55], v66 offset0:12 offset1:13
	ds_read2_b32 v[56:57], v66 offset0:10 offset1:11
	ds_read2_b32 v[58:59], v66 offset0:8 offset1:9
	ds_read2_b32 v[60:61], v66 offset0:6 offset1:7
	ds_read2_b32 v[62:63], v66 offset0:4 offset1:5
	ds_read2_b32 v[64:65], v66 offset0:2 offset1:3
	ds_read2_b32 v[66:67], v66 offset1:1
	s_add_i32 s5, s5, -1
	s_addk_i32 s4, 0xff00
	v_add_u32_e32 v35, 0xffffff00, v35
	s_cmp_gt_i32 s5, s15
	s_waitcnt lgkmcnt(14)
	v_fma_f32 v1, -v68, v37, v1
	v_fma_f32 v2, -v68, v36, v2
	;; [unrolled: 1-line block ×4, first 2 shown]
	s_waitcnt lgkmcnt(13)
	v_fma_f32 v5, -v68, v41, v5
	v_fma_f32 v6, -v68, v40, v6
	s_waitcnt lgkmcnt(12)
	v_fma_f32 v7, -v68, v43, v7
	v_fma_f32 v8, -v68, v42, v8
	;; [unrolled: 3-line block ×14, first 2 shown]
	s_cbranch_scc1 .LBB41_50
.LBB41_51:                              ;   in Loop: Header=BB41_48 Depth=1
	s_mul_i32 s18, s15, 0x104
	s_mov_b64 s[4:5], 0
	s_mov_b32 s19, s18
.LBB41_52:                              ;   Parent Loop BB41_48 Depth=1
                                        ; =>  This Loop Header: Depth=2
                                        ;       Child Loop BB41_54 Depth 3
                                        ;       Child Loop BB41_58 Depth 3
	s_cmp_eq_u32 s4, 0
	s_cbranch_scc1 .LBB41_56
; %bb.53:                               ;   in Loop: Header=BB41_52 Depth=2
	s_mov_b64 s[6:7], s[4:5]
	s_mov_b64 s[8:9], 0
	s_mov_b32 s7, s19
.LBB41_54:                              ;   Parent Loop BB41_48 Depth=1
                                        ;     Parent Loop BB41_52 Depth=2
                                        ; =>    This Inner Loop Header: Depth=3
	v_mov_b32_e32 v36, s7
	s_waitcnt lgkmcnt(0)
	s_set_gpr_idx_on s8, gpr_idx(SRC0)
	v_mov_b32_e32 v35, v1
	s_set_gpr_idx_off
	ds_read_b32 v36, v36
	s_add_u32 s8, s8, 1
	s_addc_u32 s9, s9, 0
	s_addk_i32 s7, 0xff00
	s_set_gpr_idx_on s4, gpr_idx(SRC0)
	v_mov_b32_e32 v37, v1
	s_set_gpr_idx_off
	s_cmp_lg_u32 s4, s8
	s_waitcnt lgkmcnt(0)
	v_fma_f32 v35, -v35, v36, v37
	s_set_gpr_idx_on s4, gpr_idx(DST)
	v_mov_b32_e32 v1, v35
	s_set_gpr_idx_off
	s_cbranch_scc1 .LBB41_54
; %bb.55:                               ;   in Loop: Header=BB41_52 Depth=2
	s_sub_i32 s8, s15, s4
	s_lshl_b32 s7, s8, 8
	s_mulk_i32 s8, 0x104
	s_branch .LBB41_57
.LBB41_56:                              ;   in Loop: Header=BB41_52 Depth=2
	s_mov_b64 s[6:7], 0
	s_mov_b32 s7, s17
	s_mov_b32 s8, s18
.LBB41_57:                              ;   in Loop: Header=BB41_52 Depth=2
	v_mov_b32_e32 v35, s8
	ds_read_b32 v35, v35
	s_waitcnt lgkmcnt(1)
	s_set_gpr_idx_on s6, gpr_idx(SRC0)
	v_mov_b32_e32 v37, v1
	s_set_gpr_idx_off
	v_add_u32_e32 v36, s7, v33
	s_or_b32 s8, s4, 1
	s_add_u32 s9, s4, 1
	s_waitcnt lgkmcnt(0)
	v_mul_f32_e32 v35, v37, v35
	ds_write_b32 v36, v35
	s_set_gpr_idx_on s6, gpr_idx(DST)
	v_mov_b32_e32 v1, v35
	s_set_gpr_idx_off
	s_mov_b64 s[6:7], 0
	s_mov_b32 s20, -4
.LBB41_58:                              ;   Parent Loop BB41_48 Depth=1
                                        ;     Parent Loop BB41_52 Depth=2
                                        ; =>    This Inner Loop Header: Depth=3
	s_add_i32 s21, s19, s20
	v_mov_b32_e32 v36, s21
	s_set_gpr_idx_on s6, gpr_idx(SRC0)
	v_mov_b32_e32 v35, v1
	s_set_gpr_idx_off
	ds_read_b32 v36, v36
	s_add_u32 s6, s6, 1
	s_set_gpr_idx_on s8, gpr_idx(SRC0)
	v_mov_b32_e32 v37, v1
	s_set_gpr_idx_off
	s_addc_u32 s7, s7, 0
	s_addk_i32 s20, 0xff00
	s_cmp_lg_u32 s9, s6
	s_waitcnt lgkmcnt(0)
	v_fma_f32 v35, -v35, v36, v37
	s_set_gpr_idx_on s8, gpr_idx(DST)
	v_mov_b32_e32 v1, v35
	s_set_gpr_idx_off
	s_cbranch_scc1 .LBB41_58
; %bb.59:                               ;   in Loop: Header=BB41_52 Depth=2
	s_sub_i32 s6, s15, s8
	s_lshl_b32 s7, s6, 2
	s_lshl_b32 s6, s6, 8
	s_add_i32 s7, s7, s6
	v_mov_b32_e32 v36, s7
	ds_read_b32 v36, v36
	s_add_u32 s4, s4, 2
	s_addc_u32 s5, s5, 0
	s_add_i32 s19, s19, -8
	v_add_u32_e32 v37, s6, v33
	s_waitcnt lgkmcnt(0)
	v_mul_f32_e32 v35, v35, v36
	s_cmp_eq_u32 s4, 32
	s_set_gpr_idx_on s8, gpr_idx(DST)
	v_mov_b32_e32 v1, v35
	s_set_gpr_idx_off
	ds_write_b32 v37, v35
	s_cbranch_scc0 .LBB41_52
; %bb.60:                               ;   in Loop: Header=BB41_48 Depth=1
	s_cmp_lt_i32 s15, 63
	s_mov_b32 s4, 31
	s_cbranch_scc0 .LBB41_48
; %bb.61:
	s_sub_i32 s4, s15, 32
	s_cmp_gt_i32 s4, -1
	s_cbranch_scc1 .LBB41_63
	s_branch .LBB41_87
.LBB41_62:
	s_mov_b32 s4, s13
	s_cmp_gt_i32 s4, -1
	s_cbranch_scc0 .LBB41_87
.LBB41_63:
	s_cmp_lt_u32 s4, 3
	s_cbranch_scc1 .LBB41_69
; %bb.64:
	s_lshl_b32 s5, s16, 8
	s_lshl_b32 s6, s4, 2
	v_lshl_or_b32 v1, v0, 2, s5
	s_add_i32 s5, s5, s6
	v_add_u32_e32 v1, 0x3f00, v1
	s_addk_i32 s5, 0xfef4
.LBB41_65:                              ; =>This Loop Header: Depth=1
                                        ;     Child Loop BB41_66 Depth 2
	s_lshl_b32 s6, s4, 8
	v_add_u32_e32 v3, s6, v33
	v_add_u32_e32 v2, 0xffffff00, v3
	;; [unrolled: 1-line block ×4, first 2 shown]
	ds_read_b32 v6, v3
	ds_read_b32 v5, v2
	;; [unrolled: 1-line block ×4, first 2 shown]
	s_cmp_le_i32 s13, s4
	s_mov_b32 s7, s5
	v_mov_b32_e32 v7, v1
	s_mov_b32 s8, s13
	s_cbranch_scc1 .LBB41_67
.LBB41_66:                              ;   Parent Loop BB41_65 Depth=1
                                        ; =>  This Inner Loop Header: Depth=2
	v_mov_b32_e32 v10, s7
	ds_read_b32 v12, v7
	ds_read2_b32 v[8:9], v10 offset0:2 offset1:3
	ds_read2_b32 v[10:11], v10 offset1:1
	s_add_i32 s8, s8, -1
	s_addk_i32 s7, 0xff00
	v_add_u32_e32 v7, 0xffffff00, v7
	s_cmp_gt_i32 s8, s4
	s_waitcnt lgkmcnt(1)
	v_fma_f32 v6, -v12, v9, v6
	v_fma_f32 v5, -v12, v8, v5
	s_waitcnt lgkmcnt(0)
	v_fma_f32 v4, -v12, v11, v4
	v_fma_f32 v2, -v12, v10, v2
	s_cbranch_scc1 .LBB41_66
.LBB41_67:                              ;   in Loop: Header=BB41_65 Depth=1
	s_add_i32 s7, s4, -1
	s_lshl_b32 s8, s7, 2
	s_lshl_b32 s7, s7, 8
	s_add_i32 s9, s8, s6
	s_add_i32 s8, s8, s7
	v_mov_b32_e32 v7, s9
	v_mov_b32_e32 v9, s8
	s_add_i32 s8, s4, -3
	ds_read2_b32 v[7:8], v7 offset1:1
	s_lshl_b32 s9, s8, 2
	s_add_i32 s10, s9, s6
	v_mov_b32_e32 v10, s10
	s_add_i32 s10, s9, s7
	v_mov_b32_e32 v11, s10
	ds_read_b32 v13, v9
	ds_read2_b32 v[9:10], v10 offset1:1
	ds_read2_b32 v[11:12], v11 offset1:1
	s_waitcnt lgkmcnt(3)
	v_mul_f32_e32 v6, v6, v8
	ds_write_b32 v3, v6
	v_fma_f32 v3, -v6, v7, v5
	s_waitcnt lgkmcnt(3)
	v_mul_f32_e32 v5, v3, v13
	v_add_u32_e32 v3, s7, v33
	s_addk_i32 s6, 0xfe00
	ds_write_b32 v3, v5
	s_waitcnt lgkmcnt(3)
	v_fma_f32 v3, -v6, v10, v4
	s_add_i32 s7, s9, s6
	s_waitcnt lgkmcnt(2)
	v_fma_f32 v7, -v5, v12, v3
	v_mov_b32_e32 v3, s7
	s_lshl_b32 s7, s8, 8
	ds_read2_b32 v[3:4], v3 offset1:1
	s_add_i32 s8, s9, s7
	v_mov_b32_e32 v8, s8
	ds_read_b32 v8, v8
	v_fma_f32 v2, -v6, v9, v2
	s_waitcnt lgkmcnt(1)
	v_mul_f32_e32 v4, v7, v4
	v_fma_f32 v2, -v5, v11, v2
	v_add_u32_e32 v7, s6, v33
	v_fma_f32 v2, -v4, v3, v2
	s_add_i32 s6, s4, -4
	s_add_i32 s5, s5, -16
	s_waitcnt lgkmcnt(0)
	v_mul_f32_e32 v2, v2, v8
	v_add_u32_e32 v3, s7, v33
	s_cmp_gt_i32 s4, 6
	ds_write_b32 v7, v4
	ds_write_b32 v3, v2
	s_cbranch_scc0 .LBB41_70
; %bb.68:                               ;   in Loop: Header=BB41_65 Depth=1
	s_mov_b32 s4, s6
	s_branch .LBB41_65
.LBB41_69:
	s_mov_b32 s6, s4
.LBB41_70:
	s_cmp_lt_i32 s6, 0
	s_cbranch_scc1 .LBB41_87
; %bb.71:
	s_and_b32 s4, s6, 3
	s_cmp_eq_u32 s4, 3
	s_mov_b32 s4, s6
	s_cbranch_scc1 .LBB41_76
; %bb.72:
	s_add_i32 s4, s6, 1
	s_and_b32 s5, s4, 3
	s_lshl_b32 s4, s16, 8
	s_lshl_b32 s7, s6, 2
	s_add_i32 s7, s4, s7
	v_lshl_or_b32 v1, v0, 2, s4
	s_addk_i32 s7, 0xff00
	v_add_u32_e32 v1, 0x3f00, v1
	s_mov_b32 s8, 0
	s_mov_b32 s4, s6
	s_branch .LBB41_74
.LBB41_73:                              ;   in Loop: Header=BB41_74 Depth=1
	s_mul_i32 s9, s4, 0x104
	v_mov_b32_e32 v4, s9
	ds_read_b32 v4, v4
	s_add_i32 s4, s4, -1
	s_add_i32 s8, s8, 1
	s_add_i32 s7, s7, -4
	s_cmp_lg_u32 s8, s5
	s_waitcnt lgkmcnt(0)
	v_mul_f32_e32 v3, v3, v4
	ds_write_b32 v2, v3
	s_cbranch_scc0 .LBB41_76
.LBB41_74:                              ; =>This Loop Header: Depth=1
                                        ;     Child Loop BB41_75 Depth 2
	s_lshl_b32 s9, s4, 8
	v_add_u32_e32 v2, s9, v33
	ds_read_b32 v3, v2
	s_cmp_le_i32 s13, s4
	v_mov_b32_e32 v4, v1
	s_mov_b32 s9, s7
	s_mov_b32 s10, s13
	s_cbranch_scc1 .LBB41_73
.LBB41_75:                              ;   Parent Loop BB41_74 Depth=1
                                        ; =>  This Inner Loop Header: Depth=2
	v_mov_b32_e32 v6, s9
	ds_read_b32 v5, v4
	ds_read_b32 v6, v6
	s_add_i32 s10, s10, -1
	s_addk_i32 s9, 0xff00
	v_add_u32_e32 v4, 0xffffff00, v4
	s_cmp_gt_i32 s10, s4
	s_waitcnt lgkmcnt(0)
	v_fma_f32 v3, -v5, v6, v3
	s_cbranch_scc1 .LBB41_75
	s_branch .LBB41_73
.LBB41_76:
	s_cmp_lt_u32 s6, 3
	s_cbranch_scc1 .LBB41_87
; %bb.77:
	s_lshl_b32 s6, s16, 8
	s_lshl_b32 s5, s4, 2
	s_add_i32 s8, s6, s5
	v_lshl_or_b32 v1, v0, 2, s6
	s_add_i32 s5, s8, 0xffffff00
	v_add_u32_e32 v1, 0x3f00, v1
	s_add_i32 s6, s8, 0xfffffefc
	s_add_i32 s7, s8, 0xfffffef8
	s_addk_i32 s8, 0xfef4
	s_branch .LBB41_79
.LBB41_78:                              ;   in Loop: Header=BB41_79 Depth=1
	s_addk_i32 s9, 0xfefc
	v_mov_b32_e32 v3, s9
	ds_read_b32 v3, v3
	s_add_i32 s9, s4, -4
	s_add_i32 s5, s5, -16
	;; [unrolled: 1-line block ×5, first 2 shown]
	s_waitcnt lgkmcnt(0)
	v_mul_f32_e32 v3, v5, v3
	s_cmp_lt_i32 s4, 4
	s_mov_b32 s4, s9
	ds_write_b32 v2, v3
	s_cbranch_scc1 .LBB41_87
.LBB41_79:                              ; =>This Loop Header: Depth=1
                                        ;     Child Loop BB41_80 Depth 2
                                        ;     Child Loop BB41_82 Depth 2
                                        ;     Child Loop BB41_84 Depth 2
                                        ;     Child Loop BB41_86 Depth 2
	s_lshl_b32 s10, s4, 8
	v_add_u32_e32 v3, s10, v33
	ds_read_b32 v4, v3
	s_cmp_le_i32 s13, s4
	v_mov_b32_e32 v2, v1
	s_mov_b32 s9, s5
	s_mov_b32 s15, s13
	s_cbranch_scc1 .LBB41_81
.LBB41_80:                              ;   Parent Loop BB41_79 Depth=1
                                        ; =>  This Inner Loop Header: Depth=2
	v_mov_b32_e32 v6, s9
	ds_read_b32 v5, v2
	ds_read_b32 v6, v6
	s_add_i32 s15, s15, -1
	s_addk_i32 s9, 0xff00
	v_add_u32_e32 v2, 0xffffff00, v2
	s_cmp_gt_i32 s15, s4
	s_waitcnt lgkmcnt(0)
	v_fma_f32 v4, -v5, v6, v4
	s_cbranch_scc1 .LBB41_80
.LBB41_81:                              ;   in Loop: Header=BB41_79 Depth=1
	s_mul_i32 s9, s4, 0x104
	v_mov_b32_e32 v2, s9
	ds_read_b32 v6, v2
	s_addk_i32 s10, 0xff00
	v_add_u32_e32 v2, s10, v33
	ds_read_b32 v5, v2
	s_cmp_le_i32 s16, s4
	s_waitcnt lgkmcnt(1)
	v_mul_f32_e32 v4, v4, v6
	ds_write_b32 v3, v4
	v_mov_b32_e32 v3, v1
	s_mov_b32 s10, s6
	s_mov_b32 s15, s16
	s_cbranch_scc1 .LBB41_83
.LBB41_82:                              ;   Parent Loop BB41_79 Depth=1
                                        ; =>  This Inner Loop Header: Depth=2
	v_mov_b32_e32 v6, s10
	ds_read_b32 v4, v3
	ds_read_b32 v6, v6
	s_add_i32 s15, s15, -1
	s_addk_i32 s10, 0xff00
	v_add_u32_e32 v3, 0xffffff00, v3
	s_cmp_gt_i32 s15, s4
	s_waitcnt lgkmcnt(0)
	v_fma_f32 v5, -v4, v6, v5
	s_cbranch_scc1 .LBB41_82
.LBB41_83:                              ;   in Loop: Header=BB41_79 Depth=1
	s_addk_i32 s9, 0xfefc
	v_mov_b32_e32 v3, s9
	s_add_i32 s10, s4, -2
	ds_read_b32 v6, v3
	s_lshl_b32 s15, s10, 8
	v_add_u32_e32 v3, s15, v33
	ds_read_b32 v4, v3
	s_cmp_le_i32 s13, s10
	s_waitcnt lgkmcnt(1)
	v_mul_f32_e32 v5, v5, v6
	ds_write_b32 v2, v5
	v_mov_b32_e32 v2, v1
	s_mov_b32 s15, s7
	s_mov_b32 s17, s13
	s_cbranch_scc1 .LBB41_85
.LBB41_84:                              ;   Parent Loop BB41_79 Depth=1
                                        ; =>  This Inner Loop Header: Depth=2
	v_mov_b32_e32 v6, s15
	ds_read_b32 v5, v2
	ds_read_b32 v6, v6
	s_add_i32 s17, s17, -1
	s_addk_i32 s15, 0xff00
	v_add_u32_e32 v2, 0xffffff00, v2
	s_cmp_gt_i32 s17, s10
	s_waitcnt lgkmcnt(0)
	v_fma_f32 v4, -v5, v6, v4
	s_cbranch_scc1 .LBB41_84
.LBB41_85:                              ;   in Loop: Header=BB41_79 Depth=1
	s_addk_i32 s9, 0xfefc
	v_mov_b32_e32 v2, s9
	s_add_i32 s10, s4, -3
	ds_read_b32 v6, v2
	s_lshl_b32 s15, s10, 8
	v_add_u32_e32 v2, s15, v33
	ds_read_b32 v5, v2
	s_cmp_le_i32 s13, s10
	s_waitcnt lgkmcnt(1)
	v_mul_f32_e32 v4, v4, v6
	ds_write_b32 v3, v4
	v_mov_b32_e32 v3, v1
	s_mov_b32 s15, s8
	s_mov_b32 s17, s13
	s_cbranch_scc1 .LBB41_78
.LBB41_86:                              ;   Parent Loop BB41_79 Depth=1
                                        ; =>  This Inner Loop Header: Depth=2
	v_mov_b32_e32 v6, s15
	ds_read_b32 v4, v3
	ds_read_b32 v6, v6
	s_add_i32 s17, s17, -1
	s_addk_i32 s15, 0xff00
	v_add_u32_e32 v3, 0xffffff00, v3
	s_cmp_gt_i32 s17, s10
	s_waitcnt lgkmcnt(0)
	v_fma_f32 v5, -v4, v6, v5
	s_cbranch_scc1 .LBB41_86
	s_branch .LBB41_78
.LBB41_87:
	s_waitcnt lgkmcnt(0)
	; wave barrier
	s_and_saveexec_b64 s[4:5], s[0:1]
	s_cbranch_execz .LBB41_91
; %bb.88:
	s_andn2_b64 vcc, exec, s[2:3]
	s_cbranch_vccnz .LBB41_91
; %bb.89:
	v_mad_i64_i32 v[1:2], s[0:1], s14, v0, 0
	v_mov_b32_e32 v3, s12
	v_lshlrev_b64 v[1:2], 2, v[1:2]
	v_add_co_u32_e32 v1, vcc, s11, v1
	v_addc_co_u32_e32 v2, vcc, v3, v2, vcc
	v_mov_b32_e32 v3, 0x4000
	v_lshl_or_b32 v0, v0, 2, v3
.LBB41_90:                              ; =>This Inner Loop Header: Depth=1
	ds_read_b32 v3, v0
	s_add_i32 s16, s16, -1
	v_add_u32_e32 v0, 0x100, v0
	s_cmp_lg_u32 s16, 0
	s_waitcnt lgkmcnt(0)
	global_store_dword v[1:2], v3, off
	v_add_co_u32_e32 v1, vcc, 4, v1
	v_addc_co_u32_e32 v2, vcc, 0, v2, vcc
	s_cbranch_scc1 .LBB41_90
.LBB41_91:
	s_endpgm
	.section	.rodata,"a",@progbits
	.p2align	6, 0x0
	.amdhsa_kernel _ZL38rocblas_trsm_small_left_device_sharedBILi64ELi32ELb0EffPKfPfEv13rocblas_fill_18rocblas_operation_17rocblas_diagonal_iiT3_T4_lilT5_lili
		.amdhsa_group_segment_fixed_size 32768
		.amdhsa_private_segment_fixed_size 0
		.amdhsa_kernarg_size 352
		.amdhsa_user_sgpr_count 6
		.amdhsa_user_sgpr_private_segment_buffer 1
		.amdhsa_user_sgpr_dispatch_ptr 0
		.amdhsa_user_sgpr_queue_ptr 0
		.amdhsa_user_sgpr_kernarg_segment_ptr 1
		.amdhsa_user_sgpr_dispatch_id 0
		.amdhsa_user_sgpr_flat_scratch_init 0
		.amdhsa_user_sgpr_private_segment_size 0
		.amdhsa_uses_dynamic_stack 0
		.amdhsa_system_sgpr_private_segment_wavefront_offset 0
		.amdhsa_system_sgpr_workgroup_id_x 1
		.amdhsa_system_sgpr_workgroup_id_y 0
		.amdhsa_system_sgpr_workgroup_id_z 1
		.amdhsa_system_sgpr_workgroup_info 0
		.amdhsa_system_vgpr_workitem_id 0
		.amdhsa_next_free_vgpr 129
		.amdhsa_next_free_sgpr 98
		.amdhsa_reserve_vcc 1
		.amdhsa_reserve_flat_scratch 0
		.amdhsa_float_round_mode_32 0
		.amdhsa_float_round_mode_16_64 0
		.amdhsa_float_denorm_mode_32 3
		.amdhsa_float_denorm_mode_16_64 3
		.amdhsa_dx10_clamp 1
		.amdhsa_ieee_mode 1
		.amdhsa_fp16_overflow 0
		.amdhsa_exception_fp_ieee_invalid_op 0
		.amdhsa_exception_fp_denorm_src 0
		.amdhsa_exception_fp_ieee_div_zero 0
		.amdhsa_exception_fp_ieee_overflow 0
		.amdhsa_exception_fp_ieee_underflow 0
		.amdhsa_exception_fp_ieee_inexact 0
		.amdhsa_exception_int_div_zero 0
	.end_amdhsa_kernel
	.section	.text._ZL38rocblas_trsm_small_left_device_sharedBILi64ELi32ELb0EffPKfPfEv13rocblas_fill_18rocblas_operation_17rocblas_diagonal_iiT3_T4_lilT5_lili,"axG",@progbits,_ZL38rocblas_trsm_small_left_device_sharedBILi64ELi32ELb0EffPKfPfEv13rocblas_fill_18rocblas_operation_17rocblas_diagonal_iiT3_T4_lilT5_lili,comdat
.Lfunc_end41:
	.size	_ZL38rocblas_trsm_small_left_device_sharedBILi64ELi32ELb0EffPKfPfEv13rocblas_fill_18rocblas_operation_17rocblas_diagonal_iiT3_T4_lilT5_lili, .Lfunc_end41-_ZL38rocblas_trsm_small_left_device_sharedBILi64ELi32ELb0EffPKfPfEv13rocblas_fill_18rocblas_operation_17rocblas_diagonal_iiT3_T4_lilT5_lili
                                        ; -- End function
	.set _ZL38rocblas_trsm_small_left_device_sharedBILi64ELi32ELb0EffPKfPfEv13rocblas_fill_18rocblas_operation_17rocblas_diagonal_iiT3_T4_lilT5_lili.num_vgpr, 102
	.set _ZL38rocblas_trsm_small_left_device_sharedBILi64ELi32ELb0EffPKfPfEv13rocblas_fill_18rocblas_operation_17rocblas_diagonal_iiT3_T4_lilT5_lili.num_agpr, 0
	.set _ZL38rocblas_trsm_small_left_device_sharedBILi64ELi32ELb0EffPKfPfEv13rocblas_fill_18rocblas_operation_17rocblas_diagonal_iiT3_T4_lilT5_lili.numbered_sgpr, 24
	.set _ZL38rocblas_trsm_small_left_device_sharedBILi64ELi32ELb0EffPKfPfEv13rocblas_fill_18rocblas_operation_17rocblas_diagonal_iiT3_T4_lilT5_lili.num_named_barrier, 0
	.set _ZL38rocblas_trsm_small_left_device_sharedBILi64ELi32ELb0EffPKfPfEv13rocblas_fill_18rocblas_operation_17rocblas_diagonal_iiT3_T4_lilT5_lili.private_seg_size, 0
	.set _ZL38rocblas_trsm_small_left_device_sharedBILi64ELi32ELb0EffPKfPfEv13rocblas_fill_18rocblas_operation_17rocblas_diagonal_iiT3_T4_lilT5_lili.uses_vcc, 1
	.set _ZL38rocblas_trsm_small_left_device_sharedBILi64ELi32ELb0EffPKfPfEv13rocblas_fill_18rocblas_operation_17rocblas_diagonal_iiT3_T4_lilT5_lili.uses_flat_scratch, 0
	.set _ZL38rocblas_trsm_small_left_device_sharedBILi64ELi32ELb0EffPKfPfEv13rocblas_fill_18rocblas_operation_17rocblas_diagonal_iiT3_T4_lilT5_lili.has_dyn_sized_stack, 0
	.set _ZL38rocblas_trsm_small_left_device_sharedBILi64ELi32ELb0EffPKfPfEv13rocblas_fill_18rocblas_operation_17rocblas_diagonal_iiT3_T4_lilT5_lili.has_recursion, 0
	.set _ZL38rocblas_trsm_small_left_device_sharedBILi64ELi32ELb0EffPKfPfEv13rocblas_fill_18rocblas_operation_17rocblas_diagonal_iiT3_T4_lilT5_lili.has_indirect_call, 0
	.section	.AMDGPU.csdata,"",@progbits
; Kernel info:
; codeLenInByte = 6000
; TotalNumSgprs: 28
; NumVgprs: 102
; ScratchSize: 0
; MemoryBound: 0
; FloatMode: 240
; IeeeMode: 1
; LDSByteSize: 32768 bytes/workgroup (compile time only)
; SGPRBlocks: 12
; VGPRBlocks: 32
; NumSGPRsForWavesPerEU: 102
; NumVGPRsForWavesPerEU: 129
; Occupancy: 1
; WaveLimiterHint : 0
; COMPUTE_PGM_RSRC2:SCRATCH_EN: 0
; COMPUTE_PGM_RSRC2:USER_SGPR: 6
; COMPUTE_PGM_RSRC2:TRAP_HANDLER: 0
; COMPUTE_PGM_RSRC2:TGID_X_EN: 1
; COMPUTE_PGM_RSRC2:TGID_Y_EN: 0
; COMPUTE_PGM_RSRC2:TGID_Z_EN: 1
; COMPUTE_PGM_RSRC2:TIDIG_COMP_CNT: 0
	.section	.text._ZL30rocblas_trsm_small_left_deviceILi64ELi32ELb0EffPKfPfEv13rocblas_fill_18rocblas_operation_17rocblas_diagonal_iiT3_T4_lilT5_lili,"axG",@progbits,_ZL30rocblas_trsm_small_left_deviceILi64ELi32ELb0EffPKfPfEv13rocblas_fill_18rocblas_operation_17rocblas_diagonal_iiT3_T4_lilT5_lili,comdat
	.globl	_ZL30rocblas_trsm_small_left_deviceILi64ELi32ELb0EffPKfPfEv13rocblas_fill_18rocblas_operation_17rocblas_diagonal_iiT3_T4_lilT5_lili ; -- Begin function _ZL30rocblas_trsm_small_left_deviceILi64ELi32ELb0EffPKfPfEv13rocblas_fill_18rocblas_operation_17rocblas_diagonal_iiT3_T4_lilT5_lili
	.p2align	8
	.type	_ZL30rocblas_trsm_small_left_deviceILi64ELi32ELb0EffPKfPfEv13rocblas_fill_18rocblas_operation_17rocblas_diagonal_iiT3_T4_lilT5_lili,@function
_ZL30rocblas_trsm_small_left_deviceILi64ELi32ELb0EffPKfPfEv13rocblas_fill_18rocblas_operation_17rocblas_diagonal_iiT3_T4_lilT5_lili: ; @_ZL30rocblas_trsm_small_left_deviceILi64ELi32ELb0EffPKfPfEv13rocblas_fill_18rocblas_operation_17rocblas_diagonal_iiT3_T4_lilT5_lili
; %bb.0:
	s_load_dwordx4 s[0:3], s[4:5], 0x4
	s_load_dword s18, s[4:5], 0x14
	s_load_dwordx4 s[8:11], s[4:5], 0x30
	s_load_dwordx2 s[12:13], s[4:5], 0x40
	s_waitcnt lgkmcnt(0)
	s_min_i32 s19, s2, 64
	v_cmp_gt_i32_e32 vcc, s19, v0
	s_and_saveexec_b64 s[14:15], vcc
	s_cbranch_execz .LBB42_6
; %bb.1:
	s_load_dword s16, s[4:5], 0x28
	s_load_dwordx4 s[20:23], s[4:5], 0x18
	s_mul_i32 s9, s9, s7
	s_mul_hi_u32 s17, s8, s7
	s_add_i32 s9, s17, s9
	s_mul_i32 s8, s8, s7
	s_waitcnt lgkmcnt(0)
	s_ashr_i32 s17, s16, 31
	s_lshl_b64 s[8:9], s[8:9], 2
	s_add_u32 s20, s20, s8
	s_addc_u32 s21, s21, s9
	s_lshl_b64 s[8:9], s[22:23], 2
	s_add_u32 s8, s20, s8
	s_addc_u32 s9, s21, s9
	v_lshlrev_b32_e32 v3, 2, v0
	v_mov_b32_e32 v2, s9
	v_add_co_u32_e32 v1, vcc, s8, v3
	s_lshl_b64 s[8:9], s[16:17], 2
	v_addc_co_u32_e32 v2, vcc, 0, v2, vcc
	v_mov_b32_e32 v4, s9
	v_mov_b32_e32 v5, v3
	s_mov_b32 s9, s19
.LBB42_2:                               ; =>This Inner Loop Header: Depth=1
	global_load_dword v6, v[1:2], off
	v_add_co_u32_e32 v1, vcc, s8, v1
	s_add_i32 s9, s9, -1
	v_addc_co_u32_e32 v2, vcc, v2, v4, vcc
	s_cmp_eq_u32 s9, 0
	s_waitcnt vmcnt(0)
	ds_write_b32 v5, v6
	v_add_u32_e32 v5, 0x100, v5
	s_cbranch_scc0 .LBB42_2
; %bb.3:
	v_lshlrev_b32_e32 v1, 8, v0
	s_cmpk_lg_i32 s1, 0x84
	v_mov_b32_e32 v2, 1.0
	v_add_u32_e32 v1, v3, v1
	s_cbranch_scc0 .LBB42_5
; %bb.4:
	ds_read_b32 v2, v1
	s_waitcnt lgkmcnt(0)
	v_div_scale_f32 v3, s[8:9], v2, v2, 1.0
	v_div_scale_f32 v4, vcc, 1.0, v2, 1.0
	v_rcp_f32_e32 v5, v3
	v_fma_f32 v6, -v3, v5, 1.0
	v_fmac_f32_e32 v5, v6, v5
	v_mul_f32_e32 v6, v4, v5
	v_fma_f32 v7, -v3, v6, v4
	v_fmac_f32_e32 v6, v7, v5
	v_fma_f32 v3, -v3, v6, v4
	v_div_fmas_f32 v3, v3, v5, v6
	v_div_fixup_f32 v2, v3, v2, 1.0
.LBB42_5:
	ds_write_b32 v1, v2
.LBB42_6:
	s_or_b64 exec, exec, s[14:15]
	s_load_dword s1, s[4:5], 0x60
	s_waitcnt lgkmcnt(0)
	; wave barrier
	s_add_i32 s8, s1, -1
	s_lshl_b32 s1, s6, 6
	s_sub_i32 s3, s3, s1
	s_cmp_ge_u32 s6, s8
	s_cselect_b32 s3, s3, 64
	v_cmp_gt_i32_e32 vcc, s3, v0
	s_and_saveexec_b64 s[8:9], vcc
	s_cbranch_execz .LBB42_87
; %bb.7:
	s_load_dwordx2 s[8:9], s[4:5], 0x50
	s_load_dword s3, s[4:5], 0x48
	v_add_u32_e32 v0, s1, v0
	s_waitcnt lgkmcnt(0)
	s_mul_i32 s1, s9, s7
	s_mul_hi_u32 s5, s8, s7
	s_mul_i32 s4, s8, s7
	s_add_i32 s5, s5, s1
	v_mad_i64_i32 v[0:1], s[6:7], s3, v0, 0
	s_lshl_b64 s[4:5], s[4:5], 2
	s_add_u32 s1, s10, s4
	s_addc_u32 s8, s11, s5
	s_lshl_b64 s[6:7], s[12:13], 2
	s_add_u32 s1, s1, s6
	v_lshlrev_b64 v[34:35], 2, v[0:1]
	s_addc_u32 s3, s8, s7
	v_mov_b32_e32 v0, s3
	v_add_co_u32_e32 v32, vcc, s1, v34
	v_addc_co_u32_e32 v33, vcc, v0, v35, vcc
	s_cmpk_eq_i32 s0, 0x6f
	s_mov_b64 s[0:1], -1
	s_cbranch_scc1 .LBB42_45
; %bb.8:
	s_cmp_lt_i32 s2, 32
	s_cbranch_scc1 .LBB42_23
; %bb.9:
	s_add_u32 s0, s10, s6
	s_addc_u32 s1, s11, s7
	s_add_u32 s0, s0, s4
	s_addc_u32 s1, s1, s5
	v_mov_b32_e32 v0, s1
	v_add_co_u32_e32 v1, vcc, s0, v34
	v_addc_co_u32_e32 v0, vcc, v0, v35, vcc
	v_add_co_u32_e32 v36, vcc, 4, v1
	s_mov_b32 s1, 0
	v_addc_co_u32_e32 v37, vcc, 0, v0, vcc
	s_mov_b32 s3, 0
	s_mov_b32 s20, 0
	;; [unrolled: 1-line block ×3, first 2 shown]
.LBB42_10:                              ; =>This Loop Header: Depth=1
                                        ;     Child Loop BB42_12 Depth 2
                                        ;     Child Loop BB42_14 Depth 2
                                        ;       Child Loop BB42_16 Depth 3
                                        ;       Child Loop BB42_19 Depth 3
	s_lshl_b64 s[8:9], s[0:1], 2
	v_mov_b32_e32 v0, s9
	v_add_co_u32_e32 v38, vcc, s8, v32
	v_addc_co_u32_e32 v39, vcc, v33, v0, vcc
	global_load_dwordx4 v[0:3], v[38:39], off
	global_load_dwordx4 v[4:7], v[38:39], off offset:16
	global_load_dwordx4 v[8:11], v[38:39], off offset:32
	;; [unrolled: 1-line block ×7, first 2 shown]
	s_cmp_eq_u32 s0, 0
	s_waitcnt vmcnt(7)
	v_mul_f32_e32 v0, s18, v0
	v_mul_f32_e32 v1, s18, v1
	v_mul_f32_e32 v2, s18, v2
	v_mul_f32_e32 v3, s18, v3
	s_waitcnt vmcnt(6)
	v_mul_f32_e32 v4, s18, v4
	v_mul_f32_e32 v5, s18, v5
	v_mul_f32_e32 v6, s18, v6
	v_mul_f32_e32 v7, s18, v7
	;; [unrolled: 5-line block ×8, first 2 shown]
	s_cbranch_scc1 .LBB42_13
; %bb.11:                               ;   in Loop: Header=BB42_10 Depth=1
	v_mov_b32_e32 v41, v37
	v_mov_b32_e32 v40, v36
	s_mov_b32 s8, s0
	s_mov_b32 s9, s20
.LBB42_12:                              ;   Parent Loop BB42_10 Depth=1
                                        ; =>  This Inner Loop Header: Depth=2
	global_load_dwordx2 v[106:107], v[40:41], off offset:-4
	v_mov_b32_e32 v58, s9
	v_add_u32_e32 v70, 0x800, v58
	v_add_u32_e32 v86, 0x1000, v58
	;; [unrolled: 1-line block ×3, first 2 shown]
	ds_read2_b64 v[42:45], v58 offset1:32
	ds_read2_b64 v[46:49], v58 offset0:64 offset1:96
	ds_read2_b64 v[50:53], v58 offset0:128 offset1:160
	ds_read2_b64 v[54:57], v58 offset0:192 offset1:224
	ds_read2_b64 v[58:61], v70 offset1:32
	ds_read2_b64 v[62:65], v70 offset0:64 offset1:96
	ds_read2_b64 v[66:69], v70 offset0:128 offset1:160
	ds_read2_b64 v[70:73], v70 offset0:192 offset1:224
	;; [unrolled: 4-line block ×4, first 2 shown]
	s_add_i32 s9, s9, 8
	s_add_i32 s8, s8, -2
	v_add_co_u32_e32 v40, vcc, 8, v40
	v_addc_co_u32_e32 v41, vcc, 0, v41, vcc
	s_cmp_eq_u32 s8, 0
	s_waitcnt vmcnt(0) lgkmcnt(14)
	v_fma_f32 v0, -v106, v42, v0
	v_fma_f32 v1, -v106, v44, v1
	v_fma_f32 v2, -v106, v46, v2
	v_fma_f32 v3, -v106, v48, v3
	s_waitcnt lgkmcnt(13)
	v_fma_f32 v4, -v106, v50, v4
	v_fma_f32 v5, -v106, v52, v5
	s_waitcnt lgkmcnt(12)
	v_fma_f32 v6, -v106, v54, v6
	v_fma_f32 v7, -v106, v56, v7
	s_waitcnt lgkmcnt(11)
	v_fma_f32 v8, -v106, v58, v8
	v_fma_f32 v9, -v106, v60, v9
	s_waitcnt lgkmcnt(10)
	v_fma_f32 v10, -v106, v62, v10
	v_fma_f32 v11, -v106, v64, v11
	s_waitcnt lgkmcnt(9)
	v_fma_f32 v12, -v106, v66, v12
	v_fma_f32 v13, -v106, v68, v13
	s_waitcnt lgkmcnt(8)
	v_fma_f32 v14, -v106, v70, v14
	v_fma_f32 v15, -v106, v72, v15
	s_waitcnt lgkmcnt(7)
	v_fma_f32 v16, -v106, v74, v16
	v_fma_f32 v17, -v106, v76, v17
	s_waitcnt lgkmcnt(6)
	v_fma_f32 v18, -v106, v78, v18
	v_fma_f32 v19, -v106, v80, v19
	s_waitcnt lgkmcnt(5)
	v_fma_f32 v20, -v106, v82, v20
	v_fma_f32 v21, -v106, v84, v21
	s_waitcnt lgkmcnt(4)
	v_fma_f32 v22, -v106, v86, v22
	v_fma_f32 v23, -v106, v88, v23
	s_waitcnt lgkmcnt(3)
	v_fma_f32 v24, -v106, v90, v24
	v_fma_f32 v25, -v106, v92, v25
	s_waitcnt lgkmcnt(2)
	v_fma_f32 v26, -v106, v94, v26
	v_fma_f32 v27, -v106, v96, v27
	s_waitcnt lgkmcnt(1)
	v_fma_f32 v28, -v106, v98, v28
	v_fma_f32 v29, -v106, v100, v29
	s_waitcnt lgkmcnt(0)
	v_fma_f32 v30, -v106, v102, v30
	v_fma_f32 v31, -v106, v104, v31
	v_fma_f32 v0, -v107, v43, v0
	v_fma_f32 v1, -v107, v45, v1
	;; [unrolled: 1-line block ×32, first 2 shown]
	s_cbranch_scc0 .LBB42_12
.LBB42_13:                              ;   in Loop: Header=BB42_10 Depth=1
	s_mov_b64 s[8:9], 0
	s_mov_b32 s21, s3
.LBB42_14:                              ;   Parent Loop BB42_10 Depth=1
                                        ; =>  This Loop Header: Depth=2
                                        ;       Child Loop BB42_16 Depth 3
                                        ;       Child Loop BB42_19 Depth 3
	s_cmp_eq_u32 s8, 0
	s_cbranch_scc1 .LBB42_17
; %bb.15:                               ;   in Loop: Header=BB42_14 Depth=2
	s_mov_b64 s[12:13], s[8:9]
	s_add_i32 s14, s8, s0
	s_mov_b64 s[16:17], 0
	s_mov_b32 s13, s21
.LBB42_16:                              ;   Parent Loop BB42_10 Depth=1
                                        ;     Parent Loop BB42_14 Depth=2
                                        ; =>    This Inner Loop Header: Depth=3
	v_mov_b32_e32 v41, s13
	s_set_gpr_idx_on s16, gpr_idx(SRC0)
	v_mov_b32_e32 v40, v0
	s_set_gpr_idx_off
	ds_read_b32 v41, v41
	s_add_u32 s16, s16, 1
	s_addc_u32 s17, s17, 0
	s_add_i32 s13, s13, 4
	s_set_gpr_idx_on s8, gpr_idx(SRC0)
	v_mov_b32_e32 v42, v0
	s_set_gpr_idx_off
	s_cmp_eq_u32 s8, s16
	s_waitcnt lgkmcnt(0)
	v_fma_f32 v40, -v40, v41, v42
	s_set_gpr_idx_on s8, gpr_idx(DST)
	v_mov_b32_e32 v0, v40
	s_set_gpr_idx_off
	s_cbranch_scc0 .LBB42_16
	s_branch .LBB42_18
.LBB42_17:                              ;   in Loop: Header=BB42_14 Depth=2
	s_mov_b32 s14, s0
	s_mov_b64 s[12:13], 0
.LBB42_18:                              ;   in Loop: Header=BB42_14 Depth=2
	s_mul_i32 s13, s14, 0x104
	v_mov_b32_e32 v40, s13
	ds_read_b32 v40, v40
	s_ashr_i32 s15, s14, 31
	s_lshl_b64 s[14:15], s[14:15], 2
	s_set_gpr_idx_on s12, gpr_idx(SRC0)
	v_mov_b32_e32 v41, v0
	s_set_gpr_idx_off
	v_mov_b32_e32 v42, s15
	s_waitcnt lgkmcnt(0)
	v_mul_f32_e32 v43, v41, v40
	v_add_co_u32_e32 v40, vcc, s14, v32
	v_addc_co_u32_e32 v41, vcc, v33, v42, vcc
	global_store_dword v[40:41], v43, off
	s_or_b32 s14, s8, 1
	s_set_gpr_idx_on s12, gpr_idx(DST)
	v_mov_b32_e32 v0, v43
	s_set_gpr_idx_off
	s_add_u32 s15, s8, 1
	s_mov_b64 s[12:13], 0
	s_movk_i32 s16, 0x100
.LBB42_19:                              ;   Parent Loop BB42_10 Depth=1
                                        ;     Parent Loop BB42_14 Depth=2
                                        ; =>    This Inner Loop Header: Depth=3
	s_add_i32 s17, s21, s16
	v_mov_b32_e32 v41, s17
	s_set_gpr_idx_on s12, gpr_idx(SRC0)
	v_mov_b32_e32 v40, v0
	s_set_gpr_idx_off
	ds_read_b32 v41, v41
	s_add_u32 s12, s12, 1
	s_set_gpr_idx_on s14, gpr_idx(SRC0)
	v_mov_b32_e32 v42, v0
	s_set_gpr_idx_off
	s_addc_u32 s13, s13, 0
	s_add_i32 s16, s16, 4
	s_cmp_lg_u32 s15, s12
	s_waitcnt lgkmcnt(0)
	v_fma_f32 v40, -v40, v41, v42
	s_set_gpr_idx_on s14, gpr_idx(DST)
	v_mov_b32_e32 v0, v40
	s_set_gpr_idx_off
	s_cbranch_scc1 .LBB42_19
; %bb.20:                               ;   in Loop: Header=BB42_14 Depth=2
	s_add_i32 s12, s14, s0
	s_mulk_i32 s12, 0x104
	v_mov_b32_e32 v41, s12
	ds_read_b32 v41, v41
	s_ashr_i32 s13, s8, 31
	s_mov_b32 s12, s8
	s_lshl_b64 s[12:13], s[12:13], 2
	s_add_u32 s8, s8, 2
	v_mov_b32_e32 v42, s13
	s_waitcnt lgkmcnt(0)
	v_mul_f32_e32 v43, v40, v41
	v_add_co_u32_e32 v40, vcc, s12, v38
	s_addc_u32 s9, s9, 0
	s_addk_i32 s21, 0x200
	v_addc_co_u32_e32 v41, vcc, v39, v42, vcc
	s_cmp_eq_u32 s8, 32
	s_set_gpr_idx_on s14, gpr_idx(DST)
	v_mov_b32_e32 v0, v43
	s_set_gpr_idx_off
	global_store_dword v[40:41], v43, off offset:4
	s_cbranch_scc0 .LBB42_14
; %bb.21:                               ;   in Loop: Header=BB42_10 Depth=1
	s_add_i32 s8, s0, 32
	s_add_i32 s0, s0, 63
	s_addk_i32 s20, 0x2000
	s_addk_i32 s3, 0x2080
	s_cmp_ge_i32 s0, s19
	s_cbranch_scc1 .LBB42_24
; %bb.22:                               ;   in Loop: Header=BB42_10 Depth=1
	s_mov_b32 s0, s8
	s_branch .LBB42_10
.LBB42_23:
	s_mov_b32 s8, 0
.LBB42_24:
	s_cmp_lt_i32 s8, s19
	s_cbranch_scc0 .LBB42_44
; %bb.25:
	s_add_i32 s0, s8, 3
	s_cmp_ge_i32 s0, s19
	s_cbranch_scc1 .LBB42_38
; %bb.26:
	s_add_i32 s3, s8, -1
	s_lshl_b32 s12, s8, 8
	s_add_u32 s0, s10, s6
	s_addc_u32 s1, s11, s7
	s_add_u32 s0, s0, s4
	s_addc_u32 s1, s1, s5
	v_mov_b32_e32 v0, s1
	v_add_co_u32_e32 v6, vcc, s0, v34
	v_addc_co_u32_e32 v7, vcc, v0, v35, vcc
	v_add_co_u32_e32 v0, vcc, 28, v6
	v_addc_co_u32_e32 v1, vcc, 0, v7, vcc
	s_mov_b32 s1, 0
	s_mov_b32 s4, s8
	;; [unrolled: 1-line block ×3, first 2 shown]
.LBB42_27:                              ; =>This Loop Header: Depth=1
                                        ;     Child Loop BB42_30 Depth 2
                                        ;     Child Loop BB42_33 Depth 2
	s_ashr_i32 s9, s8, 31
	s_lshl_b64 s[6:7], s[8:9], 2
	v_mov_b32_e32 v3, s7
	v_add_co_u32_e32 v2, vcc, s6, v32
	v_addc_co_u32_e32 v3, vcc, v33, v3, vcc
	global_load_dwordx4 v[11:14], v[2:3], off
	s_cmp_eq_u32 s8, 0
	s_waitcnt vmcnt(0)
	v_mul_f32_e32 v11, s18, v11
	v_mul_f32_e32 v10, s18, v12
	;; [unrolled: 1-line block ×4, first 2 shown]
	s_cbranch_scc1 .LBB42_35
; %bb.28:                               ;   in Loop: Header=BB42_27 Depth=1
	s_lshl_b32 s0, s5, 2
	s_add_i32 s0, s3, s0
	s_cmp_lt_u32 s0, 7
	s_mov_b32 s0, 0
	s_cbranch_scc1 .LBB42_31
; %bb.29:                               ;   in Loop: Header=BB42_27 Depth=1
	v_mov_b32_e32 v5, v1
	s_and_b32 s0, s8, -8
	s_mov_b32 s6, 0
	v_mov_b32_e32 v4, v0
	s_mov_b32 s7, s12
.LBB42_30:                              ;   Parent Loop BB42_27 Depth=1
                                        ; =>  This Inner Loop Header: Depth=2
	global_load_dwordx4 v[12:15], v[4:5], off offset:-28
	global_load_dwordx4 v[16:19], v[4:5], off offset:-12
	v_mov_b32_e32 v50, s7
	ds_read_b128 v[20:23], v50
	ds_read_b128 v[24:27], v50 offset:16
	ds_read_b128 v[28:31], v50 offset:256
	;; [unrolled: 1-line block ×7, first 2 shown]
	s_add_i32 s6, s6, 8
	s_add_i32 s7, s7, 32
	v_add_co_u32_e32 v4, vcc, 32, v4
	v_addc_co_u32_e32 v5, vcc, 0, v5, vcc
	s_cmp_lg_u32 s0, s6
	s_waitcnt vmcnt(1) lgkmcnt(7)
	v_fma_f32 v11, -v12, v20, v11
	s_waitcnt lgkmcnt(5)
	v_fma_f32 v10, -v12, v28, v10
	s_waitcnt lgkmcnt(3)
	;; [unrolled: 2-line block ×3, first 2 shown]
	v_fma_f32 v8, -v12, v46, v8
	v_fma_f32 v11, -v13, v21, v11
	v_fma_f32 v10, -v13, v29, v10
	v_fma_f32 v9, -v13, v39, v9
	v_fma_f32 v8, -v13, v47, v8
	v_fma_f32 v11, -v14, v22, v11
	v_fma_f32 v10, -v14, v30, v10
	v_fma_f32 v9, -v14, v40, v9
	v_fma_f32 v8, -v14, v48, v8
	v_fma_f32 v11, -v15, v23, v11
	v_fma_f32 v10, -v15, v31, v10
	v_fma_f32 v9, -v15, v41, v9
	v_fma_f32 v8, -v15, v49, v8
	s_waitcnt vmcnt(0)
	v_fma_f32 v11, -v16, v24, v11
	v_fma_f32 v10, -v16, v34, v10
	;; [unrolled: 1-line block ×3, first 2 shown]
	s_waitcnt lgkmcnt(0)
	v_fma_f32 v8, -v16, v50, v8
	v_fma_f32 v11, -v17, v25, v11
	;; [unrolled: 1-line block ×13, first 2 shown]
	s_cbranch_scc1 .LBB42_30
.LBB42_31:                              ;   in Loop: Header=BB42_27 Depth=1
	s_and_b32 s6, s8, 7
	s_cmp_eq_u32 s6, 0
	s_cbranch_scc1 .LBB42_34
; %bb.32:                               ;   in Loop: Header=BB42_27 Depth=1
	s_lshl_b64 s[10:11], s[0:1], 2
	v_mov_b32_e32 v5, s11
	v_add_co_u32_e32 v4, vcc, s10, v6
	s_and_b32 s6, s4, 7
	s_lshl_b32 s7, s0, 2
	v_addc_co_u32_e32 v5, vcc, v7, v5, vcc
.LBB42_33:                              ;   Parent Loop BB42_27 Depth=1
                                        ; =>  This Inner Loop Header: Depth=2
	global_load_dword v16, v[4:5], off
	s_add_i32 s0, s12, s7
	v_mov_b32_e32 v14, s0
	ds_read2st64_b32 v[12:13], v14 offset1:1
	ds_read2st64_b32 v[14:15], v14 offset0:2 offset1:3
	s_add_i32 s7, s7, 4
	s_add_i32 s6, s6, -1
	v_add_co_u32_e32 v4, vcc, 4, v4
	v_addc_co_u32_e32 v5, vcc, 0, v5, vcc
	s_cmp_lg_u32 s6, 0
	s_waitcnt vmcnt(0) lgkmcnt(1)
	v_fma_f32 v11, -v16, v12, v11
	v_fma_f32 v10, -v16, v13, v10
	s_waitcnt lgkmcnt(0)
	v_fma_f32 v9, -v16, v14, v9
	v_fma_f32 v8, -v16, v15, v8
	s_cbranch_scc1 .LBB42_33
.LBB42_34:                              ;   in Loop: Header=BB42_27 Depth=1
	s_lshl_b32 s0, s8, 8
	s_branch .LBB42_36
.LBB42_35:                              ;   in Loop: Header=BB42_27 Depth=1
	s_mov_b32 s0, 0
.LBB42_36:                              ;   in Loop: Header=BB42_27 Depth=1
	s_lshl_b32 s6, s8, 2
	s_add_i32 s0, s6, s0
	v_mov_b32_e32 v12, s0
	s_lshl_b32 s0, s8, 8
	s_add_i32 s0, s0, s6
	ds_read2_b32 v[4:5], v12 offset1:65
	v_mov_b32_e32 v19, s0
	ds_read2_b32 v[13:14], v19 offset0:64 offset1:194
	ds_read2_b32 v[15:16], v19 offset0:128 offset1:129
	;; [unrolled: 1-line block ×4, first 2 shown]
	s_waitcnt lgkmcnt(4)
	v_mul_f32_e32 v11, v11, v4
	s_add_i32 s0, s8, 4
	s_waitcnt lgkmcnt(3)
	v_fma_f32 v4, -v11, v13, v10
	v_mul_f32_e32 v12, v4, v5
	s_waitcnt lgkmcnt(2)
	v_fma_f32 v4, -v11, v15, v9
	v_fma_f32 v4, -v12, v16, v4
	s_waitcnt lgkmcnt(1)
	v_mul_f32_e32 v13, v4, v17
	s_waitcnt lgkmcnt(0)
	v_fma_f32 v4, -v11, v19, v8
	v_fma_f32 v4, -v12, v20, v4
	;; [unrolled: 1-line block ×3, first 2 shown]
	s_add_i32 s6, s8, 7
	s_add_i32 s5, s5, 1
	s_addk_i32 s12, 0x400
	s_add_i32 s4, s4, 4
	v_mul_f32_e32 v14, v4, v18
	s_cmp_lt_i32 s6, s19
	global_store_dwordx4 v[2:3], v[11:14], off
	s_cbranch_scc0 .LBB42_39
; %bb.37:                               ;   in Loop: Header=BB42_27 Depth=1
	s_mov_b32 s8, s0
	s_branch .LBB42_27
.LBB42_38:
	s_mov_b32 s0, s8
.LBB42_39:
	s_cmp_ge_i32 s0, s19
	s_cbranch_scc1 .LBB42_44
; %bb.40:
	s_lshl_b32 s3, s0, 8
	s_branch .LBB42_42
.LBB42_41:                              ;   in Loop: Header=BB42_42 Depth=1
	s_mul_i32 s1, s0, 0x104
	v_mov_b32_e32 v2, s1
	ds_read_b32 v2, v2
	s_add_i32 s0, s0, 1
	s_addk_i32 s3, 0x100
	s_cmp_ge_i32 s0, s19
	s_waitcnt lgkmcnt(0)
	v_mul_f32_e32 v2, v4, v2
	global_store_dword v[0:1], v2, off
	s_cbranch_scc1 .LBB42_44
.LBB42_42:                              ; =>This Loop Header: Depth=1
                                        ;     Child Loop BB42_43 Depth 2
	s_ashr_i32 s1, s0, 31
	s_lshl_b64 s[4:5], s[0:1], 2
	v_mov_b32_e32 v1, s5
	v_add_co_u32_e32 v0, vcc, s4, v32
	v_addc_co_u32_e32 v1, vcc, v33, v1, vcc
	global_load_dword v4, v[0:1], off
	v_mov_b32_e32 v2, v32
	v_mov_b32_e32 v3, v33
	s_mov_b32 s1, s0
	s_cmp_eq_u32 s0, 0
	s_mov_b32 s4, s3
	s_waitcnt vmcnt(0)
	v_mul_f32_e32 v4, s18, v4
	s_cbranch_scc1 .LBB42_41
.LBB42_43:                              ;   Parent Loop BB42_42 Depth=1
                                        ; =>  This Inner Loop Header: Depth=2
	global_load_dword v5, v[2:3], off
	v_mov_b32_e32 v6, s4
	ds_read_b32 v6, v6
	s_add_i32 s4, s4, 4
	s_add_i32 s1, s1, -1
	v_add_co_u32_e32 v2, vcc, 4, v2
	v_addc_co_u32_e32 v3, vcc, 0, v3, vcc
	s_cmp_lg_u32 s1, 0
	s_waitcnt vmcnt(0) lgkmcnt(0)
	v_fma_f32 v4, -v5, v6, v4
	s_cbranch_scc1 .LBB42_43
	s_branch .LBB42_41
.LBB42_44:
	s_mov_b64 s[0:1], 0
.LBB42_45:
	s_and_b64 vcc, exec, s[0:1]
	s_cbranch_vccz .LBB42_87
; %bb.46:
	s_add_i32 s10, s19, -1
	s_cmp_lt_i32 s2, 32
	s_mov_b32 s1, 0
	s_cbranch_scc1 .LBB42_62
; %bb.47:
	s_lshl_b32 s11, s19, 8
	s_addk_i32 s11, 0xfe84
	s_mov_b32 s0, s10
.LBB42_48:                              ; =>This Loop Header: Depth=1
                                        ;     Child Loop BB42_50 Depth 2
                                        ;     Child Loop BB42_52 Depth 2
                                        ;       Child Loop BB42_54 Depth 3
                                        ;       Child Loop BB42_58 Depth 3
	s_mov_b32 s2, s0
	s_mov_b32 s3, s1
	s_lshl_b64 s[4:5], s[2:3], 2
	v_mov_b32_e32 v1, s5
	v_add_co_u32_e32 v0, vcc, s4, v32
	s_ashr_i32 s3, s0, 31
	v_addc_co_u32_e32 v1, vcc, v33, v1, vcc
	s_lshl_b64 s[4:5], s[2:3], 2
	global_load_dword v2, v[0:1], off
	v_mov_b32_e32 v1, s5
	v_add_co_u32_e32 v0, vcc, s4, v32
	v_addc_co_u32_e32 v1, vcc, v33, v1, vcc
	global_load_dwordx3 v[3:5], v[0:1], off offset:-12
	global_load_dwordx4 v[7:10], v[0:1], off offset:-28
	global_load_dwordx4 v[11:14], v[0:1], off offset:-44
	;; [unrolled: 1-line block ×7, first 2 shown]
	s_cmp_le_i32 s10, s0
	s_waitcnt vmcnt(7)
	v_mul_f32_e32 v1, s18, v5
	v_mul_f32_e32 v0, s18, v2
	v_mul_f32_e32 v2, s18, v4
	v_mul_f32_e32 v3, s18, v3
	s_waitcnt vmcnt(6)
	v_mul_f32_e32 v4, s18, v10
	v_mul_f32_e32 v5, s18, v9
	v_mul_f32_e32 v6, s18, v8
	v_mul_f32_e32 v7, s18, v7
	;; [unrolled: 5-line block ×8, first 2 shown]
	s_cbranch_scc1 .LBB42_51
; %bb.49:                               ;   in Loop: Header=BB42_48 Depth=1
	s_lshl_b32 s0, s2, 2
	s_add_i32 s4, s11, s0
	s_mov_b32 s0, s10
.LBB42_50:                              ;   Parent Loop BB42_48 Depth=1
                                        ; =>  This Inner Loop Header: Depth=2
	s_lshl_b64 s[6:7], s[0:1], 2
	v_mov_b32_e32 v35, s7
	v_add_co_u32_e32 v34, vcc, s6, v32
	v_addc_co_u32_e32 v35, vcc, v33, v35, vcc
	global_load_dword v66, v[34:35], off
	v_mov_b32_e32 v64, s4
	ds_read2_b32 v[34:35], v64 offset0:30 offset1:31
	ds_read2_b32 v[36:37], v64 offset0:28 offset1:29
	;; [unrolled: 1-line block ×15, first 2 shown]
	ds_read2_b32 v[64:65], v64 offset1:1
	s_add_i32 s0, s0, -1
	s_addk_i32 s4, 0xff00
	s_cmp_gt_i32 s0, s2
	s_waitcnt vmcnt(0) lgkmcnt(14)
	v_fma_f32 v0, -v66, v35, v0
	v_fma_f32 v1, -v66, v34, v1
	;; [unrolled: 1-line block ×4, first 2 shown]
	s_waitcnt lgkmcnt(13)
	v_fma_f32 v4, -v66, v39, v4
	v_fma_f32 v5, -v66, v38, v5
	s_waitcnt lgkmcnt(12)
	v_fma_f32 v6, -v66, v41, v6
	v_fma_f32 v7, -v66, v40, v7
	;; [unrolled: 3-line block ×14, first 2 shown]
	s_cbranch_scc1 .LBB42_50
.LBB42_51:                              ;   in Loop: Header=BB42_48 Depth=1
	s_mul_i32 s0, s2, 0x104
	s_mov_b64 s[4:5], 0
	s_mov_b32 s12, s0
.LBB42_52:                              ;   Parent Loop BB42_48 Depth=1
                                        ; =>  This Loop Header: Depth=2
                                        ;       Child Loop BB42_54 Depth 3
                                        ;       Child Loop BB42_58 Depth 3
	s_cmp_eq_u32 s4, 0
	s_cbranch_scc1 .LBB42_56
; %bb.53:                               ;   in Loop: Header=BB42_52 Depth=2
	s_mov_b64 s[6:7], s[4:5]
	s_mov_b64 s[8:9], 0
	s_mov_b32 s7, s12
.LBB42_54:                              ;   Parent Loop BB42_48 Depth=1
                                        ;     Parent Loop BB42_52 Depth=2
                                        ; =>    This Inner Loop Header: Depth=3
	v_mov_b32_e32 v35, s7
	s_set_gpr_idx_on s8, gpr_idx(SRC0)
	v_mov_b32_e32 v34, v0
	s_set_gpr_idx_off
	ds_read_b32 v35, v35
	s_add_u32 s8, s8, 1
	s_addc_u32 s9, s9, 0
	s_addk_i32 s7, 0xff00
	s_set_gpr_idx_on s4, gpr_idx(SRC0)
	v_mov_b32_e32 v36, v0
	s_set_gpr_idx_off
	s_cmp_lg_u32 s4, s8
	s_waitcnt lgkmcnt(0)
	v_fma_f32 v34, -v34, v35, v36
	s_set_gpr_idx_on s4, gpr_idx(DST)
	v_mov_b32_e32 v0, v34
	s_set_gpr_idx_off
	s_cbranch_scc1 .LBB42_54
; %bb.55:                               ;   in Loop: Header=BB42_52 Depth=2
	s_sub_i32 s8, s2, s4
	s_ashr_i32 s9, s8, 31
	s_mul_i32 s7, s8, 0x104
	s_branch .LBB42_57
.LBB42_56:                              ;   in Loop: Header=BB42_52 Depth=2
	s_mov_b64 s[6:7], 0
	s_mov_b64 s[8:9], s[2:3]
	s_mov_b32 s7, s0
.LBB42_57:                              ;   in Loop: Header=BB42_52 Depth=2
	v_mov_b32_e32 v34, s7
	ds_read_b32 v34, v34
	s_lshl_b64 s[8:9], s[8:9], 2
	s_set_gpr_idx_on s6, gpr_idx(SRC0)
	v_mov_b32_e32 v35, v0
	s_set_gpr_idx_off
	v_mov_b32_e32 v36, s9
	s_add_u32 s9, s4, 1
	s_waitcnt lgkmcnt(0)
	v_mul_f32_e32 v37, v35, v34
	v_add_co_u32_e32 v34, vcc, s8, v32
	v_addc_co_u32_e32 v35, vcc, v33, v36, vcc
	global_store_dword v[34:35], v37, off
	s_or_b32 s8, s4, 1
	s_set_gpr_idx_on s6, gpr_idx(DST)
	v_mov_b32_e32 v0, v37
	s_set_gpr_idx_off
	s_mov_b64 s[6:7], 0
	s_mov_b32 s13, -4
.LBB42_58:                              ;   Parent Loop BB42_48 Depth=1
                                        ;     Parent Loop BB42_52 Depth=2
                                        ; =>    This Inner Loop Header: Depth=3
	s_add_i32 s14, s12, s13
	v_mov_b32_e32 v35, s14
	s_set_gpr_idx_on s6, gpr_idx(SRC0)
	v_mov_b32_e32 v34, v0
	s_set_gpr_idx_off
	ds_read_b32 v35, v35
	s_add_u32 s6, s6, 1
	s_set_gpr_idx_on s8, gpr_idx(SRC0)
	v_mov_b32_e32 v36, v0
	s_set_gpr_idx_off
	s_addc_u32 s7, s7, 0
	s_addk_i32 s13, 0xff00
	s_cmp_lg_u32 s9, s6
	s_waitcnt lgkmcnt(0)
	v_fma_f32 v34, -v34, v35, v36
	s_set_gpr_idx_on s8, gpr_idx(DST)
	v_mov_b32_e32 v0, v34
	s_set_gpr_idx_off
	s_cbranch_scc1 .LBB42_58
; %bb.59:                               ;   in Loop: Header=BB42_52 Depth=2
	s_sub_i32 s6, s2, s8
	s_lshl_b32 s7, s6, 2
	s_lshl_b32 s6, s6, 8
	s_add_i32 s6, s7, s6
	v_mov_b32_e32 v35, s6
	ds_read_b32 v35, v35
	s_ashr_i32 s7, s4, 31
	s_sub_u32 s6, s2, s4
	s_subb_u32 s7, s3, s7
	s_lshl_b64 s[6:7], s[6:7], 2
	s_add_u32 s4, s4, 2
	s_waitcnt lgkmcnt(0)
	v_mul_f32_e32 v36, v34, v35
	v_mov_b32_e32 v35, s7
	v_add_co_u32_e32 v34, vcc, s6, v32
	s_addc_u32 s5, s5, 0
	s_add_i32 s12, s12, -8
	v_addc_co_u32_e32 v35, vcc, v33, v35, vcc
	s_cmp_eq_u32 s4, 32
	s_set_gpr_idx_on s8, gpr_idx(DST)
	v_mov_b32_e32 v0, v36
	s_set_gpr_idx_off
	global_store_dword v[34:35], v36, off offset:-4
	s_cbranch_scc0 .LBB42_52
; %bb.60:                               ;   in Loop: Header=BB42_48 Depth=1
	s_cmp_lt_i32 s2, 63
	s_mov_b32 s0, 31
	s_cbranch_scc0 .LBB42_48
; %bb.61:
	s_sub_i32 s0, s2, 32
	s_cmp_gt_i32 s0, -1
	s_cbranch_scc1 .LBB42_63
	s_branch .LBB42_87
.LBB42_62:
	s_mov_b32 s0, s10
	s_cmp_gt_i32 s0, -1
	s_cbranch_scc0 .LBB42_87
.LBB42_63:
	s_cmp_lt_u32 s0, 3
	s_cbranch_scc1 .LBB42_69
; %bb.64:
	s_lshl_b32 s1, s19, 8
	s_lshl_b32 s2, s0, 2
	s_add_i32 s1, s1, s2
	s_add_i32 s4, s1, 0xfffffef4
	s_mov_b32 s3, 0
.LBB42_65:                              ; =>This Loop Header: Depth=1
                                        ;     Child Loop BB42_66 Depth 2
	s_mov_b32 s1, s3
	s_lshl_b64 s[6:7], s[0:1], 2
	v_mov_b32_e32 v1, s7
	v_add_co_u32_e32 v0, vcc, s6, v32
	v_addc_co_u32_e32 v1, vcc, v33, v1, vcc
	global_load_dwordx4 v[2:5], v[0:1], off offset:-12
	s_mov_b32 s1, s4
	s_cmp_le_i32 s10, s0
	s_mov_b32 s2, s10
	s_waitcnt vmcnt(0)
	v_mul_f32_e32 v5, s18, v5
	v_mul_f32_e32 v4, s18, v4
	;; [unrolled: 1-line block ×4, first 2 shown]
	s_cbranch_scc1 .LBB42_67
.LBB42_66:                              ;   Parent Loop BB42_65 Depth=1
                                        ; =>  This Inner Loop Header: Depth=2
	s_lshl_b64 s[6:7], s[2:3], 2
	v_mov_b32_e32 v7, s7
	v_add_co_u32_e32 v6, vcc, s6, v32
	v_addc_co_u32_e32 v7, vcc, v33, v7, vcc
	global_load_dword v10, v[6:7], off
	v_mov_b32_e32 v8, s1
	ds_read2_b32 v[6:7], v8 offset0:2 offset1:3
	ds_read2_b32 v[8:9], v8 offset1:1
	s_add_i32 s2, s2, -1
	s_addk_i32 s1, 0xff00
	s_cmp_gt_i32 s2, s0
	s_waitcnt vmcnt(0) lgkmcnt(1)
	v_fma_f32 v5, -v10, v7, v5
	v_fma_f32 v4, -v10, v6, v4
	s_waitcnt lgkmcnt(0)
	v_fma_f32 v3, -v10, v9, v3
	v_fma_f32 v2, -v10, v8, v2
	s_cbranch_scc1 .LBB42_66
.LBB42_67:                              ;   in Loop: Header=BB42_65 Depth=1
	s_add_i32 s2, s0, -1
	s_lshl_b32 s1, s2, 2
	s_lshl_b32 s5, s0, 8
	s_add_i32 s6, s1, s5
	s_lshl_b32 s7, s2, 8
	v_mov_b32_e32 v6, s6
	s_add_i32 s1, s1, s7
	s_add_i32 s6, s0, -3
	ds_read2_b32 v[6:7], v6 offset1:1
	v_mov_b32_e32 v8, s1
	s_lshl_b32 s1, s6, 2
	s_add_i32 s5, s1, s5
	v_mov_b32_e32 v9, s5
	s_add_i32 s5, s1, s7
	v_mov_b32_e32 v10, s5
	ds_read_b32 v12, v8
	ds_read2_b32 v[8:9], v9 offset1:1
	ds_read2_b32 v[10:11], v10 offset1:1
	s_waitcnt lgkmcnt(3)
	v_mul_f32_e32 v5, v5, v7
	global_store_dword v[0:1], v5, off
	v_fma_f32 v0, -v5, v6, v4
	s_lshl_b64 s[8:9], s[2:3], 2
	s_waitcnt lgkmcnt(2)
	v_mul_f32_e32 v6, v0, v12
	v_mov_b32_e32 v1, s9
	v_add_co_u32_e32 v0, vcc, s8, v32
	s_add_i32 s2, s0, -2
	v_addc_co_u32_e32 v1, vcc, v33, v1, vcc
	s_lshl_b32 s5, s2, 8
	global_store_dword v[0:1], v6, off
	s_waitcnt lgkmcnt(1)
	v_fma_f32 v0, -v5, v9, v3
	s_add_i32 s5, s1, s5
	s_waitcnt lgkmcnt(0)
	v_fma_f32 v3, -v6, v11, v0
	v_mov_b32_e32 v0, s5
	s_lshl_b32 s5, s6, 8
	ds_read2_b32 v[0:1], v0 offset1:1
	s_add_i32 s1, s1, s5
	v_mov_b32_e32 v4, s1
	ds_read_b32 v7, v4
	s_lshl_b64 s[8:9], s[2:3], 2
	v_fma_f32 v2, -v5, v8, v2
	s_waitcnt lgkmcnt(1)
	v_mul_f32_e32 v1, v3, v1
	v_mov_b32_e32 v4, s9
	v_add_co_u32_e32 v3, vcc, s8, v32
	v_fma_f32 v2, -v6, v10, v2
	s_mov_b32 s7, s3
	v_addc_co_u32_e32 v4, vcc, v33, v4, vcc
	v_fma_f32 v0, -v1, v0, v2
	s_lshl_b64 s[6:7], s[6:7], 2
	global_store_dword v[3:4], v1, off
	s_waitcnt lgkmcnt(0)
	v_mul_f32_e32 v2, v0, v7
	v_mov_b32_e32 v1, s7
	v_add_co_u32_e32 v0, vcc, s6, v32
	s_add_i32 s5, s0, -4
	s_add_i32 s4, s4, -16
	v_addc_co_u32_e32 v1, vcc, v33, v1, vcc
	s_cmp_gt_i32 s0, 6
	global_store_dword v[0:1], v2, off
	s_cbranch_scc0 .LBB42_70
; %bb.68:                               ;   in Loop: Header=BB42_65 Depth=1
	s_mov_b32 s0, s5
	s_branch .LBB42_65
.LBB42_69:
	s_mov_b32 s5, s0
.LBB42_70:
	s_cmp_lt_i32 s5, 0
	s_cbranch_scc1 .LBB42_87
; %bb.71:
	s_and_b32 s0, s5, 3
	s_cmp_eq_u32 s0, 3
	s_mov_b32 s0, s5
	s_cbranch_scc1 .LBB42_76
; %bb.72:
	s_add_i32 s0, s5, 1
	s_and_b32 s4, s0, 3
	s_lshl_b32 s0, s19, 8
	s_lshl_b32 s1, s5, 2
	s_add_i32 s0, s0, s1
	s_add_i32 s6, s0, 0xffffff00
	s_mov_b32 s3, 0
	s_mov_b32 s0, s5
	;; [unrolled: 1-line block ×3, first 2 shown]
	s_branch .LBB42_74
.LBB42_73:                              ;   in Loop: Header=BB42_74 Depth=1
	s_mul_i32 s1, s0, 0x104
	v_mov_b32_e32 v3, s1
	ds_read_b32 v3, v3
	s_add_i32 s0, s0, -1
	s_add_i32 s7, s7, 1
	s_add_i32 s6, s6, -4
	s_cmp_lg_u32 s7, s4
	s_waitcnt lgkmcnt(0)
	v_mul_f32_e32 v2, v2, v3
	global_store_dword v[0:1], v2, off
	s_cbranch_scc0 .LBB42_76
.LBB42_74:                              ; =>This Loop Header: Depth=1
                                        ;     Child Loop BB42_75 Depth 2
	s_mov_b32 s1, s3
	s_lshl_b64 s[8:9], s[0:1], 2
	v_mov_b32_e32 v1, s9
	v_add_co_u32_e32 v0, vcc, s8, v32
	v_addc_co_u32_e32 v1, vcc, v33, v1, vcc
	global_load_dword v2, v[0:1], off
	s_mov_b32 s1, s6
	s_cmp_le_i32 s10, s0
	s_mov_b32 s2, s10
	s_waitcnt vmcnt(0)
	v_mul_f32_e32 v2, s18, v2
	s_cbranch_scc1 .LBB42_73
.LBB42_75:                              ;   Parent Loop BB42_74 Depth=1
                                        ; =>  This Inner Loop Header: Depth=2
	s_lshl_b64 s[8:9], s[2:3], 2
	v_mov_b32_e32 v4, s9
	v_add_co_u32_e32 v3, vcc, s8, v32
	v_addc_co_u32_e32 v4, vcc, v33, v4, vcc
	global_load_dword v3, v[3:4], off
	v_mov_b32_e32 v4, s1
	ds_read_b32 v4, v4
	s_add_i32 s2, s2, -1
	s_addk_i32 s1, 0xff00
	s_cmp_gt_i32 s2, s0
	s_waitcnt vmcnt(0) lgkmcnt(0)
	v_fma_f32 v2, -v3, v4, v2
	s_cbranch_scc1 .LBB42_75
	s_branch .LBB42_73
.LBB42_76:
	s_cmp_lt_u32 s5, 3
	s_cbranch_scc1 .LBB42_87
; %bb.77:
	s_lshl_b32 s1, s19, 8
	s_lshl_b32 s2, s0, 2
	s_add_i32 s1, s1, s2
	s_add_i32 s6, s1, 0xffffff00
	;; [unrolled: 1-line block ×5, first 2 shown]
	s_mov_b32 s3, 0
	s_branch .LBB42_79
.LBB42_78:                              ;   in Loop: Header=BB42_79 Depth=1
	s_addk_i32 s1, 0xfefc
	v_mov_b32_e32 v3, s1
	ds_read_b32 v3, v3
	s_add_i32 s1, s0, -4
	s_add_i32 s6, s6, -16
	;; [unrolled: 1-line block ×5, first 2 shown]
	s_waitcnt lgkmcnt(0)
	v_mul_f32_e32 v2, v2, v3
	s_cmp_lt_i32 s0, 4
	s_mov_b32 s0, s1
	global_store_dword v[0:1], v2, off
	s_cbranch_scc1 .LBB42_87
.LBB42_79:                              ; =>This Loop Header: Depth=1
                                        ;     Child Loop BB42_80 Depth 2
                                        ;     Child Loop BB42_82 Depth 2
	;; [unrolled: 1-line block ×4, first 2 shown]
	s_mov_b32 s1, s3
	s_lshl_b64 s[4:5], s[0:1], 2
	v_mov_b32_e32 v0, s5
	v_add_co_u32_e32 v2, vcc, s4, v32
	v_addc_co_u32_e32 v3, vcc, v33, v0, vcc
	global_load_dword v0, v[2:3], off
	s_mov_b32 s1, s6
	s_cmp_le_i32 s10, s0
	s_mov_b32 s2, s10
	s_waitcnt vmcnt(0)
	v_mul_f32_e32 v4, s18, v0
	s_cbranch_scc1 .LBB42_81
.LBB42_80:                              ;   Parent Loop BB42_79 Depth=1
                                        ; =>  This Inner Loop Header: Depth=2
	s_lshl_b64 s[4:5], s[2:3], 2
	v_mov_b32_e32 v1, s5
	v_add_co_u32_e32 v0, vcc, s4, v32
	v_addc_co_u32_e32 v1, vcc, v33, v1, vcc
	global_load_dword v0, v[0:1], off
	v_mov_b32_e32 v1, s1
	ds_read_b32 v1, v1
	s_add_i32 s2, s2, -1
	s_addk_i32 s1, 0xff00
	s_cmp_gt_i32 s2, s0
	s_waitcnt vmcnt(0) lgkmcnt(0)
	v_fma_f32 v4, -v0, v1, v4
	s_cbranch_scc1 .LBB42_80
.LBB42_81:                              ;   in Loop: Header=BB42_79 Depth=1
	s_add_i32 s2, s0, -1
	s_lshl_b64 s[4:5], s[2:3], 2
	v_mov_b32_e32 v1, s5
	v_add_co_u32_e32 v0, vcc, s4, v32
	v_addc_co_u32_e32 v1, vcc, v33, v1, vcc
	global_load_dword v5, v[0:1], off
	s_mul_i32 s1, s0, 0x104
	v_mov_b32_e32 v6, s1
	ds_read_b32 v6, v6
	s_mov_b32 s4, s7
	s_cmp_le_i32 s19, s0
	s_mov_b32 s2, s19
	s_waitcnt lgkmcnt(0)
	v_mul_f32_e32 v4, v4, v6
	global_store_dword v[2:3], v4, off
	s_waitcnt vmcnt(1)
	v_mul_f32_e32 v4, s18, v5
	s_cbranch_scc1 .LBB42_83
.LBB42_82:                              ;   Parent Loop BB42_79 Depth=1
                                        ; =>  This Inner Loop Header: Depth=2
	s_add_i32 s2, s2, -1
	s_lshl_b64 s[12:13], s[2:3], 2
	v_mov_b32_e32 v3, s13
	v_add_co_u32_e32 v2, vcc, s12, v32
	v_addc_co_u32_e32 v3, vcc, v33, v3, vcc
	global_load_dword v2, v[2:3], off
	v_mov_b32_e32 v3, s4
	ds_read_b32 v3, v3
	s_addk_i32 s4, 0xff00
	s_cmp_gt_i32 s2, s0
	s_waitcnt vmcnt(0) lgkmcnt(0)
	v_fma_f32 v4, -v2, v3, v4
	s_cbranch_scc1 .LBB42_82
.LBB42_83:                              ;   in Loop: Header=BB42_79 Depth=1
	s_add_i32 s4, s0, -2
	s_mov_b32 s5, s3
	s_lshl_b64 s[12:13], s[4:5], 2
	v_mov_b32_e32 v3, s13
	v_add_co_u32_e32 v2, vcc, s12, v32
	v_addc_co_u32_e32 v3, vcc, v33, v3, vcc
	global_load_dword v5, v[2:3], off
	s_addk_i32 s1, 0xfefc
	v_mov_b32_e32 v6, s1
	ds_read_b32 v6, v6
	s_mov_b32 s5, s8
	s_cmp_le_i32 s10, s4
	s_mov_b32 s2, s10
	s_waitcnt lgkmcnt(0)
	v_mul_f32_e32 v4, v4, v6
	global_store_dword v[0:1], v4, off
	s_waitcnt vmcnt(1)
	v_mul_f32_e32 v4, s18, v5
	s_cbranch_scc1 .LBB42_85
.LBB42_84:                              ;   Parent Loop BB42_79 Depth=1
                                        ; =>  This Inner Loop Header: Depth=2
	s_lshl_b64 s[12:13], s[2:3], 2
	v_mov_b32_e32 v1, s13
	v_add_co_u32_e32 v0, vcc, s12, v32
	v_addc_co_u32_e32 v1, vcc, v33, v1, vcc
	global_load_dword v0, v[0:1], off
	v_mov_b32_e32 v1, s5
	ds_read_b32 v1, v1
	s_add_i32 s2, s2, -1
	s_addk_i32 s5, 0xff00
	s_cmp_gt_i32 s2, s4
	s_waitcnt vmcnt(0) lgkmcnt(0)
	v_fma_f32 v4, -v0, v1, v4
	s_cbranch_scc1 .LBB42_84
.LBB42_85:                              ;   in Loop: Header=BB42_79 Depth=1
	s_add_i32 s4, s0, -3
	s_mov_b32 s5, s3
	s_lshl_b64 s[12:13], s[4:5], 2
	v_mov_b32_e32 v1, s13
	v_add_co_u32_e32 v0, vcc, s12, v32
	v_addc_co_u32_e32 v1, vcc, v33, v1, vcc
	global_load_dword v5, v[0:1], off
	s_addk_i32 s1, 0xfefc
	v_mov_b32_e32 v6, s1
	ds_read_b32 v6, v6
	s_mov_b32 s5, s9
	s_cmp_le_i32 s10, s4
	s_mov_b32 s2, s10
	s_waitcnt lgkmcnt(0)
	v_mul_f32_e32 v4, v4, v6
	global_store_dword v[2:3], v4, off
	s_waitcnt vmcnt(1)
	v_mul_f32_e32 v2, s18, v5
	s_cbranch_scc1 .LBB42_78
.LBB42_86:                              ;   Parent Loop BB42_79 Depth=1
                                        ; =>  This Inner Loop Header: Depth=2
	s_lshl_b64 s[12:13], s[2:3], 2
	v_mov_b32_e32 v4, s13
	v_add_co_u32_e32 v3, vcc, s12, v32
	v_addc_co_u32_e32 v4, vcc, v33, v4, vcc
	global_load_dword v3, v[3:4], off
	v_mov_b32_e32 v4, s5
	ds_read_b32 v4, v4
	s_add_i32 s2, s2, -1
	s_addk_i32 s5, 0xff00
	s_cmp_gt_i32 s2, s4
	s_waitcnt vmcnt(0) lgkmcnt(0)
	v_fma_f32 v2, -v3, v4, v2
	s_cbranch_scc1 .LBB42_86
	s_branch .LBB42_78
.LBB42_87:
	s_endpgm
	.section	.rodata,"a",@progbits
	.p2align	6, 0x0
	.amdhsa_kernel _ZL30rocblas_trsm_small_left_deviceILi64ELi32ELb0EffPKfPfEv13rocblas_fill_18rocblas_operation_17rocblas_diagonal_iiT3_T4_lilT5_lili
		.amdhsa_group_segment_fixed_size 16384
		.amdhsa_private_segment_fixed_size 0
		.amdhsa_kernarg_size 352
		.amdhsa_user_sgpr_count 6
		.amdhsa_user_sgpr_private_segment_buffer 1
		.amdhsa_user_sgpr_dispatch_ptr 0
		.amdhsa_user_sgpr_queue_ptr 0
		.amdhsa_user_sgpr_kernarg_segment_ptr 1
		.amdhsa_user_sgpr_dispatch_id 0
		.amdhsa_user_sgpr_flat_scratch_init 0
		.amdhsa_user_sgpr_private_segment_size 0
		.amdhsa_uses_dynamic_stack 0
		.amdhsa_system_sgpr_private_segment_wavefront_offset 0
		.amdhsa_system_sgpr_workgroup_id_x 1
		.amdhsa_system_sgpr_workgroup_id_y 0
		.amdhsa_system_sgpr_workgroup_id_z 1
		.amdhsa_system_sgpr_workgroup_info 0
		.amdhsa_system_vgpr_workitem_id 0
		.amdhsa_next_free_vgpr 129
		.amdhsa_next_free_sgpr 98
		.amdhsa_reserve_vcc 1
		.amdhsa_reserve_flat_scratch 0
		.amdhsa_float_round_mode_32 0
		.amdhsa_float_round_mode_16_64 0
		.amdhsa_float_denorm_mode_32 3
		.amdhsa_float_denorm_mode_16_64 3
		.amdhsa_dx10_clamp 1
		.amdhsa_ieee_mode 1
		.amdhsa_fp16_overflow 0
		.amdhsa_exception_fp_ieee_invalid_op 0
		.amdhsa_exception_fp_denorm_src 0
		.amdhsa_exception_fp_ieee_div_zero 0
		.amdhsa_exception_fp_ieee_overflow 0
		.amdhsa_exception_fp_ieee_underflow 0
		.amdhsa_exception_fp_ieee_inexact 0
		.amdhsa_exception_int_div_zero 0
	.end_amdhsa_kernel
	.section	.text._ZL30rocblas_trsm_small_left_deviceILi64ELi32ELb0EffPKfPfEv13rocblas_fill_18rocblas_operation_17rocblas_diagonal_iiT3_T4_lilT5_lili,"axG",@progbits,_ZL30rocblas_trsm_small_left_deviceILi64ELi32ELb0EffPKfPfEv13rocblas_fill_18rocblas_operation_17rocblas_diagonal_iiT3_T4_lilT5_lili,comdat
.Lfunc_end42:
	.size	_ZL30rocblas_trsm_small_left_deviceILi64ELi32ELb0EffPKfPfEv13rocblas_fill_18rocblas_operation_17rocblas_diagonal_iiT3_T4_lilT5_lili, .Lfunc_end42-_ZL30rocblas_trsm_small_left_deviceILi64ELi32ELb0EffPKfPfEv13rocblas_fill_18rocblas_operation_17rocblas_diagonal_iiT3_T4_lilT5_lili
                                        ; -- End function
	.set _ZL30rocblas_trsm_small_left_deviceILi64ELi32ELb0EffPKfPfEv13rocblas_fill_18rocblas_operation_17rocblas_diagonal_iiT3_T4_lilT5_lili.num_vgpr, 108
	.set _ZL30rocblas_trsm_small_left_deviceILi64ELi32ELb0EffPKfPfEv13rocblas_fill_18rocblas_operation_17rocblas_diagonal_iiT3_T4_lilT5_lili.num_agpr, 0
	.set _ZL30rocblas_trsm_small_left_deviceILi64ELi32ELb0EffPKfPfEv13rocblas_fill_18rocblas_operation_17rocblas_diagonal_iiT3_T4_lilT5_lili.numbered_sgpr, 24
	.set _ZL30rocblas_trsm_small_left_deviceILi64ELi32ELb0EffPKfPfEv13rocblas_fill_18rocblas_operation_17rocblas_diagonal_iiT3_T4_lilT5_lili.num_named_barrier, 0
	.set _ZL30rocblas_trsm_small_left_deviceILi64ELi32ELb0EffPKfPfEv13rocblas_fill_18rocblas_operation_17rocblas_diagonal_iiT3_T4_lilT5_lili.private_seg_size, 0
	.set _ZL30rocblas_trsm_small_left_deviceILi64ELi32ELb0EffPKfPfEv13rocblas_fill_18rocblas_operation_17rocblas_diagonal_iiT3_T4_lilT5_lili.uses_vcc, 1
	.set _ZL30rocblas_trsm_small_left_deviceILi64ELi32ELb0EffPKfPfEv13rocblas_fill_18rocblas_operation_17rocblas_diagonal_iiT3_T4_lilT5_lili.uses_flat_scratch, 0
	.set _ZL30rocblas_trsm_small_left_deviceILi64ELi32ELb0EffPKfPfEv13rocblas_fill_18rocblas_operation_17rocblas_diagonal_iiT3_T4_lilT5_lili.has_dyn_sized_stack, 0
	.set _ZL30rocblas_trsm_small_left_deviceILi64ELi32ELb0EffPKfPfEv13rocblas_fill_18rocblas_operation_17rocblas_diagonal_iiT3_T4_lilT5_lili.has_recursion, 0
	.set _ZL30rocblas_trsm_small_left_deviceILi64ELi32ELb0EffPKfPfEv13rocblas_fill_18rocblas_operation_17rocblas_diagonal_iiT3_T4_lilT5_lili.has_indirect_call, 0
	.section	.AMDGPU.csdata,"",@progbits
; Kernel info:
; codeLenInByte = 5824
; TotalNumSgprs: 28
; NumVgprs: 108
; ScratchSize: 0
; MemoryBound: 0
; FloatMode: 240
; IeeeMode: 1
; LDSByteSize: 16384 bytes/workgroup (compile time only)
; SGPRBlocks: 12
; VGPRBlocks: 32
; NumSGPRsForWavesPerEU: 102
; NumVGPRsForWavesPerEU: 129
; Occupancy: 1
; WaveLimiterHint : 0
; COMPUTE_PGM_RSRC2:SCRATCH_EN: 0
; COMPUTE_PGM_RSRC2:USER_SGPR: 6
; COMPUTE_PGM_RSRC2:TRAP_HANDLER: 0
; COMPUTE_PGM_RSRC2:TGID_X_EN: 1
; COMPUTE_PGM_RSRC2:TGID_Y_EN: 0
; COMPUTE_PGM_RSRC2:TGID_Z_EN: 1
; COMPUTE_PGM_RSRC2:TIDIG_COMP_CNT: 0
	.section	.text._ZL38rocblas_trsm_small_left_device_sharedBILi64ELi32ELb1EffPKfPfEv13rocblas_fill_18rocblas_operation_17rocblas_diagonal_iiT3_T4_lilT5_lili,"axG",@progbits,_ZL38rocblas_trsm_small_left_device_sharedBILi64ELi32ELb1EffPKfPfEv13rocblas_fill_18rocblas_operation_17rocblas_diagonal_iiT3_T4_lilT5_lili,comdat
	.globl	_ZL38rocblas_trsm_small_left_device_sharedBILi64ELi32ELb1EffPKfPfEv13rocblas_fill_18rocblas_operation_17rocblas_diagonal_iiT3_T4_lilT5_lili ; -- Begin function _ZL38rocblas_trsm_small_left_device_sharedBILi64ELi32ELb1EffPKfPfEv13rocblas_fill_18rocblas_operation_17rocblas_diagonal_iiT3_T4_lilT5_lili
	.p2align	8
	.type	_ZL38rocblas_trsm_small_left_device_sharedBILi64ELi32ELb1EffPKfPfEv13rocblas_fill_18rocblas_operation_17rocblas_diagonal_iiT3_T4_lilT5_lili,@function
_ZL38rocblas_trsm_small_left_device_sharedBILi64ELi32ELb1EffPKfPfEv13rocblas_fill_18rocblas_operation_17rocblas_diagonal_iiT3_T4_lilT5_lili: ; @_ZL38rocblas_trsm_small_left_device_sharedBILi64ELi32ELb1EffPKfPfEv13rocblas_fill_18rocblas_operation_17rocblas_diagonal_iiT3_T4_lilT5_lili
; %bb.0:
	s_load_dwordx4 s[8:11], s[4:5], 0x4
	s_load_dword s17, s[4:5], 0x14
	s_load_dwordx4 s[0:3], s[4:5], 0x30
	s_load_dwordx2 s[12:13], s[4:5], 0x40
	v_lshlrev_b32_e32 v34, 2, v0
	s_waitcnt lgkmcnt(0)
	s_min_i32 s16, s10, 64
	v_cmp_gt_i32_e32 vcc, s16, v0
	s_and_saveexec_b64 s[14:15], vcc
	s_cbranch_execz .LBB43_6
; %bb.1:
	s_load_dword s18, s[4:5], 0x28
	s_load_dwordx4 s[20:23], s[4:5], 0x18
	s_mul_i32 s1, s1, s7
	s_mul_hi_u32 s19, s0, s7
	s_add_i32 s1, s19, s1
	s_mul_i32 s0, s0, s7
	s_waitcnt lgkmcnt(0)
	s_ashr_i32 s19, s18, 31
	s_lshl_b64 s[0:1], s[0:1], 2
	s_add_u32 s20, s20, s0
	s_addc_u32 s21, s21, s1
	s_lshl_b64 s[0:1], s[22:23], 2
	s_add_u32 s0, s20, s0
	s_addc_u32 s1, s21, s1
	v_mov_b32_e32 v2, s1
	v_add_co_u32_e32 v1, vcc, s0, v34
	s_lshl_b64 s[0:1], s[18:19], 2
	v_addc_co_u32_e32 v2, vcc, 0, v2, vcc
	v_mov_b32_e32 v3, s1
	v_mov_b32_e32 v4, v34
	s_mov_b32 s1, s16
.LBB43_2:                               ; =>This Inner Loop Header: Depth=1
	global_load_dword v5, v[1:2], off
	v_add_co_u32_e32 v1, vcc, s0, v1
	s_add_i32 s1, s1, -1
	v_addc_co_u32_e32 v2, vcc, v2, v3, vcc
	s_cmp_eq_u32 s1, 0
	s_waitcnt vmcnt(0)
	ds_write_b32 v4, v5
	v_add_u32_e32 v4, 0x100, v4
	s_cbranch_scc0 .LBB43_2
; %bb.3:
	v_lshlrev_b32_e32 v1, 8, v0
	s_cmpk_lg_i32 s9, 0x84
	v_mov_b32_e32 v2, 1.0
	v_add_u32_e32 v1, v34, v1
	s_cbranch_scc0 .LBB43_5
; %bb.4:
	ds_read_b32 v2, v1
	s_waitcnt lgkmcnt(0)
	v_div_scale_f32 v3, s[0:1], v2, v2, 1.0
	v_div_scale_f32 v4, vcc, 1.0, v2, 1.0
	v_rcp_f32_e32 v5, v3
	v_fma_f32 v6, -v3, v5, 1.0
	v_fmac_f32_e32 v5, v6, v5
	v_mul_f32_e32 v6, v4, v5
	v_fma_f32 v7, -v3, v6, v4
	v_fmac_f32_e32 v6, v7, v5
	v_fma_f32 v3, -v3, v6, v4
	v_div_fmas_f32 v3, v3, v5, v6
	v_div_fixup_f32 v2, v3, v2, 1.0
.LBB43_5:
	ds_write_b32 v1, v2
.LBB43_6:
	s_or_b64 exec, exec, s[14:15]
	s_load_dword s0, s[4:5], 0x60
	s_load_dwordx2 s[18:19], s[4:5], 0x50
	s_load_dword s14, s[4:5], 0x48
	s_waitcnt lgkmcnt(0)
	s_mul_i32 s1, s19, s7
	s_mul_hi_u32 s5, s18, s7
	s_mul_i32 s4, s18, s7
	s_add_i32 s5, s5, s1
	s_lshl_b64 s[4:5], s[4:5], 2
	s_add_u32 s1, s2, s4
	s_addc_u32 s4, s3, s5
	s_lshl_b64 s[2:3], s[12:13], 2
	s_add_u32 s2, s1, s2
	s_addc_u32 s3, s4, s3
	s_lshl_b32 s4, s6, 6
	s_add_i32 s0, s0, -1
	s_sub_i32 s1, s11, s4
	s_cmp_ge_u32 s6, s0
	s_cselect_b32 s5, s1, 64
	s_mul_hi_i32 s1, s14, s4
	s_mul_i32 s0, s14, s4
	s_lshl_b64 s[0:1], s[0:1], 2
	s_add_u32 s11, s2, s0
	s_addc_u32 s12, s3, s1
	s_cmp_gt_i32 s10, 0
	v_cmp_gt_i32_e64 s[0:1], s5, v0
	s_cselect_b64 s[2:3], -1, 0
	s_and_b64 s[6:7], s[0:1], s[2:3]
	s_and_saveexec_b64 s[4:5], s[6:7]
	s_cbranch_execz .LBB43_9
; %bb.7:
	v_mad_i64_i32 v[1:2], s[6:7], s14, v0, 0
	v_mov_b32_e32 v3, s12
	s_mov_b32 s6, s16
	v_lshlrev_b64 v[1:2], 2, v[1:2]
	v_add_co_u32_e32 v1, vcc, s11, v1
	v_addc_co_u32_e32 v2, vcc, v3, v2, vcc
	v_mov_b32_e32 v3, 0x4000
	v_lshl_or_b32 v3, v0, 2, v3
.LBB43_8:                               ; =>This Inner Loop Header: Depth=1
	global_load_dword v4, v[1:2], off
	s_add_i32 s6, s6, -1
	v_add_co_u32_e32 v1, vcc, 4, v1
	v_addc_co_u32_e32 v2, vcc, 0, v2, vcc
	s_cmp_lg_u32 s6, 0
	s_waitcnt vmcnt(0)
	v_mul_f32_e32 v4, s17, v4
	ds_write_b32 v3, v4
	v_add_u32_e32 v3, 0x100, v3
	s_cbranch_scc1 .LBB43_8
.LBB43_9:
	s_or_b64 exec, exec, s[4:5]
	v_mov_b32_e32 v1, 0x4000
	s_cmpk_eq_i32 s8, 0x6f
	v_lshl_or_b32 v33, v0, 2, v1
	s_mov_b64 s[4:5], -1
	s_waitcnt lgkmcnt(0)
	; wave barrier
	s_cbranch_scc1 .LBB43_52
; %bb.10:
	s_add_i32 s13, s16, -1
	s_cmp_lt_i32 s10, 32
	s_cbranch_scc1 .LBB43_26
; %bb.11:
	v_lshl_or_b32 v1, s16, 8, v34
	s_lshl_b32 s15, s16, 2
	v_add_u32_e32 v35, 0x3f00, v1
	s_addk_i32 s15, 0xe0fc
	s_mov_b32 s4, s13
.LBB43_12:                              ; =>This Loop Header: Depth=1
                                        ;     Child Loop BB43_14 Depth 2
                                        ;     Child Loop BB43_16 Depth 2
                                        ;       Child Loop BB43_18 Depth 3
                                        ;       Child Loop BB43_22 Depth 3
	s_lshl_b32 s18, s4, 8
	v_add_u32_e32 v25, s18, v33
	v_add_u32_e32 v2, 0xffffff00, v25
	;; [unrolled: 1-line block ×31, first 2 shown]
	ds_read_b32 v1, v25
	ds_read_b32 v2, v2
	;; [unrolled: 1-line block ×24, first 2 shown]
	v_add_u32_e32 v36, 0xffffe100, v25
	ds_read_b32 v25, v26
	ds_read_b32 v26, v27
	;; [unrolled: 1-line block ×8, first 2 shown]
	s_mov_b32 s17, s4
	s_cmp_le_i32 s13, s4
	s_cbranch_scc1 .LBB43_15
; %bb.13:                               ;   in Loop: Header=BB43_12 Depth=1
	s_add_i32 s4, s15, s18
	v_mov_b32_e32 v36, v35
	s_mov_b32 s5, s13
.LBB43_14:                              ;   Parent Loop BB43_12 Depth=1
                                        ; =>  This Inner Loop Header: Depth=2
	v_mov_b32_e32 v67, s4
	ds_read_b32 v69, v36
	ds_read2st64_b32 v[37:38], v67 offset0:30 offset1:31
	ds_read2st64_b32 v[39:40], v67 offset0:28 offset1:29
	;; [unrolled: 1-line block ×15, first 2 shown]
	ds_read2st64_b32 v[67:68], v67 offset1:1
	s_add_i32 s5, s5, -1
	s_add_i32 s4, s4, -4
	v_add_u32_e32 v36, 0xffffff00, v36
	s_cmp_le_i32 s5, s17
	s_waitcnt lgkmcnt(14)
	v_fma_f32 v1, -v69, v38, v1
	v_fma_f32 v2, -v69, v37, v2
	;; [unrolled: 1-line block ×4, first 2 shown]
	s_waitcnt lgkmcnt(13)
	v_fma_f32 v5, -v69, v42, v5
	v_fma_f32 v6, -v69, v41, v6
	s_waitcnt lgkmcnt(12)
	v_fma_f32 v7, -v69, v44, v7
	v_fma_f32 v8, -v69, v43, v8
	;; [unrolled: 3-line block ×14, first 2 shown]
	s_cbranch_scc0 .LBB43_14
.LBB43_15:                              ;   in Loop: Header=BB43_12 Depth=1
	s_mul_i32 s19, s17, 0x104
	s_mov_b64 s[4:5], 0
	s_mov_b32 s20, s19
.LBB43_16:                              ;   Parent Loop BB43_12 Depth=1
                                        ; =>  This Loop Header: Depth=2
                                        ;       Child Loop BB43_18 Depth 3
                                        ;       Child Loop BB43_22 Depth 3
	s_cmp_eq_u32 s4, 0
	s_cbranch_scc1 .LBB43_20
; %bb.17:                               ;   in Loop: Header=BB43_16 Depth=2
	s_mov_b64 s[6:7], s[4:5]
	s_mov_b64 s[8:9], 0
	s_mov_b32 s7, s20
.LBB43_18:                              ;   Parent Loop BB43_12 Depth=1
                                        ;     Parent Loop BB43_16 Depth=2
                                        ; =>    This Inner Loop Header: Depth=3
	v_mov_b32_e32 v37, s7
	s_waitcnt lgkmcnt(0)
	s_set_gpr_idx_on s8, gpr_idx(SRC0)
	v_mov_b32_e32 v36, v1
	s_set_gpr_idx_off
	ds_read_b32 v37, v37
	s_add_u32 s8, s8, 1
	s_addc_u32 s9, s9, 0
	s_add_i32 s7, s7, -4
	s_set_gpr_idx_on s4, gpr_idx(SRC0)
	v_mov_b32_e32 v38, v1
	s_set_gpr_idx_off
	s_cmp_eq_u32 s4, s8
	s_waitcnt lgkmcnt(0)
	v_fma_f32 v36, -v36, v37, v38
	s_set_gpr_idx_on s4, gpr_idx(DST)
	v_mov_b32_e32 v1, v36
	s_set_gpr_idx_off
	s_cbranch_scc0 .LBB43_18
; %bb.19:                               ;   in Loop: Header=BB43_16 Depth=2
	s_sub_i32 s8, s17, s4
	s_lshl_b32 s7, s8, 8
	s_mulk_i32 s8, 0x104
	s_branch .LBB43_21
.LBB43_20:                              ;   in Loop: Header=BB43_16 Depth=2
	s_mov_b64 s[6:7], 0
	s_mov_b32 s7, s18
	s_mov_b32 s8, s19
.LBB43_21:                              ;   in Loop: Header=BB43_16 Depth=2
	v_mov_b32_e32 v36, s8
	ds_read_b32 v36, v36
	s_waitcnt lgkmcnt(1)
	s_set_gpr_idx_on s6, gpr_idx(SRC0)
	v_mov_b32_e32 v38, v1
	s_set_gpr_idx_off
	v_add_u32_e32 v37, s7, v33
	s_or_b32 s8, s4, 1
	s_add_u32 s9, s4, 1
	s_waitcnt lgkmcnt(0)
	v_mul_f32_e32 v36, v38, v36
	ds_write_b32 v37, v36
	s_set_gpr_idx_on s6, gpr_idx(DST)
	v_mov_b32_e32 v1, v36
	s_set_gpr_idx_off
	s_mov_b64 s[6:7], 0
	s_movk_i32 s21, 0xff00
.LBB43_22:                              ;   Parent Loop BB43_12 Depth=1
                                        ;     Parent Loop BB43_16 Depth=2
                                        ; =>    This Inner Loop Header: Depth=3
	s_add_i32 s22, s20, s21
	v_mov_b32_e32 v37, s22
	s_set_gpr_idx_on s6, gpr_idx(SRC0)
	v_mov_b32_e32 v36, v1
	s_set_gpr_idx_off
	ds_read_b32 v37, v37
	s_add_u32 s6, s6, 1
	s_set_gpr_idx_on s8, gpr_idx(SRC0)
	v_mov_b32_e32 v38, v1
	s_set_gpr_idx_off
	s_addc_u32 s7, s7, 0
	s_add_i32 s21, s21, -4
	s_cmp_lg_u32 s9, s6
	s_waitcnt lgkmcnt(0)
	v_fma_f32 v36, -v36, v37, v38
	s_set_gpr_idx_on s8, gpr_idx(DST)
	v_mov_b32_e32 v1, v36
	s_set_gpr_idx_off
	s_cbranch_scc1 .LBB43_22
; %bb.23:                               ;   in Loop: Header=BB43_16 Depth=2
	s_sub_i32 s6, s17, s8
	s_mul_i32 s7, s6, 0x104
	v_mov_b32_e32 v37, s7
	ds_read_b32 v37, v37
	s_add_u32 s4, s4, 2
	s_addc_u32 s5, s5, 0
	s_addk_i32 s20, 0xfe00
	v_lshl_add_u32 v38, s6, 8, v33
	s_waitcnt lgkmcnt(0)
	v_mul_f32_e32 v36, v36, v37
	s_cmp_eq_u32 s4, 32
	s_set_gpr_idx_on s8, gpr_idx(DST)
	v_mov_b32_e32 v1, v36
	s_set_gpr_idx_off
	ds_write_b32 v38, v36
	s_cbranch_scc0 .LBB43_16
; %bb.24:                               ;   in Loop: Header=BB43_12 Depth=1
	s_cmp_lt_i32 s17, 63
	s_mov_b32 s4, 31
	s_cbranch_scc0 .LBB43_12
; %bb.25:
	s_sub_i32 s4, s17, 32
	s_cmp_gt_i32 s4, -1
	s_cbranch_scc1 .LBB43_27
	s_branch .LBB43_51
.LBB43_26:
	s_mov_b32 s4, s13
	s_cmp_gt_i32 s4, -1
	s_cbranch_scc0 .LBB43_51
.LBB43_27:
	s_cmp_lt_u32 s4, 3
	s_cbranch_scc1 .LBB43_33
; %bb.28:
	s_lshl_b32 s5, s4, 8
	s_lshl_b32 s6, s16, 2
	v_lshl_or_b32 v1, s16, 8, v34
	s_add_i32 s5, s5, s6
	v_add_u32_e32 v1, 0x3f00, v1
	s_addk_i32 s5, 0xfcfc
.LBB43_29:                              ; =>This Loop Header: Depth=1
                                        ;     Child Loop BB43_30 Depth 2
	v_lshl_add_u32 v3, s4, 8, v33
	v_add_u32_e32 v2, 0xffffff00, v3
	v_add_u32_e32 v4, 0xfffffe00, v3
	;; [unrolled: 1-line block ×3, first 2 shown]
	ds_read_b32 v6, v3
	ds_read_b32 v5, v2
	;; [unrolled: 1-line block ×4, first 2 shown]
	s_cmp_le_i32 s13, s4
	s_mov_b32 s6, s5
	v_mov_b32_e32 v7, v1
	s_mov_b32 s7, s13
	s_cbranch_scc1 .LBB43_31
.LBB43_30:                              ;   Parent Loop BB43_29 Depth=1
                                        ; =>  This Inner Loop Header: Depth=2
	v_mov_b32_e32 v10, s6
	ds_read_b32 v12, v7
	ds_read2st64_b32 v[8:9], v10 offset0:2 offset1:3
	ds_read2st64_b32 v[10:11], v10 offset1:1
	s_add_i32 s7, s7, -1
	s_add_i32 s6, s6, -4
	v_add_u32_e32 v7, 0xffffff00, v7
	s_cmp_gt_i32 s7, s4
	s_waitcnt lgkmcnt(1)
	v_fma_f32 v6, -v12, v9, v6
	v_fma_f32 v5, -v12, v8, v5
	s_waitcnt lgkmcnt(0)
	v_fma_f32 v4, -v12, v11, v4
	v_fma_f32 v2, -v12, v10, v2
	s_cbranch_scc1 .LBB43_30
.LBB43_31:                              ;   in Loop: Header=BB43_29 Depth=1
	s_mul_i32 s6, s4, 0x104
	v_mov_b32_e32 v7, s6
	s_add_i32 s6, s4, -1
	s_lshl_b32 s7, s6, 8
	s_lshl_b32 s6, s6, 2
	s_add_i32 s6, s7, s6
	ds_read_b32 v11, v7
	v_mov_b32_e32 v7, s6
	s_add_i32 s6, s4, -2
	s_lshl_b32 s8, s6, 8
	s_lshl_b32 s9, s4, 2
	;; [unrolled: 1-line block ×3, first 2 shown]
	s_add_i32 s15, s8, s9
	s_add_i32 s6, s8, s6
	v_mov_b32_e32 v9, s15
	v_mov_b32_e32 v10, s6
	ds_read2_b32 v[7:8], v7 offset1:1
	ds_read_b32 v12, v9
	ds_read2_b32 v[9:10], v10 offset1:1
	s_waitcnt lgkmcnt(3)
	v_mul_f32_e32 v11, v6, v11
	ds_write_b32 v3, v11
	s_waitcnt lgkmcnt(3)
	v_fma_f32 v3, -v11, v8, v5
	s_add_i32 s6, s4, -3
	v_mul_f32_e32 v7, v3, v7
	v_add_u32_e32 v3, s7, v33
	s_lshl_b32 s7, s6, 8
	ds_write_b32 v3, v7
	s_waitcnt lgkmcnt(3)
	v_fma_f32 v3, -v11, v12, v4
	s_add_i32 s9, s7, s9
	s_waitcnt lgkmcnt(2)
	v_fma_f32 v3, -v7, v10, v3
	s_add_i32 s9, s9, -4
	v_mul_f32_e32 v8, v3, v9
	v_mov_b32_e32 v3, s9
	s_lshl_b32 s6, s6, 2
	ds_read2_b32 v[3:4], v3 offset1:1
	s_add_i32 s6, s7, s6
	v_mov_b32_e32 v5, s6
	ds_read2_b32 v[5:6], v5 offset1:1
	s_add_i32 s6, s4, -4
	s_waitcnt lgkmcnt(1)
	v_fma_f32 v2, -v11, v4, v2
	v_fma_f32 v2, -v7, v3, v2
	s_addk_i32 s5, 0xfc00
	s_waitcnt lgkmcnt(0)
	v_fma_f32 v2, -v8, v6, v2
	v_add_u32_e32 v9, s8, v33
	v_mul_f32_e32 v2, v2, v5
	v_add_u32_e32 v3, s7, v33
	s_cmp_gt_i32 s4, 6
	ds_write_b32 v9, v8
	ds_write_b32 v3, v2
	s_cbranch_scc0 .LBB43_34
; %bb.32:                               ;   in Loop: Header=BB43_29 Depth=1
	s_mov_b32 s4, s6
	s_branch .LBB43_29
.LBB43_33:
	s_mov_b32 s6, s4
.LBB43_34:
	s_cmp_lt_i32 s6, 0
	s_cbranch_scc1 .LBB43_51
; %bb.35:
	s_and_b32 s4, s6, 3
	s_cmp_eq_u32 s4, 3
	s_mov_b32 s4, s6
	s_cbranch_scc1 .LBB43_40
; %bb.36:
	s_add_i32 s4, s6, 1
	s_and_b32 s5, s4, 3
	s_lshl_b32 s4, s6, 8
	s_lshl_b32 s7, s16, 2
	s_add_i32 s4, s4, s7
	v_lshl_or_b32 v1, s16, 8, v34
	s_add_i32 s7, s4, -4
	v_add_u32_e32 v1, 0x3f00, v1
	s_mov_b32 s8, 0
	s_mov_b32 s4, s6
	s_branch .LBB43_38
.LBB43_37:                              ;   in Loop: Header=BB43_38 Depth=1
	s_mul_i32 s9, s4, 0x104
	v_mov_b32_e32 v4, s9
	ds_read_b32 v4, v4
	s_add_i32 s4, s4, -1
	s_add_i32 s8, s8, 1
	s_addk_i32 s7, 0xff00
	s_cmp_lg_u32 s8, s5
	s_waitcnt lgkmcnt(0)
	v_mul_f32_e32 v3, v3, v4
	ds_write_b32 v2, v3
	s_cbranch_scc0 .LBB43_40
.LBB43_38:                              ; =>This Loop Header: Depth=1
                                        ;     Child Loop BB43_39 Depth 2
	s_lshl_b32 s9, s4, 8
	v_add_u32_e32 v2, s9, v33
	ds_read_b32 v3, v2
	s_cmp_le_i32 s13, s4
	v_mov_b32_e32 v4, v1
	s_mov_b32 s9, s7
	s_mov_b32 s15, s13
	s_cbranch_scc1 .LBB43_37
.LBB43_39:                              ;   Parent Loop BB43_38 Depth=1
                                        ; =>  This Inner Loop Header: Depth=2
	v_mov_b32_e32 v6, s9
	ds_read_b32 v5, v4
	ds_read_b32 v6, v6
	s_add_i32 s15, s15, -1
	s_add_i32 s9, s9, -4
	v_add_u32_e32 v4, 0xffffff00, v4
	s_cmp_gt_i32 s15, s4
	s_waitcnt lgkmcnt(0)
	v_fma_f32 v3, -v5, v6, v3
	s_cbranch_scc1 .LBB43_39
	s_branch .LBB43_37
.LBB43_40:
	s_cmp_lt_u32 s6, 3
	s_cbranch_scc1 .LBB43_51
; %bb.41:
	s_lshl_b32 s5, s4, 8
	s_lshl_b32 s6, s16, 2
	s_add_i32 s8, s5, s6
	v_lshl_or_b32 v1, s16, 8, v34
	s_add_i32 s5, s8, -4
	v_add_u32_e32 v1, 0x3f00, v1
	s_add_i32 s6, s8, 0xfffffefc
	s_add_i32 s7, s8, 0xfffffdfc
	s_addk_i32 s8, 0xfcfc
	s_branch .LBB43_43
.LBB43_42:                              ;   in Loop: Header=BB43_43 Depth=1
	s_addk_i32 s9, 0xfefc
	v_mov_b32_e32 v3, s9
	ds_read_b32 v3, v3
	s_add_i32 s9, s4, -4
	s_addk_i32 s5, 0xfc00
	s_addk_i32 s6, 0xfc00
	;; [unrolled: 1-line block ×4, first 2 shown]
	s_waitcnt lgkmcnt(0)
	v_mul_f32_e32 v3, v5, v3
	s_cmp_lt_i32 s4, 4
	s_mov_b32 s4, s9
	ds_write_b32 v2, v3
	s_cbranch_scc1 .LBB43_51
.LBB43_43:                              ; =>This Loop Header: Depth=1
                                        ;     Child Loop BB43_44 Depth 2
                                        ;     Child Loop BB43_46 Depth 2
	;; [unrolled: 1-line block ×4, first 2 shown]
	s_lshl_b32 s15, s4, 8
	v_add_u32_e32 v3, s15, v33
	ds_read_b32 v4, v3
	s_cmp_le_i32 s13, s4
	v_mov_b32_e32 v2, v1
	s_mov_b32 s9, s5
	s_mov_b32 s17, s13
	s_cbranch_scc1 .LBB43_45
.LBB43_44:                              ;   Parent Loop BB43_43 Depth=1
                                        ; =>  This Inner Loop Header: Depth=2
	v_mov_b32_e32 v6, s9
	ds_read_b32 v5, v2
	ds_read_b32 v6, v6
	s_add_i32 s17, s17, -1
	s_add_i32 s9, s9, -4
	v_add_u32_e32 v2, 0xffffff00, v2
	s_cmp_gt_i32 s17, s4
	s_waitcnt lgkmcnt(0)
	v_fma_f32 v4, -v5, v6, v4
	s_cbranch_scc1 .LBB43_44
.LBB43_45:                              ;   in Loop: Header=BB43_43 Depth=1
	s_mul_i32 s9, s4, 0x104
	v_mov_b32_e32 v2, s9
	ds_read_b32 v6, v2
	s_addk_i32 s15, 0xff00
	v_add_u32_e32 v2, s15, v33
	ds_read_b32 v5, v2
	s_cmp_le_i32 s16, s4
	s_waitcnt lgkmcnt(1)
	v_mul_f32_e32 v4, v4, v6
	ds_write_b32 v3, v4
	v_mov_b32_e32 v3, v1
	s_mov_b32 s15, s6
	s_mov_b32 s17, s16
	s_cbranch_scc1 .LBB43_47
.LBB43_46:                              ;   Parent Loop BB43_43 Depth=1
                                        ; =>  This Inner Loop Header: Depth=2
	v_mov_b32_e32 v6, s15
	ds_read_b32 v4, v3
	ds_read_b32 v6, v6
	s_add_i32 s17, s17, -1
	s_add_i32 s15, s15, -4
	v_add_u32_e32 v3, 0xffffff00, v3
	s_cmp_gt_i32 s17, s4
	s_waitcnt lgkmcnt(0)
	v_fma_f32 v5, -v4, v6, v5
	s_cbranch_scc1 .LBB43_46
.LBB43_47:                              ;   in Loop: Header=BB43_43 Depth=1
	s_addk_i32 s9, 0xfefc
	v_mov_b32_e32 v3, s9
	s_add_i32 s15, s4, -2
	ds_read_b32 v6, v3
	s_lshl_b32 s17, s15, 8
	v_add_u32_e32 v3, s17, v33
	ds_read_b32 v4, v3
	s_cmp_le_i32 s13, s15
	s_waitcnt lgkmcnt(1)
	v_mul_f32_e32 v5, v5, v6
	ds_write_b32 v2, v5
	v_mov_b32_e32 v2, v1
	s_mov_b32 s17, s7
	s_mov_b32 s18, s13
	s_cbranch_scc1 .LBB43_49
.LBB43_48:                              ;   Parent Loop BB43_43 Depth=1
                                        ; =>  This Inner Loop Header: Depth=2
	v_mov_b32_e32 v6, s17
	ds_read_b32 v5, v2
	ds_read_b32 v6, v6
	s_add_i32 s18, s18, -1
	s_add_i32 s17, s17, -4
	v_add_u32_e32 v2, 0xffffff00, v2
	s_cmp_gt_i32 s18, s15
	s_waitcnt lgkmcnt(0)
	v_fma_f32 v4, -v5, v6, v4
	s_cbranch_scc1 .LBB43_48
.LBB43_49:                              ;   in Loop: Header=BB43_43 Depth=1
	s_addk_i32 s9, 0xfefc
	v_mov_b32_e32 v2, s9
	s_add_i32 s15, s4, -3
	ds_read_b32 v6, v2
	s_lshl_b32 s17, s15, 8
	v_add_u32_e32 v2, s17, v33
	ds_read_b32 v5, v2
	s_cmp_le_i32 s13, s15
	s_waitcnt lgkmcnt(1)
	v_mul_f32_e32 v4, v4, v6
	ds_write_b32 v3, v4
	v_mov_b32_e32 v3, v1
	s_mov_b32 s17, s8
	s_mov_b32 s18, s13
	s_cbranch_scc1 .LBB43_42
.LBB43_50:                              ;   Parent Loop BB43_43 Depth=1
                                        ; =>  This Inner Loop Header: Depth=2
	v_mov_b32_e32 v6, s17
	ds_read_b32 v4, v3
	ds_read_b32 v6, v6
	s_add_i32 s18, s18, -1
	s_add_i32 s17, s17, -4
	v_add_u32_e32 v3, 0xffffff00, v3
	s_cmp_gt_i32 s18, s15
	s_waitcnt lgkmcnt(0)
	v_fma_f32 v5, -v4, v6, v5
	s_cbranch_scc1 .LBB43_50
	s_branch .LBB43_42
.LBB43_51:
	s_mov_b64 s[4:5], 0
.LBB43_52:
	s_and_b64 vcc, exec, s[4:5]
	s_cbranch_vccz .LBB43_82
; %bb.53:
	s_cmp_lt_i32 s10, 32
	s_cbranch_scc1 .LBB43_68
; %bb.54:
	v_mov_b32_e32 v1, 0x4000
	v_lshl_or_b32 v34, v0, 2, v1
	s_mov_b32 s10, 0
	s_mov_b32 s13, 0
	;; [unrolled: 1-line block ×3, first 2 shown]
.LBB43_55:                              ; =>This Loop Header: Depth=1
                                        ;     Child Loop BB43_57 Depth 2
                                        ;     Child Loop BB43_59 Depth 2
                                        ;       Child Loop BB43_61 Depth 3
                                        ;       Child Loop BB43_64 Depth 3
	v_lshl_add_u32 v31, s15, 8, v33
	ds_read2st64_b32 v[1:2], v31 offset1:1
	ds_read2st64_b32 v[3:4], v31 offset0:2 offset1:3
	ds_read2st64_b32 v[5:6], v31 offset0:4 offset1:5
	;; [unrolled: 1-line block ×15, first 2 shown]
	s_cmp_eq_u32 s15, 0
	s_cbranch_scc1 .LBB43_58
; %bb.56:                               ;   in Loop: Header=BB43_55 Depth=1
	v_mov_b32_e32 v35, v34
	s_mov_b32 s4, s13
	s_mov_b32 s5, s15
.LBB43_57:                              ;   Parent Loop BB43_55 Depth=1
                                        ; =>  This Inner Loop Header: Depth=2
	v_mov_b32_e32 v64, s4
	ds_read_b32 v68, v35
	ds_read_b128 v[36:39], v64
	ds_read_b128 v[40:43], v64 offset:16
	ds_read_b128 v[44:47], v64 offset:32
	ds_read_b128 v[48:51], v64 offset:48
	ds_read_b128 v[52:55], v64 offset:64
	ds_read_b128 v[56:59], v64 offset:80
	ds_read_b128 v[60:63], v64 offset:96
	ds_read_b128 v[64:67], v64 offset:112
	s_add_i32 s5, s5, -1
	s_addk_i32 s4, 0x100
	v_add_u32_e32 v35, 0x100, v35
	s_cmp_lg_u32 s5, 0
	s_waitcnt lgkmcnt(7)
	v_fma_f32 v1, -v68, v36, v1
	v_fma_f32 v2, -v68, v37, v2
	v_fma_f32 v3, -v68, v38, v3
	v_fma_f32 v4, -v68, v39, v4
	s_waitcnt lgkmcnt(6)
	v_fma_f32 v5, -v68, v40, v5
	v_fma_f32 v6, -v68, v41, v6
	v_fma_f32 v7, -v68, v42, v7
	v_fma_f32 v8, -v68, v43, v8
	;; [unrolled: 5-line block ×8, first 2 shown]
	s_cbranch_scc1 .LBB43_57
.LBB43_58:                              ;   in Loop: Header=BB43_55 Depth=1
	s_mov_b64 s[4:5], 0
	s_mov_b32 s17, s10
.LBB43_59:                              ;   Parent Loop BB43_55 Depth=1
                                        ; =>  This Loop Header: Depth=2
                                        ;       Child Loop BB43_61 Depth 3
                                        ;       Child Loop BB43_64 Depth 3
	s_cmp_eq_u32 s4, 0
	s_cbranch_scc1 .LBB43_62
; %bb.60:                               ;   in Loop: Header=BB43_59 Depth=2
	s_mov_b64 s[6:7], s[4:5]
	s_mov_b64 s[8:9], 0
	s_mov_b32 s7, s17
.LBB43_61:                              ;   Parent Loop BB43_55 Depth=1
                                        ;     Parent Loop BB43_59 Depth=2
                                        ; =>    This Inner Loop Header: Depth=3
	v_mov_b32_e32 v36, s7
	s_waitcnt lgkmcnt(0)
	s_set_gpr_idx_on s8, gpr_idx(SRC0)
	v_mov_b32_e32 v35, v1
	s_set_gpr_idx_off
	ds_read_b32 v36, v36
	s_add_u32 s8, s8, 1
	s_addc_u32 s9, s9, 0
	s_addk_i32 s7, 0x100
	s_set_gpr_idx_on s4, gpr_idx(SRC0)
	v_mov_b32_e32 v37, v1
	s_set_gpr_idx_off
	s_cmp_eq_u32 s4, s8
	s_waitcnt lgkmcnt(0)
	v_fma_f32 v35, -v35, v36, v37
	s_set_gpr_idx_on s4, gpr_idx(DST)
	v_mov_b32_e32 v1, v35
	s_set_gpr_idx_off
	s_cbranch_scc0 .LBB43_61
	s_branch .LBB43_63
.LBB43_62:                              ;   in Loop: Header=BB43_59 Depth=2
	s_mov_b64 s[6:7], 0
.LBB43_63:                              ;   in Loop: Header=BB43_59 Depth=2
	s_add_i32 s7, s4, s15
	s_mul_i32 s8, s7, 0x104
	v_mov_b32_e32 v35, s8
	ds_read_b32 v35, v35
	s_waitcnt lgkmcnt(1)
	s_set_gpr_idx_on s6, gpr_idx(SRC0)
	v_mov_b32_e32 v37, v1
	s_set_gpr_idx_off
	v_lshl_add_u32 v36, s7, 8, v33
	s_or_b32 s8, s4, 1
	s_add_u32 s9, s4, 1
	s_waitcnt lgkmcnt(0)
	v_mul_f32_e32 v35, v37, v35
	ds_write_b32 v36, v35
	s_set_gpr_idx_on s6, gpr_idx(DST)
	v_mov_b32_e32 v1, v35
	s_set_gpr_idx_off
	s_mov_b64 s[6:7], 0
	s_mov_b32 s18, 4
.LBB43_64:                              ;   Parent Loop BB43_55 Depth=1
                                        ;     Parent Loop BB43_59 Depth=2
                                        ; =>    This Inner Loop Header: Depth=3
	s_add_i32 s19, s17, s18
	v_mov_b32_e32 v36, s19
	s_set_gpr_idx_on s6, gpr_idx(SRC0)
	v_mov_b32_e32 v35, v1
	s_set_gpr_idx_off
	ds_read_b32 v36, v36
	s_add_u32 s6, s6, 1
	s_set_gpr_idx_on s8, gpr_idx(SRC0)
	v_mov_b32_e32 v37, v1
	s_set_gpr_idx_off
	s_addc_u32 s7, s7, 0
	s_addk_i32 s18, 0x100
	s_cmp_lg_u32 s9, s6
	s_waitcnt lgkmcnt(0)
	v_fma_f32 v35, -v35, v36, v37
	s_set_gpr_idx_on s8, gpr_idx(DST)
	v_mov_b32_e32 v1, v35
	s_set_gpr_idx_off
	s_cbranch_scc1 .LBB43_64
; %bb.65:                               ;   in Loop: Header=BB43_59 Depth=2
	s_add_i32 s6, s8, s15
	s_mul_i32 s7, s6, 0x104
	v_mov_b32_e32 v36, s7
	ds_read_b32 v36, v36
	s_add_u32 s4, s4, 2
	s_addc_u32 s5, s5, 0
	s_add_i32 s17, s17, 8
	v_lshl_add_u32 v37, s6, 8, v33
	s_waitcnt lgkmcnt(0)
	v_mul_f32_e32 v35, v35, v36
	s_cmp_eq_u32 s4, 32
	s_set_gpr_idx_on s8, gpr_idx(DST)
	v_mov_b32_e32 v1, v35
	s_set_gpr_idx_off
	ds_write_b32 v37, v35
	s_cbranch_scc0 .LBB43_59
; %bb.66:                               ;   in Loop: Header=BB43_55 Depth=1
	s_add_i32 s4, s15, 32
	s_add_i32 s5, s15, 63
	s_addk_i32 s13, 0x80
	s_addk_i32 s10, 0x2080
	s_cmp_ge_i32 s5, s16
	s_cbranch_scc1 .LBB43_69
; %bb.67:                               ;   in Loop: Header=BB43_55 Depth=1
	s_mov_b32 s15, s4
	s_branch .LBB43_55
.LBB43_68:
	s_mov_b32 s4, 0
.LBB43_69:
	s_cmp_lt_i32 s4, s16
	s_cbranch_scc0 .LBB43_82
; %bb.70:
	s_add_i32 s5, s4, 3
	s_cmp_ge_i32 s5, s16
	s_cbranch_scc1 .LBB43_76
; %bb.71:
	v_mov_b32_e32 v1, 0x4000
	s_lshl_b32 s5, s4, 2
	v_lshl_or_b32 v5, v0, 2, v1
.LBB43_72:                              ; =>This Loop Header: Depth=1
                                        ;     Child Loop BB43_73 Depth 2
	s_lshl_b32 s6, s4, 8
	v_add_u32_e32 v6, s6, v33
	ds_read2st64_b32 v[3:4], v6 offset1:1
	ds_read2st64_b32 v[1:2], v6 offset0:2 offset1:3
	s_cmp_eq_u32 s4, 0
	v_mov_b32_e32 v7, v5
	s_mov_b32 s7, s5
	s_mov_b32 s8, s4
	s_cbranch_scc1 .LBB43_74
.LBB43_73:                              ;   Parent Loop BB43_72 Depth=1
                                        ; =>  This Inner Loop Header: Depth=2
	v_mov_b32_e32 v10, s7
	ds_read_b32 v12, v7
	ds_read2_b32 v[8:9], v10 offset1:1
	ds_read2_b32 v[10:11], v10 offset0:2 offset1:3
	s_add_i32 s8, s8, -1
	s_addk_i32 s7, 0x100
	v_add_u32_e32 v7, 0x100, v7
	s_cmp_lg_u32 s8, 0
	s_waitcnt lgkmcnt(1)
	v_fma_f32 v3, -v12, v8, v3
	v_fma_f32 v4, -v12, v9, v4
	s_waitcnt lgkmcnt(0)
	v_fma_f32 v1, -v12, v10, v1
	v_fma_f32 v2, -v12, v11, v2
	s_cbranch_scc1 .LBB43_73
.LBB43_74:                              ;   in Loop: Header=BB43_72 Depth=1
	s_lshl_b32 s7, s4, 2
	s_add_i32 s8, s7, s6
	v_mov_b32_e32 v15, s8
	ds_read2_b32 v[7:8], v15 offset1:1
	ds_read2_b32 v[9:10], v15 offset0:65 offset1:66
	ds_read2_b32 v[11:12], v15 offset0:130 offset1:131
	;; [unrolled: 1-line block ×3, first 2 shown]
	s_addk_i32 s6, 0x100
	s_add_i32 s5, s5, 16
	s_waitcnt lgkmcnt(3)
	v_mul_f32_e32 v3, v3, v7
	v_fma_f32 v4, -v3, v8, v4
	s_waitcnt lgkmcnt(2)
	v_mul_f32_e32 v4, v4, v9
	v_add_u32_e32 v7, s6, v33
	s_add_i32 s6, s7, s6
	ds_write_b32 v7, v4
	v_mov_b32_e32 v7, s6
	ds_read_b32 v7, v7 offset:12
	ds_read_b32 v8, v15 offset:780
	s_waitcnt lgkmcnt(3)
	v_fma_f32 v1, -v3, v13, v1
	v_fma_f32 v1, -v4, v10, v1
	;; [unrolled: 1-line block ×3, first 2 shown]
	v_mul_f32_e32 v1, v1, v11
	s_waitcnt lgkmcnt(1)
	v_fma_f32 v2, -v4, v7, v2
	ds_write2st64_b32 v6, v3, v1 offset1:2
	v_fma_f32 v1, -v1, v12, v2
	s_add_i32 s6, s4, 4
	s_add_i32 s4, s4, 7
	s_waitcnt lgkmcnt(1)
	v_mul_f32_e32 v1, v1, v8
	s_cmp_lt_i32 s4, s16
	ds_write_b32 v6, v1 offset:768
	s_cbranch_scc0 .LBB43_77
; %bb.75:                               ;   in Loop: Header=BB43_72 Depth=1
	s_mov_b32 s4, s6
	s_branch .LBB43_72
.LBB43_76:
	s_mov_b32 s6, s4
.LBB43_77:
	s_cmp_ge_i32 s6, s16
	s_cbranch_scc1 .LBB43_82
; %bb.78:
	v_mov_b32_e32 v1, 0x4000
	s_lshl_b32 s4, s6, 2
	v_lshl_or_b32 v1, v0, 2, v1
	s_branch .LBB43_80
.LBB43_79:                              ;   in Loop: Header=BB43_80 Depth=1
	s_lshl_b32 s7, s6, 2
	s_add_i32 s5, s7, s5
	v_mov_b32_e32 v4, s5
	ds_read_b32 v4, v4
	s_add_i32 s6, s6, 1
	s_add_i32 s4, s4, 4
	s_cmp_ge_i32 s6, s16
	s_waitcnt lgkmcnt(0)
	v_mul_f32_e32 v3, v3, v4
	ds_write_b32 v2, v3
	s_cbranch_scc1 .LBB43_82
.LBB43_80:                              ; =>This Loop Header: Depth=1
                                        ;     Child Loop BB43_81 Depth 2
	s_lshl_b32 s5, s6, 8
	v_add_u32_e32 v2, s5, v33
	ds_read_b32 v3, v2
	s_cmp_eq_u32 s6, 0
	v_mov_b32_e32 v4, v1
	s_mov_b32 s7, s4
	s_mov_b32 s8, s6
	s_cbranch_scc1 .LBB43_79
.LBB43_81:                              ;   Parent Loop BB43_80 Depth=1
                                        ; =>  This Inner Loop Header: Depth=2
	v_mov_b32_e32 v6, s7
	ds_read_b32 v5, v4
	ds_read_b32 v6, v6
	s_add_i32 s8, s8, -1
	s_addk_i32 s7, 0x100
	v_add_u32_e32 v4, 0x100, v4
	s_cmp_lg_u32 s8, 0
	s_waitcnt lgkmcnt(0)
	v_fma_f32 v3, -v5, v6, v3
	s_cbranch_scc1 .LBB43_81
	s_branch .LBB43_79
.LBB43_82:
	s_waitcnt lgkmcnt(0)
	; wave barrier
	s_and_saveexec_b64 s[4:5], s[0:1]
	s_cbranch_execz .LBB43_86
; %bb.83:
	s_andn2_b64 vcc, exec, s[2:3]
	s_cbranch_vccnz .LBB43_86
; %bb.84:
	v_mad_i64_i32 v[1:2], s[0:1], s14, v0, 0
	v_mov_b32_e32 v3, s12
	v_lshlrev_b64 v[1:2], 2, v[1:2]
	v_add_co_u32_e32 v1, vcc, s11, v1
	v_addc_co_u32_e32 v2, vcc, v3, v2, vcc
	v_mov_b32_e32 v3, 0x4000
	v_lshl_or_b32 v0, v0, 2, v3
.LBB43_85:                              ; =>This Inner Loop Header: Depth=1
	ds_read_b32 v3, v0
	s_add_i32 s16, s16, -1
	v_add_u32_e32 v0, 0x100, v0
	s_cmp_lg_u32 s16, 0
	s_waitcnt lgkmcnt(0)
	global_store_dword v[1:2], v3, off
	v_add_co_u32_e32 v1, vcc, 4, v1
	v_addc_co_u32_e32 v2, vcc, 0, v2, vcc
	s_cbranch_scc1 .LBB43_85
.LBB43_86:
	s_endpgm
	.section	.rodata,"a",@progbits
	.p2align	6, 0x0
	.amdhsa_kernel _ZL38rocblas_trsm_small_left_device_sharedBILi64ELi32ELb1EffPKfPfEv13rocblas_fill_18rocblas_operation_17rocblas_diagonal_iiT3_T4_lilT5_lili
		.amdhsa_group_segment_fixed_size 32768
		.amdhsa_private_segment_fixed_size 0
		.amdhsa_kernarg_size 352
		.amdhsa_user_sgpr_count 6
		.amdhsa_user_sgpr_private_segment_buffer 1
		.amdhsa_user_sgpr_dispatch_ptr 0
		.amdhsa_user_sgpr_queue_ptr 0
		.amdhsa_user_sgpr_kernarg_segment_ptr 1
		.amdhsa_user_sgpr_dispatch_id 0
		.amdhsa_user_sgpr_flat_scratch_init 0
		.amdhsa_user_sgpr_private_segment_size 0
		.amdhsa_uses_dynamic_stack 0
		.amdhsa_system_sgpr_private_segment_wavefront_offset 0
		.amdhsa_system_sgpr_workgroup_id_x 1
		.amdhsa_system_sgpr_workgroup_id_y 0
		.amdhsa_system_sgpr_workgroup_id_z 1
		.amdhsa_system_sgpr_workgroup_info 0
		.amdhsa_system_vgpr_workitem_id 0
		.amdhsa_next_free_vgpr 129
		.amdhsa_next_free_sgpr 98
		.amdhsa_reserve_vcc 1
		.amdhsa_reserve_flat_scratch 0
		.amdhsa_float_round_mode_32 0
		.amdhsa_float_round_mode_16_64 0
		.amdhsa_float_denorm_mode_32 3
		.amdhsa_float_denorm_mode_16_64 3
		.amdhsa_dx10_clamp 1
		.amdhsa_ieee_mode 1
		.amdhsa_fp16_overflow 0
		.amdhsa_exception_fp_ieee_invalid_op 0
		.amdhsa_exception_fp_denorm_src 0
		.amdhsa_exception_fp_ieee_div_zero 0
		.amdhsa_exception_fp_ieee_overflow 0
		.amdhsa_exception_fp_ieee_underflow 0
		.amdhsa_exception_fp_ieee_inexact 0
		.amdhsa_exception_int_div_zero 0
	.end_amdhsa_kernel
	.section	.text._ZL38rocblas_trsm_small_left_device_sharedBILi64ELi32ELb1EffPKfPfEv13rocblas_fill_18rocblas_operation_17rocblas_diagonal_iiT3_T4_lilT5_lili,"axG",@progbits,_ZL38rocblas_trsm_small_left_device_sharedBILi64ELi32ELb1EffPKfPfEv13rocblas_fill_18rocblas_operation_17rocblas_diagonal_iiT3_T4_lilT5_lili,comdat
.Lfunc_end43:
	.size	_ZL38rocblas_trsm_small_left_device_sharedBILi64ELi32ELb1EffPKfPfEv13rocblas_fill_18rocblas_operation_17rocblas_diagonal_iiT3_T4_lilT5_lili, .Lfunc_end43-_ZL38rocblas_trsm_small_left_device_sharedBILi64ELi32ELb1EffPKfPfEv13rocblas_fill_18rocblas_operation_17rocblas_diagonal_iiT3_T4_lilT5_lili
                                        ; -- End function
	.set _ZL38rocblas_trsm_small_left_device_sharedBILi64ELi32ELb1EffPKfPfEv13rocblas_fill_18rocblas_operation_17rocblas_diagonal_iiT3_T4_lilT5_lili.num_vgpr, 70
	.set _ZL38rocblas_trsm_small_left_device_sharedBILi64ELi32ELb1EffPKfPfEv13rocblas_fill_18rocblas_operation_17rocblas_diagonal_iiT3_T4_lilT5_lili.num_agpr, 0
	.set _ZL38rocblas_trsm_small_left_device_sharedBILi64ELi32ELb1EffPKfPfEv13rocblas_fill_18rocblas_operation_17rocblas_diagonal_iiT3_T4_lilT5_lili.numbered_sgpr, 24
	.set _ZL38rocblas_trsm_small_left_device_sharedBILi64ELi32ELb1EffPKfPfEv13rocblas_fill_18rocblas_operation_17rocblas_diagonal_iiT3_T4_lilT5_lili.num_named_barrier, 0
	.set _ZL38rocblas_trsm_small_left_device_sharedBILi64ELi32ELb1EffPKfPfEv13rocblas_fill_18rocblas_operation_17rocblas_diagonal_iiT3_T4_lilT5_lili.private_seg_size, 0
	.set _ZL38rocblas_trsm_small_left_device_sharedBILi64ELi32ELb1EffPKfPfEv13rocblas_fill_18rocblas_operation_17rocblas_diagonal_iiT3_T4_lilT5_lili.uses_vcc, 1
	.set _ZL38rocblas_trsm_small_left_device_sharedBILi64ELi32ELb1EffPKfPfEv13rocblas_fill_18rocblas_operation_17rocblas_diagonal_iiT3_T4_lilT5_lili.uses_flat_scratch, 0
	.set _ZL38rocblas_trsm_small_left_device_sharedBILi64ELi32ELb1EffPKfPfEv13rocblas_fill_18rocblas_operation_17rocblas_diagonal_iiT3_T4_lilT5_lili.has_dyn_sized_stack, 0
	.set _ZL38rocblas_trsm_small_left_device_sharedBILi64ELi32ELb1EffPKfPfEv13rocblas_fill_18rocblas_operation_17rocblas_diagonal_iiT3_T4_lilT5_lili.has_recursion, 0
	.set _ZL38rocblas_trsm_small_left_device_sharedBILi64ELi32ELb1EffPKfPfEv13rocblas_fill_18rocblas_operation_17rocblas_diagonal_iiT3_T4_lilT5_lili.has_indirect_call, 0
	.section	.AMDGPU.csdata,"",@progbits
; Kernel info:
; codeLenInByte = 5116
; TotalNumSgprs: 28
; NumVgprs: 70
; ScratchSize: 0
; MemoryBound: 0
; FloatMode: 240
; IeeeMode: 1
; LDSByteSize: 32768 bytes/workgroup (compile time only)
; SGPRBlocks: 12
; VGPRBlocks: 32
; NumSGPRsForWavesPerEU: 102
; NumVGPRsForWavesPerEU: 129
; Occupancy: 1
; WaveLimiterHint : 0
; COMPUTE_PGM_RSRC2:SCRATCH_EN: 0
; COMPUTE_PGM_RSRC2:USER_SGPR: 6
; COMPUTE_PGM_RSRC2:TRAP_HANDLER: 0
; COMPUTE_PGM_RSRC2:TGID_X_EN: 1
; COMPUTE_PGM_RSRC2:TGID_Y_EN: 0
; COMPUTE_PGM_RSRC2:TGID_Z_EN: 1
; COMPUTE_PGM_RSRC2:TIDIG_COMP_CNT: 0
	.section	.text._ZL30rocblas_trsm_small_left_deviceILi64ELi32ELb1EffPKfPfEv13rocblas_fill_18rocblas_operation_17rocblas_diagonal_iiT3_T4_lilT5_lili,"axG",@progbits,_ZL30rocblas_trsm_small_left_deviceILi64ELi32ELb1EffPKfPfEv13rocblas_fill_18rocblas_operation_17rocblas_diagonal_iiT3_T4_lilT5_lili,comdat
	.globl	_ZL30rocblas_trsm_small_left_deviceILi64ELi32ELb1EffPKfPfEv13rocblas_fill_18rocblas_operation_17rocblas_diagonal_iiT3_T4_lilT5_lili ; -- Begin function _ZL30rocblas_trsm_small_left_deviceILi64ELi32ELb1EffPKfPfEv13rocblas_fill_18rocblas_operation_17rocblas_diagonal_iiT3_T4_lilT5_lili
	.p2align	8
	.type	_ZL30rocblas_trsm_small_left_deviceILi64ELi32ELb1EffPKfPfEv13rocblas_fill_18rocblas_operation_17rocblas_diagonal_iiT3_T4_lilT5_lili,@function
_ZL30rocblas_trsm_small_left_deviceILi64ELi32ELb1EffPKfPfEv13rocblas_fill_18rocblas_operation_17rocblas_diagonal_iiT3_T4_lilT5_lili: ; @_ZL30rocblas_trsm_small_left_deviceILi64ELi32ELb1EffPKfPfEv13rocblas_fill_18rocblas_operation_17rocblas_diagonal_iiT3_T4_lilT5_lili
; %bb.0:
	s_load_dwordx4 s[0:3], s[4:5], 0x4
	s_load_dword s16, s[4:5], 0x14
	s_load_dwordx4 s[8:11], s[4:5], 0x30
	s_load_dwordx2 s[12:13], s[4:5], 0x40
	s_waitcnt lgkmcnt(0)
	s_min_i32 s17, s2, 64
	v_cmp_gt_i32_e32 vcc, s17, v0
	s_and_saveexec_b64 s[14:15], vcc
	s_cbranch_execz .LBB44_6
; %bb.1:
	s_load_dword s18, s[4:5], 0x28
	s_load_dwordx4 s[20:23], s[4:5], 0x18
	s_mul_i32 s9, s9, s7
	s_mul_hi_u32 s19, s8, s7
	s_add_i32 s9, s19, s9
	s_mul_i32 s8, s8, s7
	s_waitcnt lgkmcnt(0)
	s_ashr_i32 s19, s18, 31
	s_lshl_b64 s[8:9], s[8:9], 2
	s_add_u32 s20, s20, s8
	s_addc_u32 s21, s21, s9
	s_lshl_b64 s[8:9], s[22:23], 2
	s_add_u32 s8, s20, s8
	s_addc_u32 s9, s21, s9
	v_lshlrev_b32_e32 v3, 2, v0
	v_mov_b32_e32 v2, s9
	v_add_co_u32_e32 v1, vcc, s8, v3
	s_lshl_b64 s[8:9], s[18:19], 2
	v_addc_co_u32_e32 v2, vcc, 0, v2, vcc
	v_mov_b32_e32 v4, s9
	v_mov_b32_e32 v5, v3
	s_mov_b32 s9, s17
.LBB44_2:                               ; =>This Inner Loop Header: Depth=1
	global_load_dword v6, v[1:2], off
	v_add_co_u32_e32 v1, vcc, s8, v1
	s_add_i32 s9, s9, -1
	v_addc_co_u32_e32 v2, vcc, v2, v4, vcc
	s_cmp_eq_u32 s9, 0
	s_waitcnt vmcnt(0)
	ds_write_b32 v5, v6
	v_add_u32_e32 v5, 0x100, v5
	s_cbranch_scc0 .LBB44_2
; %bb.3:
	v_lshlrev_b32_e32 v1, 8, v0
	s_cmpk_lg_i32 s1, 0x84
	v_mov_b32_e32 v2, 1.0
	v_add_u32_e32 v1, v3, v1
	s_cbranch_scc0 .LBB44_5
; %bb.4:
	ds_read_b32 v2, v1
	s_waitcnt lgkmcnt(0)
	v_div_scale_f32 v3, s[8:9], v2, v2, 1.0
	v_div_scale_f32 v4, vcc, 1.0, v2, 1.0
	v_rcp_f32_e32 v5, v3
	v_fma_f32 v6, -v3, v5, 1.0
	v_fmac_f32_e32 v5, v6, v5
	v_mul_f32_e32 v6, v4, v5
	v_fma_f32 v7, -v3, v6, v4
	v_fmac_f32_e32 v6, v7, v5
	v_fma_f32 v3, -v3, v6, v4
	v_div_fmas_f32 v3, v3, v5, v6
	v_div_fixup_f32 v2, v3, v2, 1.0
.LBB44_5:
	ds_write_b32 v1, v2
.LBB44_6:
	s_or_b64 exec, exec, s[14:15]
	s_load_dword s1, s[4:5], 0x60
	s_waitcnt lgkmcnt(0)
	; wave barrier
	s_add_i32 s8, s1, -1
	s_lshl_b32 s1, s6, 6
	s_sub_i32 s3, s3, s1
	s_cmp_ge_u32 s6, s8
	s_cselect_b32 s3, s3, 64
	v_cmp_gt_i32_e32 vcc, s3, v0
	s_and_saveexec_b64 s[8:9], vcc
	s_cbranch_execz .LBB44_80
; %bb.7:
	s_load_dwordx2 s[8:9], s[4:5], 0x50
	s_load_dword s3, s[4:5], 0x48
	v_add_u32_e32 v0, s1, v0
	s_waitcnt lgkmcnt(0)
	s_mul_i32 s1, s9, s7
	s_mul_hi_u32 s5, s8, s7
	s_mul_i32 s4, s8, s7
	s_add_i32 s5, s5, s1
	s_lshl_b64 s[4:5], s[4:5], 2
	s_add_u32 s1, s10, s4
	s_addc_u32 s6, s11, s5
	v_mad_i64_i32 v[0:1], s[4:5], s3, v0, 0
	s_lshl_b64 s[4:5], s[12:13], 2
	s_add_u32 s1, s1, s4
	v_lshlrev_b64 v[0:1], 2, v[0:1]
	s_addc_u32 s3, s6, s5
	v_mov_b32_e32 v2, s3
	v_add_co_u32_e32 v32, vcc, s1, v0
	v_addc_co_u32_e32 v33, vcc, v2, v1, vcc
	s_cmpk_eq_i32 s0, 0x6f
	s_mov_b64 s[0:1], -1
	s_cbranch_scc1 .LBB44_50
; %bb.8:
	s_add_i32 s3, s17, -1
	s_cmp_lt_i32 s2, 32
	s_mov_b32 s1, 0
	s_cbranch_scc1 .LBB44_24
; %bb.9:
	s_lshl_b32 s12, s17, 2
	s_addk_i32 s12, 0xe0fc
	s_mov_b32 s0, s3
.LBB44_10:                              ; =>This Loop Header: Depth=1
                                        ;     Child Loop BB44_12 Depth 2
                                        ;     Child Loop BB44_14 Depth 2
                                        ;       Child Loop BB44_16 Depth 3
                                        ;       Child Loop BB44_20 Depth 3
	s_mov_b32 s4, s0
	s_mov_b32 s5, s1
	s_lshl_b64 s[6:7], s[4:5], 2
	v_mov_b32_e32 v1, s7
	v_add_co_u32_e32 v0, vcc, s6, v32
	s_ashr_i32 s5, s0, 31
	v_addc_co_u32_e32 v1, vcc, v33, v1, vcc
	s_lshl_b64 s[6:7], s[4:5], 2
	global_load_dword v2, v[0:1], off
	v_mov_b32_e32 v1, s7
	v_add_co_u32_e32 v0, vcc, s6, v32
	v_addc_co_u32_e32 v1, vcc, v33, v1, vcc
	global_load_dwordx3 v[3:5], v[0:1], off offset:-12
	global_load_dwordx4 v[7:10], v[0:1], off offset:-28
	global_load_dwordx4 v[11:14], v[0:1], off offset:-44
	;; [unrolled: 1-line block ×7, first 2 shown]
	s_cmp_le_i32 s3, s0
	s_waitcnt vmcnt(7)
	v_mul_f32_e32 v1, s16, v5
	v_mul_f32_e32 v0, s16, v2
	v_mul_f32_e32 v2, s16, v4
	v_mul_f32_e32 v3, s16, v3
	s_waitcnt vmcnt(6)
	v_mul_f32_e32 v4, s16, v10
	v_mul_f32_e32 v5, s16, v9
	v_mul_f32_e32 v6, s16, v8
	v_mul_f32_e32 v7, s16, v7
	;; [unrolled: 5-line block ×8, first 2 shown]
	s_cbranch_scc1 .LBB44_13
; %bb.11:                               ;   in Loop: Header=BB44_10 Depth=1
	s_lshl_b32 s0, s4, 8
	s_add_i32 s6, s12, s0
	s_mov_b32 s0, s3
.LBB44_12:                              ;   Parent Loop BB44_10 Depth=1
                                        ; =>  This Inner Loop Header: Depth=2
	s_lshl_b64 s[8:9], s[0:1], 2
	v_mov_b32_e32 v35, s9
	v_add_co_u32_e32 v34, vcc, s8, v32
	v_addc_co_u32_e32 v35, vcc, v33, v35, vcc
	global_load_dword v66, v[34:35], off
	v_mov_b32_e32 v64, s6
	ds_read2st64_b32 v[34:35], v64 offset0:30 offset1:31
	ds_read2st64_b32 v[36:37], v64 offset0:28 offset1:29
	;; [unrolled: 1-line block ×15, first 2 shown]
	ds_read2st64_b32 v[64:65], v64 offset1:1
	s_add_i32 s0, s0, -1
	s_add_i32 s6, s6, -4
	s_cmp_gt_i32 s0, s4
	s_waitcnt vmcnt(0) lgkmcnt(14)
	v_fma_f32 v0, -v66, v35, v0
	v_fma_f32 v1, -v66, v34, v1
	;; [unrolled: 1-line block ×4, first 2 shown]
	s_waitcnt lgkmcnt(13)
	v_fma_f32 v4, -v66, v39, v4
	v_fma_f32 v5, -v66, v38, v5
	s_waitcnt lgkmcnt(12)
	v_fma_f32 v6, -v66, v41, v6
	v_fma_f32 v7, -v66, v40, v7
	;; [unrolled: 3-line block ×14, first 2 shown]
	s_cbranch_scc1 .LBB44_12
.LBB44_13:                              ;   in Loop: Header=BB44_10 Depth=1
	s_mul_i32 s0, s4, 0x104
	s_mov_b64 s[6:7], 0
	s_mov_b32 s13, s0
.LBB44_14:                              ;   Parent Loop BB44_10 Depth=1
                                        ; =>  This Loop Header: Depth=2
                                        ;       Child Loop BB44_16 Depth 3
                                        ;       Child Loop BB44_20 Depth 3
	s_cmp_eq_u32 s6, 0
	s_cbranch_scc1 .LBB44_18
; %bb.15:                               ;   in Loop: Header=BB44_14 Depth=2
	s_mov_b64 s[8:9], s[6:7]
	s_mov_b64 s[10:11], 0
	s_mov_b32 s9, s13
.LBB44_16:                              ;   Parent Loop BB44_10 Depth=1
                                        ;     Parent Loop BB44_14 Depth=2
                                        ; =>    This Inner Loop Header: Depth=3
	v_mov_b32_e32 v35, s9
	s_set_gpr_idx_on s10, gpr_idx(SRC0)
	v_mov_b32_e32 v34, v0
	s_set_gpr_idx_off
	ds_read_b32 v35, v35
	s_add_u32 s10, s10, 1
	s_addc_u32 s11, s11, 0
	s_add_i32 s9, s9, -4
	s_set_gpr_idx_on s6, gpr_idx(SRC0)
	v_mov_b32_e32 v36, v0
	s_set_gpr_idx_off
	s_cmp_lg_u32 s6, s10
	s_waitcnt lgkmcnt(0)
	v_fma_f32 v34, -v34, v35, v36
	s_set_gpr_idx_on s6, gpr_idx(DST)
	v_mov_b32_e32 v0, v34
	s_set_gpr_idx_off
	s_cbranch_scc1 .LBB44_16
; %bb.17:                               ;   in Loop: Header=BB44_14 Depth=2
	s_sub_i32 s10, s4, s6
	s_ashr_i32 s11, s10, 31
	s_mul_i32 s9, s10, 0x104
	s_branch .LBB44_19
.LBB44_18:                              ;   in Loop: Header=BB44_14 Depth=2
	s_mov_b64 s[8:9], 0
	s_mov_b64 s[10:11], s[4:5]
	s_mov_b32 s9, s0
.LBB44_19:                              ;   in Loop: Header=BB44_14 Depth=2
	v_mov_b32_e32 v34, s9
	ds_read_b32 v34, v34
	s_lshl_b64 s[10:11], s[10:11], 2
	s_set_gpr_idx_on s8, gpr_idx(SRC0)
	v_mov_b32_e32 v35, v0
	s_set_gpr_idx_off
	v_mov_b32_e32 v36, s11
	s_add_u32 s11, s6, 1
	s_waitcnt lgkmcnt(0)
	v_mul_f32_e32 v37, v35, v34
	v_add_co_u32_e32 v34, vcc, s10, v32
	v_addc_co_u32_e32 v35, vcc, v33, v36, vcc
	global_store_dword v[34:35], v37, off
	s_or_b32 s10, s6, 1
	s_set_gpr_idx_on s8, gpr_idx(DST)
	v_mov_b32_e32 v0, v37
	s_set_gpr_idx_off
	s_mov_b64 s[8:9], 0
	s_movk_i32 s14, 0xff00
.LBB44_20:                              ;   Parent Loop BB44_10 Depth=1
                                        ;     Parent Loop BB44_14 Depth=2
                                        ; =>    This Inner Loop Header: Depth=3
	s_add_i32 s15, s13, s14
	v_mov_b32_e32 v35, s15
	s_set_gpr_idx_on s8, gpr_idx(SRC0)
	v_mov_b32_e32 v34, v0
	s_set_gpr_idx_off
	ds_read_b32 v35, v35
	s_add_u32 s8, s8, 1
	s_set_gpr_idx_on s10, gpr_idx(SRC0)
	v_mov_b32_e32 v36, v0
	s_set_gpr_idx_off
	s_addc_u32 s9, s9, 0
	s_add_i32 s14, s14, -4
	s_cmp_lg_u32 s11, s8
	s_waitcnt lgkmcnt(0)
	v_fma_f32 v34, -v34, v35, v36
	s_set_gpr_idx_on s10, gpr_idx(DST)
	v_mov_b32_e32 v0, v34
	s_set_gpr_idx_off
	s_cbranch_scc1 .LBB44_20
; %bb.21:                               ;   in Loop: Header=BB44_14 Depth=2
	s_sub_i32 s8, s4, s10
	s_mulk_i32 s8, 0x104
	v_mov_b32_e32 v35, s8
	ds_read_b32 v35, v35
	s_ashr_i32 s9, s6, 31
	s_sub_u32 s8, s4, s6
	s_subb_u32 s9, s5, s9
	s_lshl_b64 s[8:9], s[8:9], 2
	s_add_u32 s6, s6, 2
	s_waitcnt lgkmcnt(0)
	v_mul_f32_e32 v36, v34, v35
	v_mov_b32_e32 v35, s9
	v_add_co_u32_e32 v34, vcc, s8, v32
	s_addc_u32 s7, s7, 0
	s_addk_i32 s13, 0xfe00
	v_addc_co_u32_e32 v35, vcc, v33, v35, vcc
	s_cmp_eq_u32 s6, 32
	s_set_gpr_idx_on s10, gpr_idx(DST)
	v_mov_b32_e32 v0, v36
	s_set_gpr_idx_off
	global_store_dword v[34:35], v36, off offset:-4
	s_cbranch_scc0 .LBB44_14
; %bb.22:                               ;   in Loop: Header=BB44_10 Depth=1
	s_cmp_lt_i32 s4, 63
	s_mov_b32 s0, 31
	s_cbranch_scc0 .LBB44_10
; %bb.23:
	s_sub_i32 s0, s4, 32
	s_cmp_gt_i32 s0, -1
	s_cbranch_scc1 .LBB44_25
	s_branch .LBB44_49
.LBB44_24:
	s_mov_b32 s0, s3
	s_cmp_gt_i32 s0, -1
	s_cbranch_scc0 .LBB44_49
.LBB44_25:
	s_cmp_lt_u32 s0, 3
	s_cbranch_scc1 .LBB44_31
; %bb.26:
	s_lshl_b32 s1, s0, 8
	s_lshl_b32 s4, s17, 2
	s_add_i32 s1, s1, s4
	s_add_i32 s6, s1, 0xfffffcfc
	s_mov_b32 s5, 0
.LBB44_27:                              ; =>This Loop Header: Depth=1
                                        ;     Child Loop BB44_28 Depth 2
	s_mov_b32 s1, s5
	s_lshl_b64 s[8:9], s[0:1], 2
	v_mov_b32_e32 v1, s9
	v_add_co_u32_e32 v0, vcc, s8, v32
	v_addc_co_u32_e32 v1, vcc, v33, v1, vcc
	global_load_dwordx4 v[2:5], v[0:1], off offset:-12
	s_mov_b32 s1, s6
	s_cmp_le_i32 s3, s0
	s_mov_b32 s4, s3
	s_waitcnt vmcnt(0)
	v_mul_f32_e32 v5, s16, v5
	v_mul_f32_e32 v4, s16, v4
	;; [unrolled: 1-line block ×4, first 2 shown]
	s_cbranch_scc1 .LBB44_29
.LBB44_28:                              ;   Parent Loop BB44_27 Depth=1
                                        ; =>  This Inner Loop Header: Depth=2
	s_lshl_b64 s[8:9], s[4:5], 2
	v_mov_b32_e32 v7, s9
	v_add_co_u32_e32 v6, vcc, s8, v32
	v_addc_co_u32_e32 v7, vcc, v33, v7, vcc
	global_load_dword v10, v[6:7], off
	v_mov_b32_e32 v8, s1
	ds_read2st64_b32 v[6:7], v8 offset0:2 offset1:3
	ds_read2st64_b32 v[8:9], v8 offset1:1
	s_add_i32 s4, s4, -1
	s_add_i32 s1, s1, -4
	s_cmp_gt_i32 s4, s0
	s_waitcnt vmcnt(0) lgkmcnt(1)
	v_fma_f32 v5, -v10, v7, v5
	v_fma_f32 v4, -v10, v6, v4
	s_waitcnt lgkmcnt(0)
	v_fma_f32 v3, -v10, v9, v3
	v_fma_f32 v2, -v10, v8, v2
	s_cbranch_scc1 .LBB44_28
.LBB44_29:                              ;   in Loop: Header=BB44_27 Depth=1
	s_mul_i32 s1, s0, 0x104
	s_add_i32 s4, s0, -1
	v_mov_b32_e32 v6, s1
	s_lshl_b32 s1, s4, 8
	s_lshl_b32 s7, s4, 2
	s_add_i32 s1, s1, s7
	s_lshl_b64 s[8:9], s[4:5], 2
	s_add_i32 s4, s0, -2
	ds_read_b32 v10, v6
	v_mov_b32_e32 v6, s1
	s_lshl_b32 s1, s4, 8
	s_lshl_b32 s7, s0, 2
	s_add_i32 s10, s1, s7
	v_mov_b32_e32 v8, s10
	s_lshl_b32 s10, s4, 2
	s_add_i32 s1, s1, s10
	v_mov_b32_e32 v9, s1
	ds_read2_b32 v[6:7], v6 offset1:1
	ds_read_b32 v11, v8
	ds_read2_b32 v[8:9], v9 offset1:1
	s_waitcnt lgkmcnt(3)
	v_mul_f32_e32 v10, v5, v10
	global_store_dword v[0:1], v10, off
	s_waitcnt lgkmcnt(2)
	v_fma_f32 v0, -v10, v7, v4
	v_mul_f32_e32 v7, v0, v6
	v_mov_b32_e32 v1, s9
	v_add_co_u32_e32 v0, vcc, s8, v32
	s_lshl_b64 s[8:9], s[4:5], 2
	s_add_i32 s4, s0, -3
	v_addc_co_u32_e32 v1, vcc, v33, v1, vcc
	s_lshl_b32 s1, s4, 8
	global_store_dword v[0:1], v7, off
	s_waitcnt lgkmcnt(1)
	v_fma_f32 v0, -v10, v11, v3
	s_add_i32 s7, s1, s7
	s_waitcnt lgkmcnt(0)
	v_fma_f32 v0, -v7, v9, v0
	s_add_i32 s7, s7, -4
	v_mul_f32_e32 v8, v0, v8
	v_mov_b32_e32 v0, s7
	s_lshl_b32 s7, s4, 2
	s_add_i32 s1, s1, s7
	v_mov_b32_e32 v3, s1
	ds_read2_b32 v[0:1], v0 offset1:1
	ds_read2_b32 v[3:4], v3 offset1:1
	v_mov_b32_e32 v6, s9
	v_add_co_u32_e32 v5, vcc, s8, v32
	s_waitcnt lgkmcnt(1)
	v_fma_f32 v1, -v10, v1, v2
	v_fma_f32 v0, -v7, v0, v1
	v_addc_co_u32_e32 v6, vcc, v33, v6, vcc
	s_waitcnt lgkmcnt(0)
	v_fma_f32 v0, -v8, v4, v0
	s_lshl_b64 s[8:9], s[4:5], 2
	v_mul_f32_e32 v2, v0, v3
	v_mov_b32_e32 v1, s9
	v_add_co_u32_e32 v0, vcc, s8, v32
	s_add_i32 s7, s0, -4
	s_addk_i32 s6, 0xfc00
	v_addc_co_u32_e32 v1, vcc, v33, v1, vcc
	s_cmp_gt_i32 s0, 6
	global_store_dword v[5:6], v8, off
	global_store_dword v[0:1], v2, off
	s_cbranch_scc0 .LBB44_32
; %bb.30:                               ;   in Loop: Header=BB44_27 Depth=1
	s_mov_b32 s0, s7
	s_branch .LBB44_27
.LBB44_31:
	s_mov_b32 s7, s0
.LBB44_32:
	s_cmp_lt_i32 s7, 0
	s_cbranch_scc1 .LBB44_49
; %bb.33:
	s_and_b32 s0, s7, 3
	s_cmp_eq_u32 s0, 3
	s_mov_b32 s0, s7
	s_cbranch_scc1 .LBB44_38
; %bb.34:
	s_add_i32 s0, s7, 1
	s_and_b32 s6, s0, 3
	s_lshl_b32 s0, s7, 8
	s_lshl_b32 s1, s17, 2
	s_add_i32 s0, s0, s1
	s_add_i32 s8, s0, -4
	s_mov_b32 s5, 0
	s_mov_b32 s0, s7
	;; [unrolled: 1-line block ×3, first 2 shown]
	s_branch .LBB44_36
.LBB44_35:                              ;   in Loop: Header=BB44_36 Depth=1
	s_mul_i32 s1, s0, 0x104
	v_mov_b32_e32 v3, s1
	ds_read_b32 v3, v3
	s_add_i32 s0, s0, -1
	s_add_i32 s9, s9, 1
	s_addk_i32 s8, 0xff00
	s_cmp_lg_u32 s9, s6
	s_waitcnt lgkmcnt(0)
	v_mul_f32_e32 v2, v2, v3
	global_store_dword v[0:1], v2, off
	s_cbranch_scc0 .LBB44_38
.LBB44_36:                              ; =>This Loop Header: Depth=1
                                        ;     Child Loop BB44_37 Depth 2
	s_mov_b32 s1, s5
	s_lshl_b64 s[10:11], s[0:1], 2
	v_mov_b32_e32 v1, s11
	v_add_co_u32_e32 v0, vcc, s10, v32
	v_addc_co_u32_e32 v1, vcc, v33, v1, vcc
	global_load_dword v2, v[0:1], off
	s_mov_b32 s1, s8
	s_cmp_le_i32 s3, s0
	s_mov_b32 s4, s3
	s_waitcnt vmcnt(0)
	v_mul_f32_e32 v2, s16, v2
	s_cbranch_scc1 .LBB44_35
.LBB44_37:                              ;   Parent Loop BB44_36 Depth=1
                                        ; =>  This Inner Loop Header: Depth=2
	s_lshl_b64 s[10:11], s[4:5], 2
	v_mov_b32_e32 v4, s11
	v_add_co_u32_e32 v3, vcc, s10, v32
	v_addc_co_u32_e32 v4, vcc, v33, v4, vcc
	global_load_dword v3, v[3:4], off
	v_mov_b32_e32 v4, s1
	ds_read_b32 v4, v4
	s_add_i32 s4, s4, -1
	s_add_i32 s1, s1, -4
	s_cmp_gt_i32 s4, s0
	s_waitcnt vmcnt(0) lgkmcnt(0)
	v_fma_f32 v2, -v3, v4, v2
	s_cbranch_scc1 .LBB44_37
	s_branch .LBB44_35
.LBB44_38:
	s_cmp_lt_u32 s7, 3
	s_cbranch_scc1 .LBB44_49
; %bb.39:
	s_lshl_b32 s1, s0, 8
	s_lshl_b32 s4, s17, 2
	s_add_i32 s1, s1, s4
	s_add_i32 s8, s1, -4
	s_add_i32 s9, s1, 0xfffffefc
	s_add_i32 s10, s1, 0xfffffdfc
	s_add_i32 s11, s1, 0xfffffcfc
	s_mov_b32 s5, 0
	s_branch .LBB44_41
.LBB44_40:                              ;   in Loop: Header=BB44_41 Depth=1
	s_addk_i32 s1, 0xfefc
	v_mov_b32_e32 v3, s1
	ds_read_b32 v3, v3
	s_add_i32 s1, s0, -4
	s_addk_i32 s8, 0xfc00
	s_addk_i32 s9, 0xfc00
	;; [unrolled: 1-line block ×4, first 2 shown]
	s_waitcnt lgkmcnt(0)
	v_mul_f32_e32 v2, v2, v3
	s_cmp_lt_i32 s0, 4
	s_mov_b32 s0, s1
	global_store_dword v[0:1], v2, off
	s_cbranch_scc1 .LBB44_49
.LBB44_41:                              ; =>This Loop Header: Depth=1
                                        ;     Child Loop BB44_42 Depth 2
                                        ;     Child Loop BB44_44 Depth 2
	;; [unrolled: 1-line block ×4, first 2 shown]
	s_mov_b32 s1, s5
	s_lshl_b64 s[6:7], s[0:1], 2
	v_mov_b32_e32 v0, s7
	v_add_co_u32_e32 v2, vcc, s6, v32
	v_addc_co_u32_e32 v3, vcc, v33, v0, vcc
	global_load_dword v0, v[2:3], off
	s_mov_b32 s1, s8
	s_cmp_le_i32 s3, s0
	s_mov_b32 s4, s3
	s_waitcnt vmcnt(0)
	v_mul_f32_e32 v4, s16, v0
	s_cbranch_scc1 .LBB44_43
.LBB44_42:                              ;   Parent Loop BB44_41 Depth=1
                                        ; =>  This Inner Loop Header: Depth=2
	s_lshl_b64 s[6:7], s[4:5], 2
	v_mov_b32_e32 v1, s7
	v_add_co_u32_e32 v0, vcc, s6, v32
	v_addc_co_u32_e32 v1, vcc, v33, v1, vcc
	global_load_dword v0, v[0:1], off
	v_mov_b32_e32 v1, s1
	ds_read_b32 v1, v1
	s_add_i32 s4, s4, -1
	s_add_i32 s1, s1, -4
	s_cmp_gt_i32 s4, s0
	s_waitcnt vmcnt(0) lgkmcnt(0)
	v_fma_f32 v4, -v0, v1, v4
	s_cbranch_scc1 .LBB44_42
.LBB44_43:                              ;   in Loop: Header=BB44_41 Depth=1
	s_add_i32 s4, s0, -1
	s_lshl_b64 s[6:7], s[4:5], 2
	v_mov_b32_e32 v1, s7
	v_add_co_u32_e32 v0, vcc, s6, v32
	v_addc_co_u32_e32 v1, vcc, v33, v1, vcc
	global_load_dword v5, v[0:1], off
	s_mul_i32 s1, s0, 0x104
	v_mov_b32_e32 v6, s1
	ds_read_b32 v6, v6
	s_mov_b32 s6, s9
	s_cmp_le_i32 s17, s0
	s_mov_b32 s4, s17
	s_waitcnt lgkmcnt(0)
	v_mul_f32_e32 v4, v4, v6
	global_store_dword v[2:3], v4, off
	s_waitcnt vmcnt(1)
	v_mul_f32_e32 v4, s16, v5
	s_cbranch_scc1 .LBB44_45
.LBB44_44:                              ;   Parent Loop BB44_41 Depth=1
                                        ; =>  This Inner Loop Header: Depth=2
	s_add_i32 s4, s4, -1
	s_lshl_b64 s[12:13], s[4:5], 2
	v_mov_b32_e32 v3, s13
	v_add_co_u32_e32 v2, vcc, s12, v32
	v_addc_co_u32_e32 v3, vcc, v33, v3, vcc
	global_load_dword v2, v[2:3], off
	v_mov_b32_e32 v3, s6
	ds_read_b32 v3, v3
	s_add_i32 s6, s6, -4
	s_cmp_gt_i32 s4, s0
	s_waitcnt vmcnt(0) lgkmcnt(0)
	v_fma_f32 v4, -v2, v3, v4
	s_cbranch_scc1 .LBB44_44
.LBB44_45:                              ;   in Loop: Header=BB44_41 Depth=1
	s_add_i32 s6, s0, -2
	s_mov_b32 s7, s5
	s_lshl_b64 s[12:13], s[6:7], 2
	v_mov_b32_e32 v3, s13
	v_add_co_u32_e32 v2, vcc, s12, v32
	v_addc_co_u32_e32 v3, vcc, v33, v3, vcc
	global_load_dword v5, v[2:3], off
	s_addk_i32 s1, 0xfefc
	v_mov_b32_e32 v6, s1
	ds_read_b32 v6, v6
	s_mov_b32 s7, s10
	s_cmp_le_i32 s3, s6
	s_mov_b32 s4, s3
	s_waitcnt lgkmcnt(0)
	v_mul_f32_e32 v4, v4, v6
	global_store_dword v[0:1], v4, off
	s_waitcnt vmcnt(1)
	v_mul_f32_e32 v4, s16, v5
	s_cbranch_scc1 .LBB44_47
.LBB44_46:                              ;   Parent Loop BB44_41 Depth=1
                                        ; =>  This Inner Loop Header: Depth=2
	s_lshl_b64 s[12:13], s[4:5], 2
	v_mov_b32_e32 v1, s13
	v_add_co_u32_e32 v0, vcc, s12, v32
	v_addc_co_u32_e32 v1, vcc, v33, v1, vcc
	global_load_dword v0, v[0:1], off
	v_mov_b32_e32 v1, s7
	ds_read_b32 v1, v1
	s_add_i32 s4, s4, -1
	s_add_i32 s7, s7, -4
	s_cmp_gt_i32 s4, s6
	s_waitcnt vmcnt(0) lgkmcnt(0)
	v_fma_f32 v4, -v0, v1, v4
	s_cbranch_scc1 .LBB44_46
.LBB44_47:                              ;   in Loop: Header=BB44_41 Depth=1
	s_add_i32 s6, s0, -3
	s_mov_b32 s7, s5
	s_lshl_b64 s[12:13], s[6:7], 2
	v_mov_b32_e32 v1, s13
	v_add_co_u32_e32 v0, vcc, s12, v32
	v_addc_co_u32_e32 v1, vcc, v33, v1, vcc
	global_load_dword v5, v[0:1], off
	s_addk_i32 s1, 0xfefc
	v_mov_b32_e32 v6, s1
	ds_read_b32 v6, v6
	s_mov_b32 s7, s11
	s_cmp_le_i32 s3, s6
	s_mov_b32 s4, s3
	s_waitcnt lgkmcnt(0)
	v_mul_f32_e32 v4, v4, v6
	global_store_dword v[2:3], v4, off
	s_waitcnt vmcnt(1)
	v_mul_f32_e32 v2, s16, v5
	s_cbranch_scc1 .LBB44_40
.LBB44_48:                              ;   Parent Loop BB44_41 Depth=1
                                        ; =>  This Inner Loop Header: Depth=2
	s_lshl_b64 s[12:13], s[4:5], 2
	v_mov_b32_e32 v4, s13
	v_add_co_u32_e32 v3, vcc, s12, v32
	v_addc_co_u32_e32 v4, vcc, v33, v4, vcc
	global_load_dword v3, v[3:4], off
	v_mov_b32_e32 v4, s7
	ds_read_b32 v4, v4
	s_add_i32 s4, s4, -1
	s_add_i32 s7, s7, -4
	s_cmp_gt_i32 s4, s6
	s_waitcnt vmcnt(0) lgkmcnt(0)
	v_fma_f32 v2, -v3, v4, v2
	s_cbranch_scc1 .LBB44_48
	s_branch .LBB44_40
.LBB44_49:
	s_mov_b64 s[0:1], 0
.LBB44_50:
	s_and_b64 vcc, exec, s[0:1]
	s_cbranch_vccz .LBB44_80
; %bb.51:
	s_cmp_lt_i32 s2, 32
	s_cbranch_scc1 .LBB44_66
; %bb.52:
	s_mov_b32 s1, 0
	s_mov_b32 s10, 0
	;; [unrolled: 1-line block ×4, first 2 shown]
.LBB44_53:                              ; =>This Loop Header: Depth=1
                                        ;     Child Loop BB44_55 Depth 2
                                        ;     Child Loop BB44_57 Depth 2
                                        ;       Child Loop BB44_59 Depth 3
                                        ;       Child Loop BB44_62 Depth 3
	s_mov_b32 s3, s1
	s_lshl_b64 s[4:5], s[2:3], 2
	v_mov_b32_e32 v0, s5
	v_add_co_u32_e32 v34, vcc, s4, v32
	v_addc_co_u32_e32 v35, vcc, v33, v0, vcc
	global_load_dwordx4 v[0:3], v[34:35], off
	global_load_dwordx4 v[4:7], v[34:35], off offset:16
	global_load_dwordx4 v[8:11], v[34:35], off offset:32
	;; [unrolled: 1-line block ×7, first 2 shown]
	s_cmp_eq_u32 s2, 0
	s_waitcnt vmcnt(7)
	v_mul_f32_e32 v0, s16, v0
	v_mul_f32_e32 v1, s16, v1
	v_mul_f32_e32 v2, s16, v2
	v_mul_f32_e32 v3, s16, v3
	s_waitcnt vmcnt(6)
	v_mul_f32_e32 v4, s16, v4
	v_mul_f32_e32 v5, s16, v5
	v_mul_f32_e32 v6, s16, v6
	v_mul_f32_e32 v7, s16, v7
	;; [unrolled: 5-line block ×8, first 2 shown]
	s_cbranch_scc1 .LBB44_56
; %bb.54:                               ;   in Loop: Header=BB44_53 Depth=1
	v_mov_b32_e32 v37, v33
	s_mov_b32 s0, s11
	v_mov_b32_e32 v36, v32
	s_mov_b32 s3, s2
.LBB44_55:                              ;   Parent Loop BB44_53 Depth=1
                                        ; =>  This Inner Loop Header: Depth=2
	global_load_dword v70, v[36:37], off
	v_mov_b32_e32 v66, s0
	ds_read_b128 v[38:41], v66
	ds_read_b128 v[42:45], v66 offset:16
	ds_read_b128 v[46:49], v66 offset:32
	;; [unrolled: 1-line block ×7, first 2 shown]
	s_add_i32 s3, s3, -1
	v_add_co_u32_e32 v36, vcc, 4, v36
	s_addk_i32 s0, 0x100
	v_addc_co_u32_e32 v37, vcc, 0, v37, vcc
	s_cmp_eq_u32 s3, 0
	s_waitcnt vmcnt(0) lgkmcnt(7)
	v_fma_f32 v0, -v70, v38, v0
	v_fma_f32 v1, -v70, v39, v1
	v_fma_f32 v2, -v70, v40, v2
	v_fma_f32 v3, -v70, v41, v3
	s_waitcnt lgkmcnt(6)
	v_fma_f32 v4, -v70, v42, v4
	v_fma_f32 v5, -v70, v43, v5
	v_fma_f32 v6, -v70, v44, v6
	v_fma_f32 v7, -v70, v45, v7
	s_waitcnt lgkmcnt(5)
	;; [unrolled: 5-line block ×7, first 2 shown]
	v_fma_f32 v28, -v70, v66, v28
	v_fma_f32 v29, -v70, v67, v29
	;; [unrolled: 1-line block ×4, first 2 shown]
	s_cbranch_scc0 .LBB44_55
.LBB44_56:                              ;   in Loop: Header=BB44_53 Depth=1
	s_mov_b64 s[4:5], 0
	s_mov_b32 s3, s10
.LBB44_57:                              ;   Parent Loop BB44_53 Depth=1
                                        ; =>  This Loop Header: Depth=2
                                        ;       Child Loop BB44_59 Depth 3
                                        ;       Child Loop BB44_62 Depth 3
	s_cmp_eq_u32 s4, 0
	s_cbranch_scc1 .LBB44_60
; %bb.58:                               ;   in Loop: Header=BB44_57 Depth=2
	s_mov_b64 s[8:9], 0
	s_mov_b64 s[6:7], s[4:5]
	s_mov_b32 s0, s3
.LBB44_59:                              ;   Parent Loop BB44_53 Depth=1
                                        ;     Parent Loop BB44_57 Depth=2
                                        ; =>    This Inner Loop Header: Depth=3
	v_mov_b32_e32 v37, s0
	s_set_gpr_idx_on s8, gpr_idx(SRC0)
	v_mov_b32_e32 v36, v0
	s_set_gpr_idx_off
	ds_read_b32 v37, v37
	s_add_u32 s8, s8, 1
	s_addc_u32 s9, s9, 0
	s_addk_i32 s0, 0x100
	s_set_gpr_idx_on s4, gpr_idx(SRC0)
	v_mov_b32_e32 v38, v0
	s_set_gpr_idx_off
	s_cmp_eq_u32 s4, s8
	s_waitcnt lgkmcnt(0)
	v_fma_f32 v36, -v36, v37, v38
	s_set_gpr_idx_on s4, gpr_idx(DST)
	v_mov_b32_e32 v0, v36
	s_set_gpr_idx_off
	s_cbranch_scc0 .LBB44_59
	s_branch .LBB44_61
.LBB44_60:                              ;   in Loop: Header=BB44_57 Depth=2
	s_mov_b64 s[6:7], 0
.LBB44_61:                              ;   in Loop: Header=BB44_57 Depth=2
	s_add_i32 s0, s4, s2
	s_mulk_i32 s0, 0x104
	v_mov_b32_e32 v36, s0
	ds_read_b32 v36, v36
	s_ashr_i32 s9, s4, 31
	s_mov_b32 s8, s4
	s_lshl_b64 s[8:9], s[8:9], 2
	s_set_gpr_idx_on s6, gpr_idx(SRC0)
	v_mov_b32_e32 v37, v0
	s_set_gpr_idx_off
	s_waitcnt lgkmcnt(0)
	v_mul_f32_e32 v38, v37, v36
	v_mov_b32_e32 v37, s9
	v_add_co_u32_e32 v36, vcc, s8, v34
	v_addc_co_u32_e32 v37, vcc, v35, v37, vcc
	global_store_dword v[36:37], v38, off
	s_or_b32 s8, s4, 1
	s_set_gpr_idx_on s6, gpr_idx(DST)
	v_mov_b32_e32 v0, v38
	s_set_gpr_idx_off
	s_add_u32 s0, s4, 1
	s_mov_b64 s[6:7], 0
	s_mov_b32 s9, 4
.LBB44_62:                              ;   Parent Loop BB44_53 Depth=1
                                        ;     Parent Loop BB44_57 Depth=2
                                        ; =>    This Inner Loop Header: Depth=3
	s_add_i32 s12, s3, s9
	v_mov_b32_e32 v37, s12
	s_set_gpr_idx_on s6, gpr_idx(SRC0)
	v_mov_b32_e32 v36, v0
	s_set_gpr_idx_off
	ds_read_b32 v37, v37
	s_add_u32 s6, s6, 1
	s_set_gpr_idx_on s8, gpr_idx(SRC0)
	v_mov_b32_e32 v38, v0
	s_set_gpr_idx_off
	s_addc_u32 s7, s7, 0
	s_addk_i32 s9, 0x100
	s_cmp_lg_u32 s0, s6
	s_waitcnt lgkmcnt(0)
	v_fma_f32 v36, -v36, v37, v38
	s_set_gpr_idx_on s8, gpr_idx(DST)
	v_mov_b32_e32 v0, v36
	s_set_gpr_idx_off
	s_cbranch_scc1 .LBB44_62
; %bb.63:                               ;   in Loop: Header=BB44_57 Depth=2
	s_add_i32 s0, s8, s2
	s_mulk_i32 s0, 0x104
	v_mov_b32_e32 v37, s0
	ds_read_b32 v37, v37
	s_mov_b32 s0, s4
	s_lshl_b64 s[6:7], s[0:1], 2
	s_add_u32 s4, s4, 2
	v_mov_b32_e32 v38, s7
	s_waitcnt lgkmcnt(0)
	v_mul_f32_e32 v39, v36, v37
	v_add_co_u32_e32 v36, vcc, s6, v34
	s_addc_u32 s5, s5, 0
	s_add_i32 s3, s3, 8
	v_addc_co_u32_e32 v37, vcc, v35, v38, vcc
	s_cmp_eq_u32 s4, 32
	s_set_gpr_idx_on s8, gpr_idx(DST)
	v_mov_b32_e32 v0, v39
	s_set_gpr_idx_off
	global_store_dword v[36:37], v39, off offset:4
	s_cbranch_scc0 .LBB44_57
; %bb.64:                               ;   in Loop: Header=BB44_53 Depth=1
	s_add_i32 s0, s2, 32
	s_add_i32 s2, s2, 63
	s_addk_i32 s11, 0x80
	s_addk_i32 s10, 0x2080
	s_cmp_ge_i32 s2, s17
	s_cbranch_scc1 .LBB44_67
; %bb.65:                               ;   in Loop: Header=BB44_53 Depth=1
	s_mov_b32 s2, s0
	s_branch .LBB44_53
.LBB44_66:
	s_mov_b32 s0, 0
.LBB44_67:
	s_cmp_lt_i32 s0, s17
	s_cbranch_scc0 .LBB44_80
; %bb.68:
	s_add_i32 s1, s0, 3
	s_cmp_ge_i32 s1, s17
	s_cbranch_scc1 .LBB44_74
; %bb.69:
	s_lshl_b32 s3, s0, 2
.LBB44_70:                              ; =>This Loop Header: Depth=1
                                        ;     Child Loop BB44_71 Depth 2
	s_ashr_i32 s1, s0, 31
	s_lshl_b64 s[4:5], s[0:1], 2
	v_mov_b32_e32 v1, s5
	v_add_co_u32_e32 v0, vcc, s4, v32
	v_addc_co_u32_e32 v1, vcc, v33, v1, vcc
	global_load_dwordx4 v[6:9], v[0:1], off
	v_mov_b32_e32 v2, v32
	v_mov_b32_e32 v3, v33
	s_mov_b32 s1, s3
	s_cmp_eq_u32 s0, 0
	s_mov_b32 s2, s0
	s_waitcnt vmcnt(0)
	v_mul_f32_e32 v6, s16, v6
	v_mul_f32_e32 v7, s16, v7
	v_mul_f32_e32 v5, s16, v8
	v_mul_f32_e32 v4, s16, v9
	s_cbranch_scc1 .LBB44_72
.LBB44_71:                              ;   Parent Loop BB44_70 Depth=1
                                        ; =>  This Inner Loop Header: Depth=2
	global_load_dword v12, v[2:3], off
	v_mov_b32_e32 v10, s1
	ds_read2_b32 v[8:9], v10 offset1:1
	ds_read2_b32 v[10:11], v10 offset0:2 offset1:3
	s_add_i32 s2, s2, -1
	s_addk_i32 s1, 0x100
	v_add_co_u32_e32 v2, vcc, 4, v2
	v_addc_co_u32_e32 v3, vcc, 0, v3, vcc
	s_cmp_lg_u32 s2, 0
	s_waitcnt vmcnt(0) lgkmcnt(1)
	v_fma_f32 v6, -v12, v8, v6
	v_fma_f32 v7, -v12, v9, v7
	s_waitcnt lgkmcnt(0)
	v_fma_f32 v5, -v12, v10, v5
	v_fma_f32 v4, -v12, v11, v4
	s_cbranch_scc1 .LBB44_71
.LBB44_72:                              ;   in Loop: Header=BB44_70 Depth=1
	s_lshl_b32 s1, s0, 2
	s_lshl_b32 s2, s0, 8
	s_add_i32 s1, s1, s2
	v_mov_b32_e32 v14, s1
	ds_read2_b32 v[2:3], v14 offset1:1
	ds_read2_b32 v[8:9], v14 offset0:65 offset1:66
	ds_read2_b32 v[10:11], v14 offset0:130 offset1:131
	;; [unrolled: 1-line block ×3, first 2 shown]
	s_add_i32 s2, s0, 4
	s_waitcnt lgkmcnt(3)
	v_mul_f32_e32 v6, v6, v2
	v_fma_f32 v2, -v6, v3, v7
	s_waitcnt lgkmcnt(2)
	v_mul_f32_e32 v7, v2, v8
	ds_read2_b32 v[2:3], v14 offset0:67 offset1:195
	s_waitcnt lgkmcnt(1)
	v_fma_f32 v5, -v6, v12, v5
	v_fma_f32 v5, -v7, v9, v5
	;; [unrolled: 1-line block ×3, first 2 shown]
	v_mul_f32_e32 v8, v5, v10
	s_waitcnt lgkmcnt(0)
	v_fma_f32 v2, -v7, v2, v4
	v_fma_f32 v2, -v8, v11, v2
	s_add_i32 s0, s0, 7
	s_add_i32 s3, s3, 16
	v_mul_f32_e32 v9, v2, v3
	s_cmp_lt_i32 s0, s17
	global_store_dwordx4 v[0:1], v[6:9], off
	s_cbranch_scc0 .LBB44_75
; %bb.73:                               ;   in Loop: Header=BB44_70 Depth=1
	s_mov_b32 s0, s2
	s_branch .LBB44_70
.LBB44_74:
	s_mov_b32 s2, s0
.LBB44_75:
	s_cmp_ge_i32 s2, s17
	s_cbranch_scc1 .LBB44_80
; %bb.76:
	s_lshl_b32 s0, s2, 2
	s_branch .LBB44_78
.LBB44_77:                              ;   in Loop: Header=BB44_78 Depth=1
	s_mul_i32 s1, s2, 0x104
	v_mov_b32_e32 v2, s1
	ds_read_b32 v2, v2
	s_add_i32 s2, s2, 1
	s_add_i32 s0, s0, 4
	s_cmp_ge_i32 s2, s17
	s_waitcnt lgkmcnt(0)
	v_mul_f32_e32 v2, v4, v2
	global_store_dword v[0:1], v2, off
	s_cbranch_scc1 .LBB44_80
.LBB44_78:                              ; =>This Loop Header: Depth=1
                                        ;     Child Loop BB44_79 Depth 2
	s_ashr_i32 s3, s2, 31
	s_lshl_b64 s[4:5], s[2:3], 2
	v_mov_b32_e32 v1, s5
	v_add_co_u32_e32 v0, vcc, s4, v32
	v_addc_co_u32_e32 v1, vcc, v33, v1, vcc
	global_load_dword v4, v[0:1], off
	v_mov_b32_e32 v2, v32
	v_mov_b32_e32 v3, v33
	s_mov_b32 s1, s0
	s_cmp_eq_u32 s2, 0
	s_mov_b32 s3, s2
	s_waitcnt vmcnt(0)
	v_mul_f32_e32 v4, s16, v4
	s_cbranch_scc1 .LBB44_77
.LBB44_79:                              ;   Parent Loop BB44_78 Depth=1
                                        ; =>  This Inner Loop Header: Depth=2
	global_load_dword v5, v[2:3], off
	v_mov_b32_e32 v6, s1
	ds_read_b32 v6, v6
	s_add_i32 s3, s3, -1
	s_addk_i32 s1, 0x100
	v_add_co_u32_e32 v2, vcc, 4, v2
	v_addc_co_u32_e32 v3, vcc, 0, v3, vcc
	s_cmp_lg_u32 s3, 0
	s_waitcnt vmcnt(0) lgkmcnt(0)
	v_fma_f32 v4, -v5, v6, v4
	s_cbranch_scc1 .LBB44_79
	s_branch .LBB44_77
.LBB44_80:
	s_endpgm
	.section	.rodata,"a",@progbits
	.p2align	6, 0x0
	.amdhsa_kernel _ZL30rocblas_trsm_small_left_deviceILi64ELi32ELb1EffPKfPfEv13rocblas_fill_18rocblas_operation_17rocblas_diagonal_iiT3_T4_lilT5_lili
		.amdhsa_group_segment_fixed_size 16384
		.amdhsa_private_segment_fixed_size 0
		.amdhsa_kernarg_size 352
		.amdhsa_user_sgpr_count 6
		.amdhsa_user_sgpr_private_segment_buffer 1
		.amdhsa_user_sgpr_dispatch_ptr 0
		.amdhsa_user_sgpr_queue_ptr 0
		.amdhsa_user_sgpr_kernarg_segment_ptr 1
		.amdhsa_user_sgpr_dispatch_id 0
		.amdhsa_user_sgpr_flat_scratch_init 0
		.amdhsa_user_sgpr_private_segment_size 0
		.amdhsa_uses_dynamic_stack 0
		.amdhsa_system_sgpr_private_segment_wavefront_offset 0
		.amdhsa_system_sgpr_workgroup_id_x 1
		.amdhsa_system_sgpr_workgroup_id_y 0
		.amdhsa_system_sgpr_workgroup_id_z 1
		.amdhsa_system_sgpr_workgroup_info 0
		.amdhsa_system_vgpr_workitem_id 0
		.amdhsa_next_free_vgpr 129
		.amdhsa_next_free_sgpr 98
		.amdhsa_reserve_vcc 1
		.amdhsa_reserve_flat_scratch 0
		.amdhsa_float_round_mode_32 0
		.amdhsa_float_round_mode_16_64 0
		.amdhsa_float_denorm_mode_32 3
		.amdhsa_float_denorm_mode_16_64 3
		.amdhsa_dx10_clamp 1
		.amdhsa_ieee_mode 1
		.amdhsa_fp16_overflow 0
		.amdhsa_exception_fp_ieee_invalid_op 0
		.amdhsa_exception_fp_denorm_src 0
		.amdhsa_exception_fp_ieee_div_zero 0
		.amdhsa_exception_fp_ieee_overflow 0
		.amdhsa_exception_fp_ieee_underflow 0
		.amdhsa_exception_fp_ieee_inexact 0
		.amdhsa_exception_int_div_zero 0
	.end_amdhsa_kernel
	.section	.text._ZL30rocblas_trsm_small_left_deviceILi64ELi32ELb1EffPKfPfEv13rocblas_fill_18rocblas_operation_17rocblas_diagonal_iiT3_T4_lilT5_lili,"axG",@progbits,_ZL30rocblas_trsm_small_left_deviceILi64ELi32ELb1EffPKfPfEv13rocblas_fill_18rocblas_operation_17rocblas_diagonal_iiT3_T4_lilT5_lili,comdat
.Lfunc_end44:
	.size	_ZL30rocblas_trsm_small_left_deviceILi64ELi32ELb1EffPKfPfEv13rocblas_fill_18rocblas_operation_17rocblas_diagonal_iiT3_T4_lilT5_lili, .Lfunc_end44-_ZL30rocblas_trsm_small_left_deviceILi64ELi32ELb1EffPKfPfEv13rocblas_fill_18rocblas_operation_17rocblas_diagonal_iiT3_T4_lilT5_lili
                                        ; -- End function
	.set _ZL30rocblas_trsm_small_left_deviceILi64ELi32ELb1EffPKfPfEv13rocblas_fill_18rocblas_operation_17rocblas_diagonal_iiT3_T4_lilT5_lili.num_vgpr, 71
	.set _ZL30rocblas_trsm_small_left_deviceILi64ELi32ELb1EffPKfPfEv13rocblas_fill_18rocblas_operation_17rocblas_diagonal_iiT3_T4_lilT5_lili.num_agpr, 0
	.set _ZL30rocblas_trsm_small_left_deviceILi64ELi32ELb1EffPKfPfEv13rocblas_fill_18rocblas_operation_17rocblas_diagonal_iiT3_T4_lilT5_lili.numbered_sgpr, 24
	.set _ZL30rocblas_trsm_small_left_deviceILi64ELi32ELb1EffPKfPfEv13rocblas_fill_18rocblas_operation_17rocblas_diagonal_iiT3_T4_lilT5_lili.num_named_barrier, 0
	.set _ZL30rocblas_trsm_small_left_deviceILi64ELi32ELb1EffPKfPfEv13rocblas_fill_18rocblas_operation_17rocblas_diagonal_iiT3_T4_lilT5_lili.private_seg_size, 0
	.set _ZL30rocblas_trsm_small_left_deviceILi64ELi32ELb1EffPKfPfEv13rocblas_fill_18rocblas_operation_17rocblas_diagonal_iiT3_T4_lilT5_lili.uses_vcc, 1
	.set _ZL30rocblas_trsm_small_left_deviceILi64ELi32ELb1EffPKfPfEv13rocblas_fill_18rocblas_operation_17rocblas_diagonal_iiT3_T4_lilT5_lili.uses_flat_scratch, 0
	.set _ZL30rocblas_trsm_small_left_deviceILi64ELi32ELb1EffPKfPfEv13rocblas_fill_18rocblas_operation_17rocblas_diagonal_iiT3_T4_lilT5_lili.has_dyn_sized_stack, 0
	.set _ZL30rocblas_trsm_small_left_deviceILi64ELi32ELb1EffPKfPfEv13rocblas_fill_18rocblas_operation_17rocblas_diagonal_iiT3_T4_lilT5_lili.has_recursion, 0
	.set _ZL30rocblas_trsm_small_left_deviceILi64ELi32ELb1EffPKfPfEv13rocblas_fill_18rocblas_operation_17rocblas_diagonal_iiT3_T4_lilT5_lili.has_indirect_call, 0
	.section	.AMDGPU.csdata,"",@progbits
; Kernel info:
; codeLenInByte = 4868
; TotalNumSgprs: 28
; NumVgprs: 71
; ScratchSize: 0
; MemoryBound: 0
; FloatMode: 240
; IeeeMode: 1
; LDSByteSize: 16384 bytes/workgroup (compile time only)
; SGPRBlocks: 12
; VGPRBlocks: 32
; NumSGPRsForWavesPerEU: 102
; NumVGPRsForWavesPerEU: 129
; Occupancy: 1
; WaveLimiterHint : 0
; COMPUTE_PGM_RSRC2:SCRATCH_EN: 0
; COMPUTE_PGM_RSRC2:USER_SGPR: 6
; COMPUTE_PGM_RSRC2:TRAP_HANDLER: 0
; COMPUTE_PGM_RSRC2:TGID_X_EN: 1
; COMPUTE_PGM_RSRC2:TGID_Y_EN: 0
; COMPUTE_PGM_RSRC2:TGID_Z_EN: 1
; COMPUTE_PGM_RSRC2:TIDIG_COMP_CNT: 0
	.section	.text._ZL31rocblas_trsm_small_right_deviceIffPKfPfLi64EEv13rocblas_fill_18rocblas_operation_17rocblas_diagonal_iiT0_T1_lilT2_lili,"axG",@progbits,_ZL31rocblas_trsm_small_right_deviceIffPKfPfLi64EEv13rocblas_fill_18rocblas_operation_17rocblas_diagonal_iiT0_T1_lilT2_lili,comdat
	.globl	_ZL31rocblas_trsm_small_right_deviceIffPKfPfLi64EEv13rocblas_fill_18rocblas_operation_17rocblas_diagonal_iiT0_T1_lilT2_lili ; -- Begin function _ZL31rocblas_trsm_small_right_deviceIffPKfPfLi64EEv13rocblas_fill_18rocblas_operation_17rocblas_diagonal_iiT0_T1_lilT2_lili
	.p2align	8
	.type	_ZL31rocblas_trsm_small_right_deviceIffPKfPfLi64EEv13rocblas_fill_18rocblas_operation_17rocblas_diagonal_iiT0_T1_lilT2_lili,@function
_ZL31rocblas_trsm_small_right_deviceIffPKfPfLi64EEv13rocblas_fill_18rocblas_operation_17rocblas_diagonal_iiT0_T1_lilT2_lili: ; @_ZL31rocblas_trsm_small_right_deviceIffPKfPfLi64EEv13rocblas_fill_18rocblas_operation_17rocblas_diagonal_iiT0_T1_lilT2_lili
; %bb.0:
	s_load_dwordx4 s[8:11], s[4:5], 0x0
	s_load_dwordx2 s[12:13], s[4:5], 0x10
	s_load_dwordx4 s[0:3], s[4:5], 0x30
	s_load_dwordx2 s[14:15], s[4:5], 0x40
	s_waitcnt lgkmcnt(0)
	s_min_i32 s18, s12, 64
	v_cmp_gt_i32_e32 vcc, s18, v0
	s_and_saveexec_b64 s[16:17], vcc
	s_cbranch_execz .LBB45_5
; %bb.1:
	s_load_dword s24, s[4:5], 0x28
	s_load_dwordx4 s[20:23], s[4:5], 0x18
	s_mul_i32 s1, s1, s7
	s_mul_hi_u32 s19, s0, s7
	s_add_i32 s1, s19, s1
	s_mul_i32 s0, s0, s7
	s_waitcnt lgkmcnt(0)
	s_ashr_i32 s25, s24, 31
	s_lshl_b64 s[0:1], s[0:1], 2
	s_add_u32 s19, s20, s0
	s_addc_u32 s20, s21, s1
	s_lshl_b64 s[0:1], s[22:23], 2
	s_add_u32 s0, s19, s0
	s_addc_u32 s1, s20, s1
	v_lshlrev_b32_e32 v3, 2, v0
	v_mov_b32_e32 v2, s1
	v_add_co_u32_e32 v1, vcc, s0, v3
	s_lshl_b64 s[0:1], s[24:25], 2
	v_addc_co_u32_e32 v2, vcc, 0, v2, vcc
	v_mov_b32_e32 v4, s1
	v_mov_b32_e32 v5, v3
	s_mov_b32 s1, s18
.LBB45_2:                               ; =>This Inner Loop Header: Depth=1
	global_load_dword v6, v[1:2], off
	v_add_co_u32_e32 v1, vcc, s0, v1
	s_add_i32 s1, s1, -1
	v_addc_co_u32_e32 v2, vcc, v2, v4, vcc
	s_cmp_eq_u32 s1, 0
	s_waitcnt vmcnt(0)
	ds_write_b32 v5, v6
	v_add_u32_e32 v5, 0x100, v5
	s_cbranch_scc0 .LBB45_2
; %bb.3:
	s_cmpk_eq_i32 s10, 0x84
	s_cbranch_scc0 .LBB45_5
; %bb.4:
	v_lshl_or_b32 v1, v0, 8, v3
	v_mov_b32_e32 v2, 1.0
	ds_write_b32 v1, v2
.LBB45_5:
	s_or_b64 exec, exec, s[16:17]
	s_load_dword s0, s[4:5], 0x60
	s_load_dwordx2 s[16:17], s[4:5], 0x50
	s_load_dword s10, s[4:5], 0x48
	s_waitcnt lgkmcnt(0)
	s_mul_i32 s1, s17, s7
	s_mul_hi_u32 s5, s16, s7
	s_mul_i32 s4, s16, s7
	s_add_i32 s5, s5, s1
	s_lshl_b64 s[4:5], s[4:5], 2
	s_add_u32 s1, s2, s4
	s_addc_u32 s4, s3, s5
	s_lshl_b64 s[2:3], s[14:15], 2
	s_add_u32 s2, s1, s2
	s_addc_u32 s3, s4, s3
	s_lshl_b32 s1, s6, 6
	s_add_i32 s0, s0, -1
	s_sub_i32 s1, s11, s1
	s_cmp_ge_u32 s6, s0
	s_cselect_b32 s4, s1, 64
	s_ashr_i32 s7, s6, 31
	s_lshl_b64 s[0:1], s[6:7], 8
	s_add_u32 s14, s2, s0
	s_addc_u32 s15, s3, s1
	v_cmp_gt_i32_e64 s[0:1], s4, v0
	s_and_saveexec_b64 s[2:3], s[0:1]
	s_cbranch_execz .LBB45_9
; %bb.6:
	s_cmp_lt_i32 s12, 1
	s_cbranch_scc1 .LBB45_9
; %bb.7:
	s_ashr_i32 s11, s10, 31
	v_lshlrev_b32_e32 v3, 2, v0
	v_mov_b32_e32 v2, s15
	v_add_co_u32_e32 v1, vcc, s14, v3
	s_lshl_b64 s[4:5], s[10:11], 2
	v_addc_co_u32_e32 v2, vcc, 0, v2, vcc
	v_or_b32_e32 v3, 0x4000, v3
	v_mov_b32_e32 v4, s5
	s_mov_b32 s5, s12
.LBB45_8:                               ; =>This Inner Loop Header: Depth=1
	global_load_dword v5, v[1:2], off
	s_add_i32 s5, s5, -1
	v_add_co_u32_e32 v1, vcc, s4, v1
	v_addc_co_u32_e32 v2, vcc, v2, v4, vcc
	s_cmp_lg_u32 s5, 0
	s_waitcnt vmcnt(0)
	v_mul_f32_e32 v5, s13, v5
	ds_write_b32 v3, v5
	v_add_u32_e32 v3, 0x100, v3
	s_cbranch_scc1 .LBB45_8
.LBB45_9:
	s_or_b64 exec, exec, s[2:3]
	s_cmpk_eq_i32 s9, 0x6f
	s_cselect_b64 s[2:3], -1, 0
	s_cmpk_lg_i32 s8, 0x79
	s_cselect_b64 s[4:5], -1, 0
	s_cmpk_eq_i32 s8, 0x79
	s_cselect_b64 s[6:7], -1, 0
	s_and_b64 s[6:7], s[6:7], s[2:3]
	s_andn2_b64 vcc, exec, s[6:7]
	s_mov_b64 s[6:7], -1
	s_waitcnt lgkmcnt(0)
	; wave barrier
	s_cbranch_vccz .LBB45_66
; %bb.10:
	s_cmpk_lg_i32 s8, 0x7a
	s_cselect_b64 s[16:17], -1, 0
	s_xor_b64 s[2:3], s[2:3], -1
	s_add_i32 s8, s18, -1
	s_or_b64 s[16:17], s[16:17], s[2:3]
	v_mov_b32_e32 v1, 0x4000
	s_cmp_gt_i32 s12, 3
	v_lshl_or_b32 v3, v0, 2, v1
	s_cselect_b64 s[2:3], -1, 0
	s_and_b64 vcc, exec, s[16:17]
	s_cbranch_vccz .LBB45_45
; %bb.11:
	s_andn2_b64 vcc, exec, s[4:5]
	s_mov_b64 s[4:5], -1
	s_cbranch_vccnz .LBB45_24
; %bb.12:
	s_andn2_b64 vcc, exec, s[2:3]
	s_mov_b32 s6, 0
	s_cbranch_vccnz .LBB45_18
; %bb.13:
	v_mov_b32_e32 v1, 0x4000
	v_lshl_or_b32 v4, v0, 2, v1
	s_mov_b32 s4, 0
	s_mov_b32 s5, 0
.LBB45_14:                              ; =>This Loop Header: Depth=1
                                        ;     Child Loop BB45_15 Depth 2
	s_lshl_b32 s7, s5, 8
	s_or_b32 s6, s5, 1
	v_add_u32_e32 v5, s7, v3
	v_lshl_add_u32 v7, s6, 8, v3
	s_or_b32 s9, s7, 0x300
	ds_read2st64_b32 v[1:2], v5 offset1:2
	v_add_u32_e32 v6, s9, v3
	ds_read_b32 v10, v7
	ds_read_b32 v8, v6
	s_cmp_eq_u32 s5, 0
	v_mov_b32_e32 v9, v4
	s_mov_b32 s9, s4
	s_mov_b32 s11, s5
	s_cbranch_scc1 .LBB45_16
.LBB45_15:                              ;   Parent Loop BB45_14 Depth=1
                                        ; =>  This Inner Loop Header: Depth=2
	v_mov_b32_e32 v11, s9
	ds_read_b32 v15, v9
	ds_read_b128 v[11:14], v11
	s_add_i32 s11, s11, -1
	s_addk_i32 s9, 0x100
	v_add_u32_e32 v9, 0x100, v9
	s_cmp_eq_u32 s11, 0
	s_waitcnt lgkmcnt(0)
	v_fma_f32 v1, -v15, v11, v1
	v_fma_f32 v10, -v15, v12, v10
	;; [unrolled: 1-line block ×4, first 2 shown]
	s_cbranch_scc0 .LBB45_15
.LBB45_16:                              ;   in Loop: Header=BB45_14 Depth=1
	s_lshl_b32 s9, s5, 2
	s_add_i32 s7, s9, s7
	v_mov_b32_e32 v17, s7
	ds_read_b128 v[11:14], v17
	ds_read2_b32 v[15:16], v17 offset0:65 offset1:66
	s_lshl_b32 s6, s6, 2
	s_addk_i32 s7, 0x104
	s_sub_i32 s6, s7, s6
	s_waitcnt lgkmcnt(1)
	v_div_scale_f32 v18, s[16:17], v11, v11, v1
	v_div_scale_f32 v19, vcc, v1, v11, v1
	s_add_i32 s6, s6, s9
	s_add_i32 s4, s4, 16
	v_add_u32_e32 v9, 0x200, v5
	v_rcp_f32_e32 v20, v18
	v_fma_f32 v21, -v18, v20, 1.0
	v_fmac_f32_e32 v20, v21, v20
	v_mul_f32_e32 v21, v19, v20
	v_fma_f32 v22, -v18, v21, v19
	v_fmac_f32_e32 v21, v22, v20
	v_fma_f32 v18, -v18, v21, v19
	v_div_fmas_f32 v18, v18, v20, v21
	v_div_fixup_f32 v1, v18, v11, v1
	v_fma_f32 v12, -v1, v12, v10
	s_waitcnt lgkmcnt(0)
	v_div_scale_f32 v10, s[16:17], v15, v15, v12
	v_div_scale_f32 v11, vcc, v12, v15, v12
	v_fma_f32 v2, -v1, v13, v2
	v_fma_f32 v8, -v1, v14, v8
	v_rcp_f32_e32 v18, v10
	v_fma_f32 v19, -v10, v18, 1.0
	v_fmac_f32_e32 v18, v19, v18
	v_mul_f32_e32 v19, v11, v18
	v_fma_f32 v20, -v10, v19, v11
	v_fmac_f32_e32 v19, v20, v18
	v_fma_f32 v10, -v10, v19, v11
	v_div_fmas_f32 v18, v10, v18, v19
	ds_read_b64 v[10:11], v17 offset:520
	ds_read_b32 v17, v17 offset:780
	v_div_fixup_f32 v12, v18, v15, v12
	v_fma_f32 v2, -v12, v16, v2
	s_waitcnt lgkmcnt(1)
	v_div_scale_f32 v13, s[16:17], v10, v10, v2
	v_div_scale_f32 v15, vcc, v2, v10, v2
	v_rcp_f32_e32 v16, v13
	v_fma_f32 v18, -v13, v16, 1.0
	v_fmac_f32_e32 v16, v18, v16
	v_mul_f32_e32 v18, v15, v16
	v_fma_f32 v19, -v13, v18, v15
	v_fmac_f32_e32 v18, v19, v16
	v_fma_f32 v13, -v13, v18, v15
	v_div_fmas_f32 v13, v13, v16, v18
	v_mov_b32_e32 v15, s6
	ds_read_b32 v15, v15 offset:12
	s_waitcnt lgkmcnt(0)
	v_fma_f32 v8, -v12, v15, v8
	v_div_fixup_f32 v2, v13, v10, v2
	v_fma_f32 v8, -v2, v11, v8
	v_div_scale_f32 v10, s[6:7], v17, v17, v8
	v_div_scale_f32 v11, vcc, v8, v17, v8
	s_add_i32 s6, s5, 4
	s_add_i32 s5, s5, 7
	ds_write_b32 v5, v1
	ds_write_b32 v7, v12
	;; [unrolled: 1-line block ×3, first 2 shown]
	s_cmp_ge_i32 s5, s18
	v_rcp_f32_e32 v13, v10
	v_fma_f32 v14, -v10, v13, 1.0
	v_fmac_f32_e32 v13, v14, v13
	v_mul_f32_e32 v14, v11, v13
	v_fma_f32 v15, -v10, v14, v11
	v_fmac_f32_e32 v14, v15, v13
	v_fma_f32 v10, -v10, v14, v11
	v_div_fmas_f32 v10, v10, v13, v14
	v_div_fixup_f32 v1, v10, v17, v8
	ds_write_b32 v6, v1
	s_cbranch_scc1 .LBB45_18
; %bb.17:                               ;   in Loop: Header=BB45_14 Depth=1
	s_mov_b32 s5, s6
	s_branch .LBB45_14
.LBB45_18:
	s_cmp_ge_i32 s6, s18
	s_cbranch_scc1 .LBB45_23
; %bb.19:
	v_mov_b32_e32 v1, 0x4000
	s_lshl_b32 s4, s6, 2
	v_lshl_or_b32 v1, v0, 2, v1
	s_branch .LBB45_21
.LBB45_20:                              ;   in Loop: Header=BB45_21 Depth=1
	s_lshl_b32 s7, s6, 2
	s_add_i32 s5, s7, s5
	v_mov_b32_e32 v5, s5
	ds_read_b32 v5, v5
	s_add_i32 s6, s6, 1
	s_add_i32 s4, s4, 4
	s_cmp_ge_i32 s6, s18
	s_waitcnt lgkmcnt(0)
	v_div_scale_f32 v6, s[16:17], v5, v5, v4
	v_div_scale_f32 v7, vcc, v4, v5, v4
	v_rcp_f32_e32 v8, v6
	v_fma_f32 v9, -v6, v8, 1.0
	v_fmac_f32_e32 v8, v9, v8
	v_mul_f32_e32 v9, v7, v8
	v_fma_f32 v10, -v6, v9, v7
	v_fmac_f32_e32 v9, v10, v8
	v_fma_f32 v6, -v6, v9, v7
	v_div_fmas_f32 v6, v6, v8, v9
	v_div_fixup_f32 v4, v6, v5, v4
	ds_write_b32 v2, v4
	s_cbranch_scc1 .LBB45_23
.LBB45_21:                              ; =>This Loop Header: Depth=1
                                        ;     Child Loop BB45_22 Depth 2
	s_lshl_b32 s5, s6, 8
	v_add_u32_e32 v2, s5, v3
	ds_read_b32 v4, v2
	s_cmp_eq_u32 s6, 0
	v_mov_b32_e32 v5, v1
	s_mov_b32 s7, s4
	s_mov_b32 s9, s6
	s_cbranch_scc1 .LBB45_20
.LBB45_22:                              ;   Parent Loop BB45_21 Depth=1
                                        ; =>  This Inner Loop Header: Depth=2
	v_mov_b32_e32 v7, s7
	ds_read_b32 v6, v5
	ds_read_b32 v7, v7
	s_add_i32 s9, s9, -1
	s_addk_i32 s7, 0x100
	v_add_u32_e32 v5, 0x100, v5
	s_cmp_eq_u32 s9, 0
	s_waitcnt lgkmcnt(0)
	v_fma_f32 v4, -v6, v7, v4
	s_cbranch_scc0 .LBB45_22
	s_branch .LBB45_20
.LBB45_23:
	s_mov_b64 s[4:5], 0
.LBB45_24:
	s_and_b64 vcc, exec, s[4:5]
	s_cbranch_vccz .LBB45_44
; %bb.25:
	s_andn2_b64 vcc, exec, s[2:3]
	s_mov_b32 s6, s8
	s_cbranch_vccnz .LBB45_31
; %bb.26:
	v_lshlrev_b32_e32 v1, 2, v0
	s_mul_i32 s4, s18, 0x104
	v_lshl_or_b32 v1, s18, 8, v1
	s_addk_i32 s4, 0xfef0
	v_add_u32_e32 v1, 0x3f00, v1
	s_mov_b32 s5, s8
.LBB45_27:                              ; =>This Loop Header: Depth=1
                                        ;     Child Loop BB45_28 Depth 2
	s_add_i32 s11, s5, -3
	v_lshl_add_u32 v2, s5, 8, v3
	s_add_i32 s9, s5, -1
	s_add_i32 s6, s5, -2
	s_lshl_b32 s7, s11, 8
	v_lshl_add_u32 v4, s9, 8, v3
	v_lshl_add_u32 v5, s6, 8, v3
	v_add_u32_e32 v6, s7, v3
	ds_read_b32 v10, v2
	ds_read_b32 v9, v4
	;; [unrolled: 1-line block ×4, first 2 shown]
	s_cmp_le_i32 s8, s5
	v_mov_b32_e32 v11, v1
	s_mov_b32 s13, s4
	s_mov_b32 s16, s8
	s_cbranch_scc1 .LBB45_29
.LBB45_28:                              ;   Parent Loop BB45_27 Depth=1
                                        ; =>  This Inner Loop Header: Depth=2
	v_mov_b32_e32 v14, s13
	ds_read_b32 v16, v11
	ds_read2_b32 v[12:13], v14 offset0:2 offset1:3
	ds_read2_b32 v[14:15], v14 offset1:1
	s_add_i32 s16, s16, -1
	s_addk_i32 s13, 0xff00
	v_add_u32_e32 v11, 0xffffff00, v11
	s_cmp_le_i32 s16, s5
	s_waitcnt lgkmcnt(1)
	v_fma_f32 v10, -v16, v13, v10
	v_fma_f32 v9, -v16, v12, v9
	s_waitcnt lgkmcnt(0)
	v_fma_f32 v8, -v16, v15, v8
	v_fma_f32 v7, -v16, v14, v7
	s_cbranch_scc0 .LBB45_28
.LBB45_29:                              ;   in Loop: Header=BB45_27 Depth=1
	s_lshl_b32 s13, s5, 2
	s_lshl_b32 s16, s9, 8
	s_add_i32 s16, s13, s16
	s_lshl_b32 s17, s5, 8
	s_add_i32 s16, s16, -4
	s_lshl_b32 s9, s9, 2
	s_add_i32 s17, s13, s17
	s_sub_i32 s9, s16, s9
	s_lshl_b32 s11, s11, 2
	s_add_i32 s19, s17, -4
	s_add_i32 s17, s17, -12
	s_add_i32 s9, s9, s11
	v_mov_b32_e32 v11, s19
	v_mov_b32_e32 v13, s16
	;; [unrolled: 1-line block ×4, first 2 shown]
	ds_read2_b32 v[11:12], v11 offset1:1
	ds_read_b32 v17, v13
	ds_read2_b32 v[13:14], v14 offset1:1
	ds_read2_b32 v[15:16], v15 offset1:1
	s_lshl_b32 s9, s6, 8
	s_waitcnt lgkmcnt(3)
	v_div_scale_f32 v18, s[16:17], v12, v12, v10
	v_div_scale_f32 v19, vcc, v10, v12, v10
	s_lshl_b32 s6, s6, 2
	s_add_i32 s9, s13, s9
	s_sub_i32 s6, s9, s6
	s_add_i32 s7, s13, s7
	s_add_i32 s6, s6, s11
	s_add_i32 s7, s7, -12
	s_add_i32 s6, s6, -8
	;; [unrolled: 1-line block ×3, first 2 shown]
	v_rcp_f32_e32 v20, v18
	v_fma_f32 v21, -v18, v20, 1.0
	v_fmac_f32_e32 v20, v21, v20
	v_mul_f32_e32 v21, v19, v20
	v_fma_f32 v22, -v18, v21, v19
	v_fmac_f32_e32 v21, v22, v20
	v_fma_f32 v18, -v18, v21, v19
	v_div_fmas_f32 v18, v18, v20, v21
	v_div_fixup_f32 v12, v18, v12, v10
	v_fma_f32 v11, -v12, v11, v9
	s_waitcnt lgkmcnt(2)
	v_div_scale_f32 v9, s[16:17], v17, v17, v11
	v_div_scale_f32 v10, vcc, v11, v17, v11
	s_waitcnt lgkmcnt(1)
	v_fma_f32 v8, -v12, v14, v8
	v_fma_f32 v7, -v12, v13, v7
	v_rcp_f32_e32 v18, v9
	v_fma_f32 v19, -v9, v18, 1.0
	v_fmac_f32_e32 v18, v19, v18
	v_mul_f32_e32 v19, v10, v18
	v_fma_f32 v20, -v9, v19, v10
	v_fmac_f32_e32 v19, v20, v18
	v_fma_f32 v9, -v9, v19, v10
	v_div_fmas_f32 v18, v9, v18, v19
	v_mov_b32_e32 v19, s7
	v_mov_b32_e32 v9, s6
	ds_read2_b32 v[9:10], v9 offset1:1
	ds_read_b32 v19, v19
	v_div_fixup_f32 v11, v18, v17, v11
	s_waitcnt lgkmcnt(2)
	v_fma_f32 v8, -v11, v16, v8
	s_waitcnt lgkmcnt(1)
	v_div_scale_f32 v14, s[6:7], v10, v10, v8
	v_div_scale_f32 v16, vcc, v8, v10, v8
	v_fma_f32 v7, -v11, v15, v7
	v_rcp_f32_e32 v17, v14
	v_fma_f32 v18, -v14, v17, 1.0
	v_fmac_f32_e32 v17, v18, v17
	v_mul_f32_e32 v18, v16, v17
	v_fma_f32 v20, -v14, v18, v16
	v_fmac_f32_e32 v18, v20, v17
	v_fma_f32 v14, -v14, v18, v16
	v_div_fmas_f32 v14, v14, v17, v18
	v_div_fixup_f32 v8, v14, v10, v8
	v_fma_f32 v7, -v8, v9, v7
	s_waitcnt lgkmcnt(0)
	v_div_scale_f32 v9, s[6:7], v19, v19, v7
	v_div_scale_f32 v10, vcc, v7, v19, v7
	s_add_i32 s6, s5, -4
	ds_write_b32 v2, v12
	ds_write_b32 v4, v11
	;; [unrolled: 1-line block ×3, first 2 shown]
	s_cmp_lt_i32 s5, 7
	v_rcp_f32_e32 v13, v9
	v_fma_f32 v14, -v9, v13, 1.0
	v_fmac_f32_e32 v13, v14, v13
	v_mul_f32_e32 v14, v10, v13
	v_fma_f32 v15, -v9, v14, v10
	v_fmac_f32_e32 v14, v15, v13
	v_fma_f32 v9, -v9, v14, v10
	v_div_fmas_f32 v9, v9, v13, v14
	v_div_fixup_f32 v2, v9, v19, v7
	ds_write_b32 v6, v2
	s_cbranch_scc1 .LBB45_31
; %bb.30:                               ;   in Loop: Header=BB45_27 Depth=1
	s_mov_b32 s5, s6
	s_branch .LBB45_27
.LBB45_31:
	s_cmp_lt_i32 s6, 0
	s_cbranch_scc1 .LBB45_44
; %bb.32:
	s_bitcmp1_b32 s6, 0
	s_cselect_b64 s[4:5], -1, 0
	s_and_b64 vcc, exec, s[4:5]
	s_mov_b32 s4, s6
	s_cbranch_vccnz .LBB45_37
; %bb.33:
	s_lshl_b32 s4, s6, 8
	v_add_u32_e32 v1, s4, v3
	ds_read_b32 v2, v1
	s_cmp_le_i32 s8, s6
	s_cbranch_scc1 .LBB45_36
; %bb.34:
	s_lshl_b32 s7, s18, 8
	s_lshl_b32 s5, s6, 2
	s_add_i32 s5, s7, s5
	v_lshl_or_b32 v4, v0, 2, s7
	s_addk_i32 s5, 0xff00
	v_add_u32_e32 v4, 0x3f00, v4
	s_mov_b32 s7, s8
.LBB45_35:                              ; =>This Inner Loop Header: Depth=1
	v_mov_b32_e32 v6, s5
	ds_read_b32 v5, v4
	ds_read_b32 v6, v6
	s_add_i32 s7, s7, -1
	s_addk_i32 s5, 0xff00
	v_add_u32_e32 v4, 0xffffff00, v4
	s_cmp_gt_u32 s7, s6
	s_waitcnt lgkmcnt(0)
	v_fma_f32 v2, -v5, v6, v2
	s_cbranch_scc1 .LBB45_35
.LBB45_36:
	s_lshl_b32 s5, s6, 2
	s_add_i32 s4, s5, s4
	v_mov_b32_e32 v4, s4
	ds_read_b32 v4, v4
	s_waitcnt lgkmcnt(0)
	v_div_scale_f32 v5, s[4:5], v4, v4, v2
	v_div_scale_f32 v6, vcc, v2, v4, v2
	s_add_i32 s4, s6, -1
	v_rcp_f32_e32 v7, v5
	v_fma_f32 v8, -v5, v7, 1.0
	v_fmac_f32_e32 v7, v8, v7
	v_mul_f32_e32 v8, v6, v7
	v_fma_f32 v9, -v5, v8, v6
	v_fmac_f32_e32 v8, v9, v7
	v_fma_f32 v5, -v5, v8, v6
	v_div_fmas_f32 v5, v5, v7, v8
	v_div_fixup_f32 v2, v5, v4, v2
	ds_write_b32 v1, v2
.LBB45_37:
	s_cmp_eq_u32 s6, 0
	s_cbranch_scc1 .LBB45_44
; %bb.38:
	s_lshl_b32 s6, s18, 8
	s_lshl_b32 s5, s4, 2
	s_add_i32 s7, s6, s5
	v_lshl_or_b32 v1, v0, 2, s6
	s_add_i32 s5, s7, 0xffffff00
	v_add_u32_e32 v1, 0x3f00, v1
	s_add_i32 s6, s7, 0xfffffefc
	s_branch .LBB45_40
.LBB45_39:                              ;   in Loop: Header=BB45_40 Depth=1
	s_add_i32 s9, s9, s11
	s_add_i32 s9, s9, -4
	v_mov_b32_e32 v4, s9
	ds_read_b32 v4, v4
	s_add_i32 s4, s4, -2
	s_add_i32 s5, s5, -8
	;; [unrolled: 1-line block ×3, first 2 shown]
	s_cmp_eq_u32 s7, 0
	s_waitcnt lgkmcnt(0)
	v_div_scale_f32 v6, s[16:17], v4, v4, v5
	v_div_scale_f32 v7, vcc, v5, v4, v5
	v_rcp_f32_e32 v8, v6
	v_fma_f32 v9, -v6, v8, 1.0
	v_fmac_f32_e32 v8, v9, v8
	v_mul_f32_e32 v9, v7, v8
	v_fma_f32 v10, -v6, v9, v7
	v_fmac_f32_e32 v9, v10, v8
	v_fma_f32 v6, -v6, v9, v7
	v_div_fmas_f32 v6, v6, v8, v9
	v_div_fixup_f32 v4, v6, v4, v5
	ds_write_b32 v2, v4
	s_cbranch_scc1 .LBB45_44
.LBB45_40:                              ; =>This Loop Header: Depth=1
                                        ;     Child Loop BB45_41 Depth 2
                                        ;     Child Loop BB45_43 Depth 2
	s_lshl_b32 s7, s4, 8
	v_add_u32_e32 v4, s7, v3
	ds_read_b32 v6, v4
	s_cmp_le_i32 s8, s4
	v_mov_b32_e32 v2, v1
	s_mov_b32 s9, s5
	s_mov_b32 s11, s8
	s_cbranch_scc1 .LBB45_42
.LBB45_41:                              ;   Parent Loop BB45_40 Depth=1
                                        ; =>  This Inner Loop Header: Depth=2
	v_mov_b32_e32 v7, s9
	ds_read_b32 v5, v2
	ds_read_b32 v7, v7
	s_add_i32 s11, s11, -1
	s_addk_i32 s9, 0xff00
	v_add_u32_e32 v2, 0xffffff00, v2
	s_cmp_le_u32 s11, s4
	s_waitcnt lgkmcnt(0)
	v_fma_f32 v6, -v5, v7, v6
	s_cbranch_scc0 .LBB45_41
.LBB45_42:                              ;   in Loop: Header=BB45_40 Depth=1
	s_lshl_b32 s9, s4, 2
	s_add_i32 s7, s9, s7
	v_mov_b32_e32 v2, s7
	ds_read_b32 v8, v2
	s_add_i32 s7, s4, -1
	s_lshl_b32 s11, s7, 8
	v_add_u32_e32 v2, s11, v3
	ds_read_b32 v5, v2
	s_waitcnt lgkmcnt(1)
	v_div_scale_f32 v7, s[16:17], v8, v8, v6
	v_div_scale_f32 v9, vcc, v6, v8, v6
	s_mov_b32 s13, s6
	s_cmp_le_i32 s18, s4
	s_mov_b32 s16, s8
	v_rcp_f32_e32 v10, v7
	v_fma_f32 v11, -v7, v10, 1.0
	v_fmac_f32_e32 v10, v11, v10
	v_mul_f32_e32 v11, v9, v10
	v_fma_f32 v12, -v7, v11, v9
	v_fmac_f32_e32 v11, v12, v10
	v_fma_f32 v7, -v7, v11, v9
	v_div_fmas_f32 v9, v7, v10, v11
	v_mov_b32_e32 v7, v1
	v_div_fixup_f32 v6, v9, v8, v6
	ds_write_b32 v4, v6
	s_cbranch_scc1 .LBB45_39
.LBB45_43:                              ;   Parent Loop BB45_40 Depth=1
                                        ; =>  This Inner Loop Header: Depth=2
	v_mov_b32_e32 v6, s13
	ds_read_b32 v4, v7
	ds_read_b32 v6, v6
	s_add_i32 s16, s16, -1
	s_addk_i32 s13, 0xff00
	v_add_u32_e32 v7, 0xffffff00, v7
	s_cmp_gt_u32 s16, s7
	s_waitcnt lgkmcnt(0)
	v_fma_f32 v5, -v4, v6, v5
	s_cbranch_scc1 .LBB45_43
	s_branch .LBB45_39
.LBB45_44:
	s_mov_b64 s[6:7], 0
.LBB45_45:
	s_andn2_b64 vcc, exec, s[6:7]
	s_cbranch_vccnz .LBB45_65
; %bb.46:
	s_andn2_b64 vcc, exec, s[2:3]
	s_mov_b32 s4, s8
	s_cbranch_vccnz .LBB45_52
; %bb.47:
	v_lshlrev_b32_e32 v1, 2, v0
	v_lshl_or_b32 v1, s18, 8, v1
	s_mul_i32 s2, s18, 0x104
	v_add_u32_e32 v1, 0x3f00, v1
	s_addk_i32 s2, 0xfbfc
	s_mov_b32 s3, s8
.LBB45_48:                              ; =>This Loop Header: Depth=1
                                        ;     Child Loop BB45_49 Depth 2
	v_lshl_add_u32 v2, s3, 8, v3
	s_add_i32 s7, s3, -1
	s_add_i32 s5, s3, -2
	;; [unrolled: 1-line block ×3, first 2 shown]
	v_lshl_add_u32 v4, s7, 8, v3
	v_lshl_add_u32 v5, s5, 8, v3
	;; [unrolled: 1-line block ×3, first 2 shown]
	ds_read_b32 v10, v2
	ds_read_b32 v9, v4
	;; [unrolled: 1-line block ×4, first 2 shown]
	s_cmp_le_i32 s8, s3
	s_mov_b32 s6, s2
	v_mov_b32_e32 v11, v1
	s_mov_b32 s9, s8
	s_cbranch_scc1 .LBB45_50
.LBB45_49:                              ;   Parent Loop BB45_48 Depth=1
                                        ; =>  This Inner Loop Header: Depth=2
	v_mov_b32_e32 v14, s6
	ds_read_b32 v16, v11
	ds_read2st64_b32 v[12:13], v14 offset0:2 offset1:3
	ds_read2st64_b32 v[14:15], v14 offset1:1
	s_add_i32 s9, s9, -1
	s_add_i32 s6, s6, -4
	v_add_u32_e32 v11, 0xffffff00, v11
	s_cmp_le_i32 s9, s3
	s_waitcnt lgkmcnt(1)
	v_fma_f32 v10, -v16, v13, v10
	v_fma_f32 v9, -v16, v12, v9
	s_waitcnt lgkmcnt(0)
	v_fma_f32 v8, -v16, v15, v8
	v_fma_f32 v7, -v16, v14, v7
	s_cbranch_scc0 .LBB45_49
.LBB45_50:                              ;   in Loop: Header=BB45_48 Depth=1
	s_lshl_b32 s11, s7, 6
	s_lshl_b32 s11, s11, 2
	;; [unrolled: 1-line block ×4, first 2 shown]
	s_add_i32 s7, s11, s7
	v_mov_b32_e32 v12, s7
	s_lshl_b32 s7, s9, 2
	s_lshl_b32 s9, s3, 2
	;; [unrolled: 1-line block ×3, first 2 shown]
	s_mul_i32 s13, s3, 0x104
	s_add_i32 s11, s7, s9
	s_add_i32 s5, s7, s5
	v_mov_b32_e32 v11, s13
	v_mov_b32_e32 v13, s11
	;; [unrolled: 1-line block ×3, first 2 shown]
	ds_read_b32 v15, v11
	ds_read2_b32 v[11:12], v12 offset1:1
	ds_read_b32 v16, v13
	ds_read2_b32 v[13:14], v14 offset1:1
	s_lshl_b32 s6, s4, 6
	s_waitcnt lgkmcnt(3)
	v_div_scale_f32 v17, s[16:17], v15, v15, v10
	v_div_scale_f32 v18, vcc, v10, v15, v10
	s_lshl_b32 s5, s6, 2
	s_add_i32 s6, s5, s9
	s_add_i32 s6, s6, -4
	s_lshl_b32 s4, s4, 2
	s_add_i32 s4, s5, s4
	s_addk_i32 s2, 0xfc00
	v_rcp_f32_e32 v19, v17
	v_fma_f32 v20, -v17, v19, 1.0
	v_fmac_f32_e32 v19, v20, v19
	v_mul_f32_e32 v20, v18, v19
	v_fma_f32 v21, -v17, v20, v18
	v_fmac_f32_e32 v20, v21, v19
	v_fma_f32 v17, -v17, v20, v18
	v_div_fmas_f32 v17, v17, v19, v20
	v_div_fixup_f32 v15, v17, v15, v10
	s_waitcnt lgkmcnt(2)
	v_fma_f32 v9, -v15, v12, v9
	v_div_scale_f32 v10, s[16:17], v11, v11, v9
	v_div_scale_f32 v12, vcc, v9, v11, v9
	s_waitcnt lgkmcnt(1)
	v_fma_f32 v8, -v15, v16, v8
	v_rcp_f32_e32 v17, v10
	v_fma_f32 v18, -v10, v17, 1.0
	v_fmac_f32_e32 v17, v18, v17
	v_mul_f32_e32 v18, v12, v17
	v_fma_f32 v19, -v10, v18, v12
	v_fmac_f32_e32 v18, v19, v17
	v_fma_f32 v10, -v10, v18, v12
	v_div_fmas_f32 v10, v10, v17, v18
	v_div_fixup_f32 v12, v10, v11, v9
	s_waitcnt lgkmcnt(0)
	v_fma_f32 v14, -v12, v14, v8
	v_div_scale_f32 v8, s[16:17], v13, v13, v14
	v_div_scale_f32 v9, vcc, v14, v13, v14
	v_rcp_f32_e32 v10, v8
	v_fma_f32 v11, -v8, v10, 1.0
	v_fmac_f32_e32 v10, v11, v10
	v_mul_f32_e32 v11, v9, v10
	v_fma_f32 v16, -v8, v11, v9
	v_fmac_f32_e32 v11, v16, v10
	v_fma_f32 v8, -v8, v11, v9
	v_div_fmas_f32 v16, v8, v10, v11
	v_mov_b32_e32 v8, s6
	ds_read2_b32 v[8:9], v8 offset1:1
	v_mov_b32_e32 v10, s4
	ds_read2_b32 v[10:11], v10 offset1:1
	s_waitcnt lgkmcnt(1)
	v_fma_f32 v7, -v15, v9, v7
	v_fma_f32 v7, -v12, v8, v7
	v_div_fixup_f32 v8, v16, v13, v14
	s_waitcnt lgkmcnt(0)
	v_fma_f32 v7, -v8, v11, v7
	v_div_scale_f32 v9, s[4:5], v10, v10, v7
	v_div_scale_f32 v11, vcc, v7, v10, v7
	s_add_i32 s4, s3, -4
	ds_write_b32 v2, v15
	ds_write_b32 v4, v12
	;; [unrolled: 1-line block ×3, first 2 shown]
	s_cmp_lt_i32 s3, 7
	v_rcp_f32_e32 v13, v9
	v_fma_f32 v14, -v9, v13, 1.0
	v_fmac_f32_e32 v13, v14, v13
	v_mul_f32_e32 v14, v11, v13
	v_fma_f32 v16, -v9, v14, v11
	v_fmac_f32_e32 v14, v16, v13
	v_fma_f32 v9, -v9, v14, v11
	v_div_fmas_f32 v9, v9, v13, v14
	v_div_fixup_f32 v2, v9, v10, v7
	ds_write_b32 v6, v2
	s_cbranch_scc1 .LBB45_52
; %bb.51:                               ;   in Loop: Header=BB45_48 Depth=1
	s_mov_b32 s3, s4
	s_branch .LBB45_48
.LBB45_52:
	s_cmp_lt_i32 s4, 0
	s_cbranch_scc1 .LBB45_65
; %bb.53:
	s_bitcmp1_b32 s4, 0
	s_cselect_b64 s[2:3], -1, 0
	s_and_b64 vcc, exec, s[2:3]
	s_mov_b32 s2, s4
	s_cbranch_vccnz .LBB45_58
; %bb.54:
	v_lshl_add_u32 v1, s4, 8, v3
	ds_read_b32 v2, v1
	s_cmp_le_i32 s8, s4
	s_cbranch_scc1 .LBB45_57
; %bb.55:
	s_lshl_b32 s2, s4, 8
	s_lshl_b32 s3, s18, 2
	v_lshlrev_b32_e32 v4, 2, v0
	s_add_i32 s2, s2, s3
	v_lshl_or_b32 v4, s18, 8, v4
	s_add_i32 s2, s2, -4
	v_add_u32_e32 v4, 0x3f00, v4
	s_mov_b32 s3, s8
.LBB45_56:                              ; =>This Inner Loop Header: Depth=1
	v_mov_b32_e32 v6, s2
	ds_read_b32 v5, v4
	ds_read_b32 v6, v6
	s_add_i32 s3, s3, -1
	s_add_i32 s2, s2, -4
	v_add_u32_e32 v4, 0xffffff00, v4
	s_cmp_gt_u32 s3, s4
	s_waitcnt lgkmcnt(0)
	v_fma_f32 v2, -v5, v6, v2
	s_cbranch_scc1 .LBB45_56
.LBB45_57:
	s_mul_i32 s2, s4, 0x104
	v_mov_b32_e32 v4, s2
	ds_read_b32 v4, v4
	s_waitcnt lgkmcnt(0)
	v_div_scale_f32 v5, s[2:3], v4, v4, v2
	v_div_scale_f32 v6, vcc, v2, v4, v2
	s_add_i32 s2, s4, -1
	v_rcp_f32_e32 v7, v5
	v_fma_f32 v8, -v5, v7, 1.0
	v_fmac_f32_e32 v7, v8, v7
	v_mul_f32_e32 v8, v6, v7
	v_fma_f32 v9, -v5, v8, v6
	v_fmac_f32_e32 v8, v9, v7
	v_fma_f32 v5, -v5, v8, v6
	v_div_fmas_f32 v5, v5, v7, v8
	v_div_fixup_f32 v2, v5, v4, v2
	ds_write_b32 v1, v2
.LBB45_58:
	s_cmp_eq_u32 s4, 0
	s_cbranch_scc1 .LBB45_65
; %bb.59:
	v_lshlrev_b32_e32 v1, 2, v0
	s_lshl_b32 s3, s2, 8
	s_lshl_b32 s4, s18, 2
	v_lshl_or_b32 v1, s18, 8, v1
	s_add_i32 s4, s3, s4
	v_add_u32_e32 v1, 0x3f00, v1
	s_add_i32 s3, s4, -4
	s_addk_i32 s4, 0xfefc
	s_branch .LBB45_61
.LBB45_60:                              ;   in Loop: Header=BB45_61 Depth=1
	s_addk_i32 s6, 0xfefc
	v_mov_b32_e32 v4, s6
	ds_read_b32 v4, v4
	s_add_i32 s2, s2, -2
	s_addk_i32 s3, 0xfe00
	s_addk_i32 s4, 0xfe00
	s_cmp_eq_u32 s5, 0
	s_waitcnt lgkmcnt(0)
	v_div_scale_f32 v6, s[6:7], v4, v4, v5
	v_div_scale_f32 v7, vcc, v5, v4, v5
	v_rcp_f32_e32 v8, v6
	v_fma_f32 v9, -v6, v8, 1.0
	v_fmac_f32_e32 v8, v9, v8
	v_mul_f32_e32 v9, v7, v8
	v_fma_f32 v10, -v6, v9, v7
	v_fmac_f32_e32 v9, v10, v8
	v_fma_f32 v6, -v6, v9, v7
	v_div_fmas_f32 v6, v6, v8, v9
	v_div_fixup_f32 v4, v6, v4, v5
	ds_write_b32 v2, v4
	s_cbranch_scc1 .LBB45_65
.LBB45_61:                              ; =>This Loop Header: Depth=1
                                        ;     Child Loop BB45_62 Depth 2
                                        ;     Child Loop BB45_64 Depth 2
	v_lshl_add_u32 v4, s2, 8, v3
	ds_read_b32 v6, v4
	s_cmp_le_i32 s8, s2
	s_mov_b32 s5, s3
	v_mov_b32_e32 v2, v1
	s_mov_b32 s6, s8
	s_cbranch_scc1 .LBB45_63
.LBB45_62:                              ;   Parent Loop BB45_61 Depth=1
                                        ; =>  This Inner Loop Header: Depth=2
	v_mov_b32_e32 v7, s5
	ds_read_b32 v5, v2
	ds_read_b32 v7, v7
	s_add_i32 s6, s6, -1
	s_add_i32 s5, s5, -4
	v_add_u32_e32 v2, 0xffffff00, v2
	s_cmp_le_u32 s6, s2
	s_waitcnt lgkmcnt(0)
	v_fma_f32 v6, -v5, v7, v6
	s_cbranch_scc0 .LBB45_62
.LBB45_63:                              ;   in Loop: Header=BB45_61 Depth=1
	s_mul_i32 s6, s2, 0x104
	v_mov_b32_e32 v2, s6
	ds_read_b32 v8, v2
	s_add_i32 s5, s2, -1
	v_lshl_add_u32 v2, s5, 8, v3
	ds_read_b32 v5, v2
	s_mov_b32 s7, s4
	s_waitcnt lgkmcnt(1)
	v_div_scale_f32 v7, s[16:17], v8, v8, v6
	v_div_scale_f32 v9, vcc, v6, v8, v6
	s_cmp_le_i32 s18, s2
	s_mov_b32 s9, s8
	v_rcp_f32_e32 v10, v7
	v_fma_f32 v11, -v7, v10, 1.0
	v_fmac_f32_e32 v10, v11, v10
	v_mul_f32_e32 v11, v9, v10
	v_fma_f32 v12, -v7, v11, v9
	v_fmac_f32_e32 v11, v12, v10
	v_fma_f32 v7, -v7, v11, v9
	v_div_fmas_f32 v9, v7, v10, v11
	v_mov_b32_e32 v7, v1
	v_div_fixup_f32 v6, v9, v8, v6
	ds_write_b32 v4, v6
	s_cbranch_scc1 .LBB45_60
.LBB45_64:                              ;   Parent Loop BB45_61 Depth=1
                                        ; =>  This Inner Loop Header: Depth=2
	v_mov_b32_e32 v6, s7
	ds_read_b32 v4, v7
	ds_read_b32 v6, v6
	s_add_i32 s9, s9, -1
	s_add_i32 s7, s7, -4
	v_add_u32_e32 v7, 0xffffff00, v7
	s_cmp_gt_u32 s9, s5
	s_waitcnt lgkmcnt(0)
	v_fma_f32 v5, -v4, v6, v5
	s_cbranch_scc1 .LBB45_64
	s_branch .LBB45_60
.LBB45_65:
	s_mov_b64 s[6:7], 0
.LBB45_66:
	s_andn2_b64 vcc, exec, s[6:7]
	s_cbranch_vccnz .LBB45_78
; %bb.67:
	v_mov_b32_e32 v1, 0x4000
	v_lshl_or_b32 v1, v0, 2, v1
	s_cmp_lt_i32 s12, 4
	s_mov_b32 s4, 0
	s_cbranch_scc1 .LBB45_73
; %bb.68:
	s_mov_b32 s2, 0
	s_mov_b32 s3, 0
.LBB45_69:                              ; =>This Loop Header: Depth=1
                                        ;     Child Loop BB45_70 Depth 2
	s_or_b32 s4, s3, 3
	v_lshl_add_u32 v2, s3, 8, v1
	s_or_b32 s5, s3, 1
	s_or_b32 s6, s3, 2
	v_lshl_add_u32 v3, s5, 8, v1
	v_lshl_add_u32 v5, s6, 8, v1
	;; [unrolled: 1-line block ×3, first 2 shown]
	ds_read_b32 v9, v2
	ds_read_b32 v8, v3
	;; [unrolled: 1-line block ×4, first 2 shown]
	s_cmp_eq_u32 s3, 0
	s_mov_b32 s7, s2
	v_mov_b32_e32 v10, v1
	s_mov_b32 s8, s3
	s_cbranch_scc1 .LBB45_71
.LBB45_70:                              ;   Parent Loop BB45_69 Depth=1
                                        ; =>  This Inner Loop Header: Depth=2
	v_mov_b32_e32 v13, s7
	ds_read_b32 v15, v10
	ds_read2st64_b32 v[11:12], v13 offset1:1
	ds_read2st64_b32 v[13:14], v13 offset0:2 offset1:3
	s_add_i32 s8, s8, -1
	s_add_i32 s7, s7, 4
	v_add_u32_e32 v10, 0x100, v10
	s_cmp_eq_u32 s8, 0
	s_waitcnt lgkmcnt(1)
	v_fma_f32 v9, -v15, v11, v9
	v_fma_f32 v8, -v15, v12, v8
	s_waitcnt lgkmcnt(0)
	v_fma_f32 v7, -v15, v13, v7
	v_fma_f32 v6, -v15, v14, v6
	s_cbranch_scc0 .LBB45_70
.LBB45_71:                              ;   in Loop: Header=BB45_69 Depth=1
	s_lshl_b32 s7, s5, 6
	s_lshl_b32 s5, s6, 6
	s_mul_i32 s6, s3, 0x104
	v_mov_b32_e32 v10, s6
	ds_read_b32 v15, v10
	s_lshl_b32 s6, s7, 2
	s_lshl_b32 s8, s3, 2
	s_add_i32 s6, s6, s8
	v_mov_b32_e32 v10, s6
	s_waitcnt lgkmcnt(0)
	v_div_scale_f32 v16, s[6:7], v15, v15, v9
	v_div_scale_f32 v17, vcc, v9, v15, v9
	s_lshl_b32 s5, s5, 2
	s_add_i32 s5, s5, s8
	v_mov_b32_e32 v11, s5
	ds_read_b64 v[13:14], v10
	ds_read_b96 v[10:12], v11
	s_lshl_b32 s4, s4, 6
	s_lshl_b32 s4, s4, 2
	s_add_i32 s4, s4, s8
	s_addk_i32 s2, 0x400
	v_rcp_f32_e32 v18, v16
	v_fma_f32 v19, -v16, v18, 1.0
	v_fmac_f32_e32 v18, v19, v18
	v_mul_f32_e32 v19, v17, v18
	v_fma_f32 v20, -v16, v19, v17
	v_fmac_f32_e32 v19, v20, v18
	v_fma_f32 v16, -v16, v19, v17
	v_div_fmas_f32 v16, v16, v18, v19
	v_div_fixup_f32 v15, v16, v15, v9
	s_waitcnt lgkmcnt(1)
	v_fma_f32 v8, -v15, v13, v8
	v_div_scale_f32 v9, s[6:7], v14, v14, v8
	v_div_scale_f32 v13, vcc, v8, v14, v8
	s_waitcnt lgkmcnt(0)
	v_fma_f32 v7, -v15, v10, v7
	v_rcp_f32_e32 v16, v9
	v_fma_f32 v17, -v9, v16, 1.0
	v_fmac_f32_e32 v16, v17, v16
	v_mul_f32_e32 v17, v13, v16
	v_fma_f32 v18, -v9, v17, v13
	v_fmac_f32_e32 v17, v18, v16
	v_fma_f32 v9, -v9, v17, v13
	v_div_fmas_f32 v9, v9, v16, v17
	v_div_fixup_f32 v13, v9, v14, v8
	v_fma_f32 v11, -v13, v11, v7
	v_div_scale_f32 v7, s[6:7], v12, v12, v11
	v_div_scale_f32 v8, vcc, v11, v12, v11
	v_rcp_f32_e32 v9, v7
	v_fma_f32 v10, -v7, v9, 1.0
	v_fmac_f32_e32 v9, v10, v9
	v_mul_f32_e32 v10, v8, v9
	v_fma_f32 v14, -v7, v10, v8
	v_fmac_f32_e32 v10, v14, v9
	v_fma_f32 v7, -v7, v10, v8
	v_div_fmas_f32 v14, v7, v9, v10
	v_mov_b32_e32 v7, s4
	ds_read_b128 v[7:10], v7
	s_waitcnt lgkmcnt(0)
	v_fma_f32 v6, -v15, v7, v6
	v_fma_f32 v6, -v13, v8, v6
	v_div_fixup_f32 v7, v14, v12, v11
	v_fma_f32 v6, -v7, v9, v6
	v_div_scale_f32 v8, s[4:5], v10, v10, v6
	v_div_scale_f32 v9, vcc, v6, v10, v6
	s_add_i32 s4, s3, 4
	s_add_i32 s3, s3, 7
	ds_write_b32 v2, v15
	ds_write_b32 v3, v13
	;; [unrolled: 1-line block ×3, first 2 shown]
	s_cmp_ge_i32 s3, s18
	v_rcp_f32_e32 v11, v8
	v_fma_f32 v12, -v8, v11, 1.0
	v_fmac_f32_e32 v11, v12, v11
	v_mul_f32_e32 v12, v9, v11
	v_fma_f32 v14, -v8, v12, v9
	v_fmac_f32_e32 v12, v14, v11
	v_fma_f32 v8, -v8, v12, v9
	v_div_fmas_f32 v8, v8, v11, v12
	v_div_fixup_f32 v2, v8, v10, v6
	ds_write_b32 v4, v2
	s_cbranch_scc1 .LBB45_73
; %bb.72:                               ;   in Loop: Header=BB45_69 Depth=1
	s_mov_b32 s3, s4
	s_branch .LBB45_69
.LBB45_73:
	s_cmp_ge_i32 s4, s18
	s_cbranch_scc1 .LBB45_78
; %bb.74:
	v_mov_b32_e32 v2, 0x4000
	v_lshl_or_b32 v2, v0, 2, v2
	s_lshl_b32 s2, s4, 8
	s_branch .LBB45_76
.LBB45_75:                              ;   in Loop: Header=BB45_76 Depth=1
	s_mul_i32 s3, s4, 0x104
	v_mov_b32_e32 v5, s3
	ds_read_b32 v5, v5
	s_add_i32 s4, s4, 1
	s_addk_i32 s2, 0x100
	s_cmp_ge_i32 s4, s18
	s_waitcnt lgkmcnt(0)
	v_div_scale_f32 v6, s[6:7], v5, v5, v4
	v_div_scale_f32 v7, vcc, v4, v5, v4
	v_rcp_f32_e32 v8, v6
	v_fma_f32 v9, -v6, v8, 1.0
	v_fmac_f32_e32 v8, v9, v8
	v_mul_f32_e32 v9, v7, v8
	v_fma_f32 v10, -v6, v9, v7
	v_fmac_f32_e32 v9, v10, v8
	v_fma_f32 v6, -v6, v9, v7
	v_div_fmas_f32 v6, v6, v8, v9
	v_div_fixup_f32 v4, v6, v5, v4
	ds_write_b32 v3, v4
	s_cbranch_scc1 .LBB45_78
.LBB45_76:                              ; =>This Loop Header: Depth=1
                                        ;     Child Loop BB45_77 Depth 2
	v_lshl_add_u32 v3, s4, 8, v1
	ds_read_b32 v4, v3
	s_cmp_eq_u32 s4, 0
	s_mov_b32 s3, s2
	v_mov_b32_e32 v5, v2
	s_mov_b32 s5, s4
	s_cbranch_scc1 .LBB45_75
.LBB45_77:                              ;   Parent Loop BB45_76 Depth=1
                                        ; =>  This Inner Loop Header: Depth=2
	v_mov_b32_e32 v7, s3
	ds_read_b32 v6, v5
	ds_read_b32 v7, v7
	s_add_i32 s5, s5, -1
	s_add_i32 s3, s3, 4
	v_add_u32_e32 v5, 0x100, v5
	s_cmp_eq_u32 s5, 0
	s_waitcnt lgkmcnt(0)
	v_fma_f32 v4, -v6, v7, v4
	s_cbranch_scc0 .LBB45_77
	s_branch .LBB45_75
.LBB45_78:
	s_and_saveexec_b64 s[2:3], s[0:1]
	s_cbranch_execz .LBB45_82
; %bb.79:
	s_cmp_lt_i32 s12, 1
	s_cbranch_scc1 .LBB45_82
; %bb.80:
	s_ashr_i32 s11, s10, 31
	v_lshlrev_b32_e32 v2, 2, v0
	v_mov_b32_e32 v1, s15
	v_add_co_u32_e32 v0, vcc, s14, v2
	s_lshl_b64 s[0:1], s[10:11], 2
	v_addc_co_u32_e32 v1, vcc, 0, v1, vcc
	v_or_b32_e32 v2, 0x4000, v2
	v_mov_b32_e32 v3, s1
.LBB45_81:                              ; =>This Inner Loop Header: Depth=1
	ds_read_b32 v4, v2
	s_add_i32 s12, s12, -1
	v_add_u32_e32 v2, 0x100, v2
	s_cmp_lg_u32 s12, 0
	s_waitcnt lgkmcnt(0)
	global_store_dword v[0:1], v4, off
	v_add_co_u32_e32 v0, vcc, s0, v0
	v_addc_co_u32_e32 v1, vcc, v1, v3, vcc
	s_cbranch_scc1 .LBB45_81
.LBB45_82:
	s_endpgm
	.section	.rodata,"a",@progbits
	.p2align	6, 0x0
	.amdhsa_kernel _ZL31rocblas_trsm_small_right_deviceIffPKfPfLi64EEv13rocblas_fill_18rocblas_operation_17rocblas_diagonal_iiT0_T1_lilT2_lili
		.amdhsa_group_segment_fixed_size 32768
		.amdhsa_private_segment_fixed_size 0
		.amdhsa_kernarg_size 352
		.amdhsa_user_sgpr_count 6
		.amdhsa_user_sgpr_private_segment_buffer 1
		.amdhsa_user_sgpr_dispatch_ptr 0
		.amdhsa_user_sgpr_queue_ptr 0
		.amdhsa_user_sgpr_kernarg_segment_ptr 1
		.amdhsa_user_sgpr_dispatch_id 0
		.amdhsa_user_sgpr_flat_scratch_init 0
		.amdhsa_user_sgpr_private_segment_size 0
		.amdhsa_uses_dynamic_stack 0
		.amdhsa_system_sgpr_private_segment_wavefront_offset 0
		.amdhsa_system_sgpr_workgroup_id_x 1
		.amdhsa_system_sgpr_workgroup_id_y 0
		.amdhsa_system_sgpr_workgroup_id_z 1
		.amdhsa_system_sgpr_workgroup_info 0
		.amdhsa_system_vgpr_workitem_id 0
		.amdhsa_next_free_vgpr 129
		.amdhsa_next_free_sgpr 98
		.amdhsa_reserve_vcc 1
		.amdhsa_reserve_flat_scratch 0
		.amdhsa_float_round_mode_32 0
		.amdhsa_float_round_mode_16_64 0
		.amdhsa_float_denorm_mode_32 3
		.amdhsa_float_denorm_mode_16_64 3
		.amdhsa_dx10_clamp 1
		.amdhsa_ieee_mode 1
		.amdhsa_fp16_overflow 0
		.amdhsa_exception_fp_ieee_invalid_op 0
		.amdhsa_exception_fp_denorm_src 0
		.amdhsa_exception_fp_ieee_div_zero 0
		.amdhsa_exception_fp_ieee_overflow 0
		.amdhsa_exception_fp_ieee_underflow 0
		.amdhsa_exception_fp_ieee_inexact 0
		.amdhsa_exception_int_div_zero 0
	.end_amdhsa_kernel
	.section	.text._ZL31rocblas_trsm_small_right_deviceIffPKfPfLi64EEv13rocblas_fill_18rocblas_operation_17rocblas_diagonal_iiT0_T1_lilT2_lili,"axG",@progbits,_ZL31rocblas_trsm_small_right_deviceIffPKfPfLi64EEv13rocblas_fill_18rocblas_operation_17rocblas_diagonal_iiT0_T1_lilT2_lili,comdat
.Lfunc_end45:
	.size	_ZL31rocblas_trsm_small_right_deviceIffPKfPfLi64EEv13rocblas_fill_18rocblas_operation_17rocblas_diagonal_iiT0_T1_lilT2_lili, .Lfunc_end45-_ZL31rocblas_trsm_small_right_deviceIffPKfPfLi64EEv13rocblas_fill_18rocblas_operation_17rocblas_diagonal_iiT0_T1_lilT2_lili
                                        ; -- End function
	.set _ZL31rocblas_trsm_small_right_deviceIffPKfPfLi64EEv13rocblas_fill_18rocblas_operation_17rocblas_diagonal_iiT0_T1_lilT2_lili.num_vgpr, 23
	.set _ZL31rocblas_trsm_small_right_deviceIffPKfPfLi64EEv13rocblas_fill_18rocblas_operation_17rocblas_diagonal_iiT0_T1_lilT2_lili.num_agpr, 0
	.set _ZL31rocblas_trsm_small_right_deviceIffPKfPfLi64EEv13rocblas_fill_18rocblas_operation_17rocblas_diagonal_iiT0_T1_lilT2_lili.numbered_sgpr, 26
	.set _ZL31rocblas_trsm_small_right_deviceIffPKfPfLi64EEv13rocblas_fill_18rocblas_operation_17rocblas_diagonal_iiT0_T1_lilT2_lili.num_named_barrier, 0
	.set _ZL31rocblas_trsm_small_right_deviceIffPKfPfLi64EEv13rocblas_fill_18rocblas_operation_17rocblas_diagonal_iiT0_T1_lilT2_lili.private_seg_size, 0
	.set _ZL31rocblas_trsm_small_right_deviceIffPKfPfLi64EEv13rocblas_fill_18rocblas_operation_17rocblas_diagonal_iiT0_T1_lilT2_lili.uses_vcc, 1
	.set _ZL31rocblas_trsm_small_right_deviceIffPKfPfLi64EEv13rocblas_fill_18rocblas_operation_17rocblas_diagonal_iiT0_T1_lilT2_lili.uses_flat_scratch, 0
	.set _ZL31rocblas_trsm_small_right_deviceIffPKfPfLi64EEv13rocblas_fill_18rocblas_operation_17rocblas_diagonal_iiT0_T1_lilT2_lili.has_dyn_sized_stack, 0
	.set _ZL31rocblas_trsm_small_right_deviceIffPKfPfLi64EEv13rocblas_fill_18rocblas_operation_17rocblas_diagonal_iiT0_T1_lilT2_lili.has_recursion, 0
	.set _ZL31rocblas_trsm_small_right_deviceIffPKfPfLi64EEv13rocblas_fill_18rocblas_operation_17rocblas_diagonal_iiT0_T1_lilT2_lili.has_indirect_call, 0
	.section	.AMDGPU.csdata,"",@progbits
; Kernel info:
; codeLenInByte = 5664
; TotalNumSgprs: 30
; NumVgprs: 23
; ScratchSize: 0
; MemoryBound: 0
; FloatMode: 240
; IeeeMode: 1
; LDSByteSize: 32768 bytes/workgroup (compile time only)
; SGPRBlocks: 12
; VGPRBlocks: 32
; NumSGPRsForWavesPerEU: 102
; NumVGPRsForWavesPerEU: 129
; Occupancy: 1
; WaveLimiterHint : 0
; COMPUTE_PGM_RSRC2:SCRATCH_EN: 0
; COMPUTE_PGM_RSRC2:USER_SGPR: 6
; COMPUTE_PGM_RSRC2:TRAP_HANDLER: 0
; COMPUTE_PGM_RSRC2:TGID_X_EN: 1
; COMPUTE_PGM_RSRC2:TGID_Y_EN: 0
; COMPUTE_PGM_RSRC2:TGID_Z_EN: 1
; COMPUTE_PGM_RSRC2:TIDIG_COMP_CNT: 0
	.section	.text._ZL39rocblas_trsm_block_forward_substitutionIffPKfPfLb0ELb0ELb0EEv18rocblas_operation_llT0_T1_lllT2_lllib,"axG",@progbits,_ZL39rocblas_trsm_block_forward_substitutionIffPKfPfLb0ELb0ELb0EEv18rocblas_operation_llT0_T1_lllT2_lllib,comdat
	.globl	_ZL39rocblas_trsm_block_forward_substitutionIffPKfPfLb0ELb0ELb0EEv18rocblas_operation_llT0_T1_lllT2_lllib ; -- Begin function _ZL39rocblas_trsm_block_forward_substitutionIffPKfPfLb0ELb0ELb0EEv18rocblas_operation_llT0_T1_lllT2_lllib
	.p2align	8
	.type	_ZL39rocblas_trsm_block_forward_substitutionIffPKfPfLb0ELb0ELb0EEv18rocblas_operation_llT0_T1_lllT2_lllib,@function
_ZL39rocblas_trsm_block_forward_substitutionIffPKfPfLb0ELb0ELb0EEv18rocblas_operation_llT0_T1_lllT2_lllib: ; @_ZL39rocblas_trsm_block_forward_substitutionIffPKfPfLb0ELb0ELb0EEv18rocblas_operation_llT0_T1_lllT2_lllib
; %bb.0:
	s_load_dword s9, s[4:5], 0x64
	s_load_dwordx16 s[12:27], s[4:5], 0x20
	s_load_dwordx4 s[28:31], s[4:5], 0x8
	s_load_dword s6, s[4:5], 0x74
	v_mov_b32_e32 v2, v1
	s_waitcnt lgkmcnt(0)
	s_bitcmp1_b32 s9, 0
	s_mul_i32 s2, s19, s8
	s_mul_hi_u32 s3, s18, s8
	s_cselect_b64 s[0:1], -1, 0
	s_add_i32 s3, s3, s2
	s_mul_i32 s2, s18, s8
	s_lshl_b64 s[2:3], s[2:3], 2
	s_add_u32 s10, s12, s2
	s_addc_u32 s11, s13, s3
	s_lshl_b64 s[2:3], s[14:15], 2
	s_add_u32 s2, s10, s2
	s_addc_u32 s3, s11, s3
	s_add_u32 s10, s4, 0x68
	s_addc_u32 s11, s5, 0
	s_lshr_b32 s6, s6, 16
	s_bitcmp0_b32 s9, 0
	s_cbranch_scc1 .LBB46_13
; %bb.1:
	v_cmp_lt_i64_e64 s[14:15], s[28:29], 1
	s_lshl_b32 s9, s6, 2
	s_add_i32 s12, s9, 0
	s_and_b64 vcc, exec, s[14:15]
	s_cbranch_vccnz .LBB46_12
; %bb.2:
	v_mad_u64_u32 v[3:4], s[14:15], s16, v0, 0
	v_mov_b32_e32 v1, 0
	v_cmp_le_u64_e32 vcc, s[28:29], v[0:1]
	v_mov_b32_e32 v1, v4
	v_mad_u64_u32 v[7:8], s[14:15], s17, v0, v[1:2]
	v_lshlrev_b32_e32 v6, 2, v0
	v_mov_b32_e32 v9, s3
	v_mov_b32_e32 v4, v7
	v_add_co_u32_e64 v1, s[2:3], s2, v6
	v_lshlrev_b64 v[3:4], 2, v[3:4]
	v_add_u32_e32 v5, s12, v6
	v_addc_co_u32_e64 v6, s[2:3], 0, v9, s[2:3]
	v_add_co_u32_e64 v3, s[2:3], v1, v3
	v_addc_co_u32_e64 v4, s[2:3], v6, v4, s[2:3]
	s_xor_b64 s[2:3], vcc, -1
	s_mov_b32 s9, s6
	v_mov_b32_e32 v7, v2
	s_branch .LBB46_4
.LBB46_3:                               ;   in Loop: Header=BB46_4 Depth=1
	s_or_b64 exec, exec, s[18:19]
	s_ashr_i32 s13, s9, 31
	s_waitcnt vmcnt(0)
	v_mov_b32_e32 v8, s9
	v_mov_b32_e32 v9, s13
	v_cmp_le_i64_e32 vcc, s[28:29], v[8:9]
	v_add_u32_e32 v7, s6, v7
	s_add_i32 s9, s9, s6
	s_cbranch_vccnz .LBB46_12
.LBB46_4:                               ; =>This Inner Loop Header: Depth=1
	v_cmp_gt_i32_e32 vcc, v0, v7
	s_and_b64 s[18:19], s[2:3], vcc
	s_mov_b64 s[14:15], 0
                                        ; implicit-def: $vgpr8
	s_and_saveexec_b64 s[34:35], s[18:19]
	s_xor_b64 s[18:19], exec, s[34:35]
	s_cbranch_execnz .LBB46_7
; %bb.5:                                ;   in Loop: Header=BB46_4 Depth=1
	s_or_saveexec_b64 s[18:19], s[18:19]
	v_mov_b32_e32 v9, v7
	s_xor_b64 exec, exec, s[18:19]
	s_cbranch_execnz .LBB46_8
.LBB46_6:                               ;   in Loop: Header=BB46_4 Depth=1
	s_or_b64 exec, exec, s[18:19]
	s_and_saveexec_b64 s[18:19], s[14:15]
	s_cbranch_execz .LBB46_3
	s_branch .LBB46_11
.LBB46_7:                               ;   in Loop: Header=BB46_4 Depth=1
	v_ashrrev_i32_e32 v8, 31, v7
	v_mul_lo_u32 v10, s17, v7
	v_mul_lo_u32 v11, s16, v8
	v_mad_u64_u32 v[8:9], s[34:35], s16, v7, 0
	s_mov_b64 s[14:15], exec
	v_add3_u32 v9, v9, v11, v10
	v_lshlrev_b64 v[8:9], 2, v[8:9]
	v_add_co_u32_e32 v8, vcc, v1, v8
	v_addc_co_u32_e32 v9, vcc, v6, v9, vcc
	global_load_dword v8, v[8:9], off
	s_or_saveexec_b64 s[18:19], s[18:19]
	v_mov_b32_e32 v9, v7
	s_xor_b64 exec, exec, s[18:19]
	s_cbranch_execz .LBB46_6
.LBB46_8:                               ;   in Loop: Header=BB46_4 Depth=1
	v_cmp_eq_u32_e32 vcc, v0, v7
	s_and_b64 s[38:39], s[2:3], vcc
	s_mov_b64 s[36:37], s[14:15]
                                        ; implicit-def: $vgpr8
	s_and_saveexec_b64 s[34:35], s[38:39]
	s_cbranch_execz .LBB46_10
; %bb.9:                                ;   in Loop: Header=BB46_4 Depth=1
	global_load_dword v8, v[3:4], off
	s_waitcnt vmcnt(0)
	v_div_scale_f32 v9, s[36:37], v8, v8, 1.0
	v_div_scale_f32 v10, vcc, 1.0, v8, 1.0
	s_or_b64 s[36:37], s[14:15], exec
	v_rcp_f32_e32 v11, v9
	v_fma_f32 v12, -v9, v11, 1.0
	v_fmac_f32_e32 v11, v12, v11
	v_mul_f32_e32 v12, v10, v11
	v_fma_f32 v13, -v9, v12, v10
	v_fmac_f32_e32 v12, v13, v11
	v_fma_f32 v9, -v9, v12, v10
	v_div_fmas_f32 v9, v9, v11, v12
	v_div_fixup_f32 v8, v9, v8, 1.0
.LBB46_10:                              ;   in Loop: Header=BB46_4 Depth=1
	s_or_b64 exec, exec, s[34:35]
	s_andn2_b64 s[14:15], s[14:15], exec
	s_and_b64 s[34:35], s[36:37], exec
	s_or_b64 s[14:15], s[14:15], s[34:35]
	v_mov_b32_e32 v9, v0
	s_or_b64 exec, exec, s[18:19]
	s_and_saveexec_b64 s[18:19], s[14:15]
	s_cbranch_execz .LBB46_3
.LBB46_11:                              ;   in Loop: Header=BB46_4 Depth=1
	s_load_dword s13, s[10:11], 0xc
	s_waitcnt lgkmcnt(0)
	s_and_b32 s13, s13, 0xffff
	v_mul_lo_u32 v9, v9, s13
	v_lshl_add_u32 v9, v9, 2, v5
	s_waitcnt vmcnt(0)
	ds_write_b32 v9, v8
	s_branch .LBB46_3
.LBB46_12:
	s_mov_b64 s[2:3], src_shared_base
	s_load_dword s2, s[10:11], 0xc
	s_mov_b32 s13, s3
	s_mov_b32 s17, 0
	s_waitcnt lgkmcnt(0)
	s_and_b32 s16, s2, 0xffff
	s_mov_b64 s[2:3], s[12:13]
.LBB46_13:
	s_mul_i32 s7, s7, s6
	v_add_u32_e32 v3, s7, v2
	v_mov_b32_e32 v4, 0
	v_cmp_gt_i64_e32 vcc, s[30:31], v[3:4]
	s_and_saveexec_b64 s[6:7], vcc
	s_cbranch_execz .LBB46_25
; %bb.14:
	v_mov_b32_e32 v1, v4
	v_cmp_gt_i64_e32 vcc, s[28:29], v[0:1]
	s_and_b64 exec, exec, vcc
	s_cbranch_execz .LBB46_25
; %bb.15:
	s_mul_i32 s6, s27, s8
	s_mul_hi_u32 s7, s26, s8
	s_add_i32 s7, s7, s6
	s_mul_i32 s6, s26, s8
	v_mad_u64_u32 v[4:5], s[8:9], s24, v3, 0
	s_lshl_b64 s[6:7], s[6:7], 2
	s_add_u32 s8, s20, s6
	s_addc_u32 s9, s21, s7
	v_mad_u64_u32 v[5:6], s[6:7], s25, v3, v[5:6]
	s_lshl_b64 s[6:7], s[22:23], 2
	s_add_u32 s6, s8, s6
	v_lshlrev_b64 v[3:4], 2, v[4:5]
	s_addc_u32 s7, s9, s7
	v_mov_b32_e32 v5, s7
	v_add_co_u32_e32 v3, vcc, s6, v3
	v_addc_co_u32_e32 v4, vcc, v5, v4, vcc
	v_lshlrev_b32_e32 v5, 2, v0
	v_add_co_u32_e32 v3, vcc, v3, v5
	v_addc_co_u32_e32 v4, vcc, 0, v4, vcc
	global_load_dword v6, v[3:4], off
	s_load_dword s8, s[4:5], 0x18
	v_cmp_lt_u64_e64 s[6:7], s[28:29], 2
	s_add_u32 s4, s28, -1
	s_addc_u32 s5, s29, -1
	s_and_b64 vcc, exec, s[6:7]
	s_waitcnt vmcnt(0) lgkmcnt(0)
	v_mul_f32_e32 v9, s8, v6
	s_cbranch_vccnz .LBB46_22
; %bb.16:
	v_mad_u64_u32 v[7:8], s[6:7], v0, s16, v[0:1]
	v_mov_b32_e32 v12, s3
	v_add_co_u32_e32 v5, vcc, s2, v5
	v_mov_b32_e32 v6, v8
	v_mad_u64_u32 v[10:11], s[6:7], v0, s17, v[6:7]
	v_addc_co_u32_e32 v6, vcc, 0, v12, vcc
	v_mov_b32_e32 v8, v10
	v_lshlrev_b64 v[7:8], 2, v[7:8]
	v_lshl_add_u32 v2, v2, 2, 0
	v_add_co_u32_e32 v7, vcc, s2, v7
	v_addc_co_u32_e32 v8, vcc, v12, v8, vcc
	s_lshl_b64 s[6:7], s[16:17], 2
	s_mov_b64 s[8:9], 0
	s_branch .LBB46_18
.LBB46_17:                              ;   in Loop: Header=BB46_18 Depth=1
	s_or_b64 exec, exec, s[10:11]
	s_add_u32 s8, s8, 1
	s_addc_u32 s9, s9, 0
	v_mov_b32_e32 v10, s7
	v_add_co_u32_e32 v5, vcc, s6, v5
	s_cmp_eq_u64 s[4:5], s[8:9]
	v_addc_co_u32_e32 v6, vcc, v6, v10, vcc
	s_cbranch_scc1 .LBB46_22
.LBB46_18:                              ; =>This Inner Loop Header: Depth=1
	v_cmp_eq_u64_e32 vcc, s[8:9], v[0:1]
	s_barrier
	s_and_saveexec_b64 s[10:11], vcc
	s_cbranch_execz .LBB46_20
; %bb.19:                               ;   in Loop: Header=BB46_18 Depth=1
	flat_load_dword v10, v[7:8]
	s_waitcnt vmcnt(0) lgkmcnt(0)
	v_div_scale_f32 v11, s[12:13], v10, v10, 1.0
	v_div_scale_f32 v12, vcc, 1.0, v10, 1.0
	v_rcp_f32_e32 v13, v11
	v_fma_f32 v14, -v11, v13, 1.0
	v_fmac_f32_e32 v13, v14, v13
	v_mul_f32_e32 v14, v12, v13
	v_fma_f32 v15, -v11, v14, v12
	v_fmac_f32_e32 v14, v15, v13
	v_fma_f32 v11, -v11, v14, v12
	v_div_fmas_f32 v11, v11, v13, v14
	v_div_fixup_f32 v11, v11, v10, 1.0
	v_cndmask_b32_e64 v10, v11, v10, s[0:1]
	v_mul_f32_e32 v9, v9, v10
	ds_write_b32 v2, v9
.LBB46_20:                              ;   in Loop: Header=BB46_18 Depth=1
	s_or_b64 exec, exec, s[10:11]
	v_cmp_lt_u64_e32 vcc, s[8:9], v[0:1]
	s_waitcnt lgkmcnt(0)
	s_barrier
	s_and_saveexec_b64 s[10:11], vcc
	s_cbranch_execz .LBB46_17
; %bb.21:                               ;   in Loop: Header=BB46_18 Depth=1
	flat_load_dword v10, v[5:6]
	ds_read_b32 v11, v2
	s_waitcnt vmcnt(0) lgkmcnt(0)
	v_fma_f32 v9, -v10, v11, v9
	s_branch .LBB46_17
.LBB46_22:
	v_cmp_eq_u64_e32 vcc, s[4:5], v[0:1]
	s_and_saveexec_b64 s[4:5], vcc
	s_cbranch_execz .LBB46_24
; %bb.23:
	v_mad_u64_u32 v[1:2], s[6:7], v0, s16, v[0:1]
	v_mad_u64_u32 v[5:6], s[6:7], v0, s17, v[2:3]
	v_mov_b32_e32 v6, s3
	v_mov_b32_e32 v2, v5
	v_lshlrev_b64 v[0:1], 2, v[1:2]
	v_add_co_u32_e32 v0, vcc, s2, v0
	v_addc_co_u32_e32 v1, vcc, v6, v1, vcc
	flat_load_dword v0, v[0:1]
	s_waitcnt vmcnt(0) lgkmcnt(0)
	v_div_scale_f32 v1, s[2:3], v0, v0, 1.0
	v_div_scale_f32 v2, vcc, 1.0, v0, 1.0
	v_rcp_f32_e32 v5, v1
	v_fma_f32 v6, -v1, v5, 1.0
	v_fmac_f32_e32 v5, v6, v5
	v_mul_f32_e32 v6, v2, v5
	v_fma_f32 v7, -v1, v6, v2
	v_fmac_f32_e32 v6, v7, v5
	v_fma_f32 v1, -v1, v6, v2
	v_div_fmas_f32 v1, v1, v5, v6
	v_div_fixup_f32 v1, v1, v0, 1.0
	v_cndmask_b32_e64 v0, v1, v0, s[0:1]
	v_mul_f32_e32 v9, v9, v0
.LBB46_24:
	s_or_b64 exec, exec, s[4:5]
	global_store_dword v[3:4], v9, off
.LBB46_25:
	s_endpgm
	.section	.rodata,"a",@progbits
	.p2align	6, 0x0
	.amdhsa_kernel _ZL39rocblas_trsm_block_forward_substitutionIffPKfPfLb0ELb0ELb0EEv18rocblas_operation_llT0_T1_lllT2_lllib
		.amdhsa_group_segment_fixed_size 0
		.amdhsa_private_segment_fixed_size 0
		.amdhsa_kernarg_size 360
		.amdhsa_user_sgpr_count 6
		.amdhsa_user_sgpr_private_segment_buffer 1
		.amdhsa_user_sgpr_dispatch_ptr 0
		.amdhsa_user_sgpr_queue_ptr 0
		.amdhsa_user_sgpr_kernarg_segment_ptr 1
		.amdhsa_user_sgpr_dispatch_id 0
		.amdhsa_user_sgpr_flat_scratch_init 0
		.amdhsa_user_sgpr_private_segment_size 0
		.amdhsa_uses_dynamic_stack 0
		.amdhsa_system_sgpr_private_segment_wavefront_offset 0
		.amdhsa_system_sgpr_workgroup_id_x 1
		.amdhsa_system_sgpr_workgroup_id_y 1
		.amdhsa_system_sgpr_workgroup_id_z 1
		.amdhsa_system_sgpr_workgroup_info 0
		.amdhsa_system_vgpr_workitem_id 1
		.amdhsa_next_free_vgpr 16
		.amdhsa_next_free_sgpr 40
		.amdhsa_reserve_vcc 1
		.amdhsa_reserve_flat_scratch 0
		.amdhsa_float_round_mode_32 0
		.amdhsa_float_round_mode_16_64 0
		.amdhsa_float_denorm_mode_32 3
		.amdhsa_float_denorm_mode_16_64 3
		.amdhsa_dx10_clamp 1
		.amdhsa_ieee_mode 1
		.amdhsa_fp16_overflow 0
		.amdhsa_exception_fp_ieee_invalid_op 0
		.amdhsa_exception_fp_denorm_src 0
		.amdhsa_exception_fp_ieee_div_zero 0
		.amdhsa_exception_fp_ieee_overflow 0
		.amdhsa_exception_fp_ieee_underflow 0
		.amdhsa_exception_fp_ieee_inexact 0
		.amdhsa_exception_int_div_zero 0
	.end_amdhsa_kernel
	.section	.text._ZL39rocblas_trsm_block_forward_substitutionIffPKfPfLb0ELb0ELb0EEv18rocblas_operation_llT0_T1_lllT2_lllib,"axG",@progbits,_ZL39rocblas_trsm_block_forward_substitutionIffPKfPfLb0ELb0ELb0EEv18rocblas_operation_llT0_T1_lllT2_lllib,comdat
.Lfunc_end46:
	.size	_ZL39rocblas_trsm_block_forward_substitutionIffPKfPfLb0ELb0ELb0EEv18rocblas_operation_llT0_T1_lllT2_lllib, .Lfunc_end46-_ZL39rocblas_trsm_block_forward_substitutionIffPKfPfLb0ELb0ELb0EEv18rocblas_operation_llT0_T1_lllT2_lllib
                                        ; -- End function
	.set _ZL39rocblas_trsm_block_forward_substitutionIffPKfPfLb0ELb0ELb0EEv18rocblas_operation_llT0_T1_lllT2_lllib.num_vgpr, 16
	.set _ZL39rocblas_trsm_block_forward_substitutionIffPKfPfLb0ELb0ELb0EEv18rocblas_operation_llT0_T1_lllT2_lllib.num_agpr, 0
	.set _ZL39rocblas_trsm_block_forward_substitutionIffPKfPfLb0ELb0ELb0EEv18rocblas_operation_llT0_T1_lllT2_lllib.numbered_sgpr, 40
	.set _ZL39rocblas_trsm_block_forward_substitutionIffPKfPfLb0ELb0ELb0EEv18rocblas_operation_llT0_T1_lllT2_lllib.num_named_barrier, 0
	.set _ZL39rocblas_trsm_block_forward_substitutionIffPKfPfLb0ELb0ELb0EEv18rocblas_operation_llT0_T1_lllT2_lllib.private_seg_size, 0
	.set _ZL39rocblas_trsm_block_forward_substitutionIffPKfPfLb0ELb0ELb0EEv18rocblas_operation_llT0_T1_lllT2_lllib.uses_vcc, 1
	.set _ZL39rocblas_trsm_block_forward_substitutionIffPKfPfLb0ELb0ELb0EEv18rocblas_operation_llT0_T1_lllT2_lllib.uses_flat_scratch, 0
	.set _ZL39rocblas_trsm_block_forward_substitutionIffPKfPfLb0ELb0ELb0EEv18rocblas_operation_llT0_T1_lllT2_lllib.has_dyn_sized_stack, 0
	.set _ZL39rocblas_trsm_block_forward_substitutionIffPKfPfLb0ELb0ELb0EEv18rocblas_operation_llT0_T1_lllT2_lllib.has_recursion, 0
	.set _ZL39rocblas_trsm_block_forward_substitutionIffPKfPfLb0ELb0ELb0EEv18rocblas_operation_llT0_T1_lllT2_lllib.has_indirect_call, 0
	.section	.AMDGPU.csdata,"",@progbits
; Kernel info:
; codeLenInByte = 1256
; TotalNumSgprs: 44
; NumVgprs: 16
; ScratchSize: 0
; MemoryBound: 0
; FloatMode: 240
; IeeeMode: 1
; LDSByteSize: 0 bytes/workgroup (compile time only)
; SGPRBlocks: 5
; VGPRBlocks: 3
; NumSGPRsForWavesPerEU: 44
; NumVGPRsForWavesPerEU: 16
; Occupancy: 10
; WaveLimiterHint : 1
; COMPUTE_PGM_RSRC2:SCRATCH_EN: 0
; COMPUTE_PGM_RSRC2:USER_SGPR: 6
; COMPUTE_PGM_RSRC2:TRAP_HANDLER: 0
; COMPUTE_PGM_RSRC2:TGID_X_EN: 1
; COMPUTE_PGM_RSRC2:TGID_Y_EN: 1
; COMPUTE_PGM_RSRC2:TGID_Z_EN: 1
; COMPUTE_PGM_RSRC2:TIDIG_COMP_CNT: 1
	.section	.text._ZL40rocblas_trsm_block_backward_substitutionIffPKfPfLb0ELb0ELb0EEv18rocblas_operation_llT0_T1_lllT2_lllib,"axG",@progbits,_ZL40rocblas_trsm_block_backward_substitutionIffPKfPfLb0ELb0ELb0EEv18rocblas_operation_llT0_T1_lllT2_lllib,comdat
	.globl	_ZL40rocblas_trsm_block_backward_substitutionIffPKfPfLb0ELb0ELb0EEv18rocblas_operation_llT0_T1_lllT2_lllib ; -- Begin function _ZL40rocblas_trsm_block_backward_substitutionIffPKfPfLb0ELb0ELb0EEv18rocblas_operation_llT0_T1_lllT2_lllib
	.p2align	8
	.type	_ZL40rocblas_trsm_block_backward_substitutionIffPKfPfLb0ELb0ELb0EEv18rocblas_operation_llT0_T1_lllT2_lllib,@function
_ZL40rocblas_trsm_block_backward_substitutionIffPKfPfLb0ELb0ELb0EEv18rocblas_operation_llT0_T1_lllT2_lllib: ; @_ZL40rocblas_trsm_block_backward_substitutionIffPKfPfLb0ELb0ELb0EEv18rocblas_operation_llT0_T1_lllT2_lllib
; %bb.0:
	s_load_dword s9, s[4:5], 0x64
	s_load_dwordx16 s[12:27], s[4:5], 0x20
	s_load_dwordx4 s[28:31], s[4:5], 0x8
	s_load_dword s6, s[4:5], 0x74
	v_mov_b32_e32 v2, v1
	s_waitcnt lgkmcnt(0)
	s_bitcmp1_b32 s9, 0
	s_mul_i32 s2, s19, s8
	s_mul_hi_u32 s3, s18, s8
	s_cselect_b64 s[0:1], -1, 0
	s_add_i32 s3, s3, s2
	s_mul_i32 s2, s18, s8
	s_lshl_b64 s[2:3], s[2:3], 2
	s_add_u32 s10, s12, s2
	s_addc_u32 s11, s13, s3
	s_lshl_b64 s[2:3], s[14:15], 2
	s_add_u32 s10, s10, s2
	s_addc_u32 s11, s11, s3
	s_add_u32 s14, s4, 0x68
	s_addc_u32 s15, s5, 0
	s_lshr_b32 s6, s6, 16
	s_bitcmp0_b32 s9, 0
	s_mov_b64 s[2:3], 1
	s_cbranch_scc1 .LBB47_14
; %bb.1:
	s_lshl_b32 s2, s6, 2
	s_add_i32 s18, s2, 0
	v_cmp_lt_i64_e64 s[2:3], s[28:29], 1
	s_mov_b64 s[12:13], 1
	s_and_b64 vcc, exec, s[2:3]
	s_cbranch_vccnz .LBB47_15
; %bb.2:
	v_mad_u64_u32 v[3:4], s[2:3], s16, v0, 0
	v_lshlrev_b32_e32 v6, 2, v0
	v_add_u32_e32 v7, s18, v6
	v_mov_b32_e32 v1, v4
	v_mad_u64_u32 v[4:5], s[2:3], s17, v0, v[1:2]
	v_mov_b32_e32 v1, 0
	v_cmp_le_u64_e64 s[16:17], s[28:29], v[0:1]
	v_lshlrev_b64 v[3:4], 2, v[3:4]
	v_cmp_gt_u64_e64 s[2:3], s[28:29], v[0:1]
	v_mov_b32_e32 v5, s11
	v_add_co_u32_e32 v1, vcc, s10, v3
	v_addc_co_u32_e32 v8, vcc, v5, v4, vcc
	v_add_co_u32_e32 v3, vcc, v1, v6
	v_addc_co_u32_e32 v4, vcc, 0, v8, vcc
	s_xor_b64 s[34:35], s[16:17], -1
	s_mov_b32 s9, s6
	v_mov_b32_e32 v5, v2
	s_branch .LBB47_4
.LBB47_3:                               ;   in Loop: Header=BB47_4 Depth=1
	s_or_b64 exec, exec, s[36:37]
	s_ashr_i32 s10, s9, 31
	s_waitcnt vmcnt(0)
	v_mov_b32_e32 v9, s9
	v_mov_b32_e32 v10, s10
	v_cmp_le_i64_e32 vcc, s[28:29], v[9:10]
	v_add_u32_e32 v5, s6, v5
	s_add_i32 s9, s9, s6
	s_cbranch_vccnz .LBB47_15
.LBB47_4:                               ; =>This Inner Loop Header: Depth=1
	s_mov_b64 s[10:11], 0
	s_mov_b64 s[38:39], s[16:17]
                                        ; implicit-def: $vgpr9
	s_and_saveexec_b64 s[36:37], s[2:3]
	s_cbranch_execnz .LBB47_7
; %bb.5:                                ;   in Loop: Header=BB47_4 Depth=1
	s_or_b64 exec, exec, s[36:37]
	v_mov_b32_e32 v6, v5
	s_and_saveexec_b64 s[36:37], s[38:39]
	s_cbranch_execnz .LBB47_10
.LBB47_6:                               ;   in Loop: Header=BB47_4 Depth=1
	s_or_b64 exec, exec, s[36:37]
	s_and_saveexec_b64 s[36:37], s[10:11]
	s_cbranch_execz .LBB47_3
	s_branch .LBB47_13
.LBB47_7:                               ;   in Loop: Header=BB47_4 Depth=1
	v_ashrrev_i32_e32 v6, 31, v5
	v_cmp_gt_i64_e32 vcc, s[28:29], v[5:6]
	v_cmp_lt_i32_e64 s[10:11], v0, v5
	s_and_b64 s[42:43], s[10:11], vcc
	s_mov_b64 s[38:39], -1
	s_mov_b64 s[10:11], 0
                                        ; implicit-def: $vgpr9
	s_and_saveexec_b64 s[40:41], s[42:43]
	s_cbranch_execz .LBB47_9
; %bb.8:                                ;   in Loop: Header=BB47_4 Depth=1
	v_lshlrev_b64 v[9:10], 2, v[5:6]
	s_mov_b64 s[10:11], exec
	v_add_co_u32_e32 v9, vcc, v1, v9
	v_addc_co_u32_e32 v10, vcc, v8, v10, vcc
	global_load_dword v9, v[9:10], off
	s_xor_b64 s[38:39], exec, -1
.LBB47_9:                               ;   in Loop: Header=BB47_4 Depth=1
	s_or_b64 exec, exec, s[40:41]
	s_andn2_b64 s[40:41], s[16:17], exec
	s_and_b64 s[38:39], s[38:39], exec
	s_and_b64 s[10:11], s[10:11], exec
	s_or_b64 s[38:39], s[40:41], s[38:39]
	s_or_b64 exec, exec, s[36:37]
	v_mov_b32_e32 v6, v5
	s_and_saveexec_b64 s[36:37], s[38:39]
	s_cbranch_execz .LBB47_6
.LBB47_10:                              ;   in Loop: Header=BB47_4 Depth=1
	v_cmp_eq_u32_e32 vcc, v0, v5
	s_and_b64 s[42:43], s[34:35], vcc
	s_mov_b64 s[40:41], s[10:11]
                                        ; implicit-def: $vgpr9
	s_and_saveexec_b64 s[38:39], s[42:43]
	s_cbranch_execz .LBB47_12
; %bb.11:                               ;   in Loop: Header=BB47_4 Depth=1
	global_load_dword v6, v[3:4], off
	s_waitcnt vmcnt(0)
	v_div_scale_f32 v9, s[40:41], v6, v6, 1.0
	v_div_scale_f32 v10, vcc, 1.0, v6, 1.0
	s_or_b64 s[40:41], s[10:11], exec
	v_rcp_f32_e32 v11, v9
	v_fma_f32 v12, -v9, v11, 1.0
	v_fmac_f32_e32 v11, v12, v11
	v_mul_f32_e32 v12, v10, v11
	v_fma_f32 v13, -v9, v12, v10
	v_fmac_f32_e32 v12, v13, v11
	v_fma_f32 v9, -v9, v12, v10
	v_div_fmas_f32 v9, v9, v11, v12
	v_div_fixup_f32 v9, v9, v6, 1.0
.LBB47_12:                              ;   in Loop: Header=BB47_4 Depth=1
	s_or_b64 exec, exec, s[38:39]
	s_andn2_b64 s[10:11], s[10:11], exec
	s_and_b64 s[38:39], s[40:41], exec
	s_or_b64 s[10:11], s[10:11], s[38:39]
	v_mov_b32_e32 v6, v0
	s_or_b64 exec, exec, s[36:37]
	s_and_saveexec_b64 s[36:37], s[10:11]
	s_cbranch_execz .LBB47_3
.LBB47_13:                              ;   in Loop: Header=BB47_4 Depth=1
	s_load_dword s10, s[14:15], 0xc
	s_waitcnt lgkmcnt(0)
	s_and_b32 s10, s10, 0xffff
	v_mul_lo_u32 v6, v6, s10
	v_lshl_add_u32 v6, v6, 2, v7
	s_waitcnt vmcnt(0)
	ds_write_b32 v6, v9
	s_branch .LBB47_3
.LBB47_14:
	s_mov_b64 s[12:13], s[16:17]
	s_branch .LBB47_16
.LBB47_15:
	s_load_dword s2, s[14:15], 0xc
	s_mov_b64 s[10:11], src_shared_base
	s_mov_b32 s19, s11
	s_mov_b32 s3, 0
	s_mov_b64 s[10:11], s[18:19]
	s_waitcnt lgkmcnt(0)
	s_and_b32 s2, s2, 0xffff
.LBB47_16:
	s_mul_i32 s7, s7, s6
	v_add_u32_e32 v3, s7, v2
	v_mov_b32_e32 v4, 0
	v_cmp_gt_i64_e32 vcc, s[30:31], v[3:4]
	s_and_saveexec_b64 s[6:7], vcc
	s_cbranch_execz .LBB47_29
; %bb.17:
	v_mov_b32_e32 v1, v4
	v_cmp_gt_i64_e32 vcc, s[28:29], v[0:1]
	s_and_b64 exec, exec, vcc
	s_cbranch_execz .LBB47_29
; %bb.18:
	s_mul_i32 s6, s27, s8
	s_mul_hi_u32 s7, s26, s8
	s_add_i32 s7, s7, s6
	s_mul_i32 s6, s26, s8
	v_mad_u64_u32 v[5:6], s[8:9], s24, v0, 0
	s_lshl_b64 s[6:7], s[6:7], 2
	s_add_u32 s8, s20, s6
	s_addc_u32 s9, s21, s7
	v_mad_u64_u32 v[6:7], s[6:7], s25, v0, v[6:7]
	s_lshl_b64 s[6:7], s[22:23], 2
	s_add_u32 s6, s8, s6
	v_lshlrev_b64 v[5:6], 2, v[5:6]
	s_addc_u32 s7, s9, s7
	v_mov_b32_e32 v7, s7
	v_add_co_u32_e32 v5, vcc, s6, v5
	v_lshlrev_b64 v[3:4], 2, v[3:4]
	v_addc_co_u32_e32 v6, vcc, v7, v6, vcc
	v_add_co_u32_e32 v3, vcc, v5, v3
	v_addc_co_u32_e32 v4, vcc, v6, v4, vcc
	global_load_dword v5, v[3:4], off
	s_load_dword s6, s[4:5], 0x18
	v_cmp_lt_u64_e64 s[4:5], s[28:29], 2
	s_and_b64 vcc, exec, s[4:5]
	s_waitcnt vmcnt(0) lgkmcnt(0)
	v_mul_f32_e32 v9, s6, v5
	s_cbranch_vccnz .LBB47_26
; %bb.19:
	s_add_u32 s4, s2, s12
	v_mad_u64_u32 v[5:6], s[4:5], s4, v0, 0
	s_addc_u32 s4, s3, s13
	v_mov_b32_e32 v12, s11
	v_mad_u64_u32 v[6:7], s[4:5], s4, v0, v[6:7]
	v_mad_u64_u32 v[7:8], s[4:5], s12, v0, 0
	v_lshlrev_b64 v[5:6], 2, v[5:6]
	v_lshl_add_u32 v2, v2, 2, 0
	v_mad_u64_u32 v[10:11], s[4:5], s13, v0, v[8:9]
	s_add_u32 s4, s28, -1
	s_addc_u32 s5, s29, -1
	s_mul_i32 s6, s2, s5
	s_mul_hi_u32 s7, s2, s4
	v_mov_b32_e32 v8, v10
	s_add_i32 s7, s7, s6
	s_mul_i32 s6, s2, s4
	v_add_co_u32_e32 v5, vcc, s10, v5
	s_lshl_b64 s[6:7], s[6:7], 2
	v_lshlrev_b64 v[7:8], 2, v[7:8]
	v_addc_co_u32_e32 v6, vcc, v12, v6, vcc
	s_add_u32 s6, s10, s6
	s_addc_u32 s7, s11, s7
	v_add_co_u32_e32 v7, vcc, s6, v7
	s_lshl_b32 s6, s2, 2
	v_mov_b32_e32 v10, s7
	s_sub_u32 s8, 0, s6
	v_addc_co_u32_e32 v8, vcc, v10, v8, vcc
	s_subb_u32 s9, 0, 0
.LBB47_20:                              ; =>This Inner Loop Header: Depth=1
	v_cmp_eq_u64_e32 vcc, s[4:5], v[0:1]
	s_barrier
	s_and_saveexec_b64 s[6:7], vcc
	s_cbranch_execz .LBB47_22
; %bb.21:                               ;   in Loop: Header=BB47_20 Depth=1
	flat_load_dword v10, v[5:6]
	s_waitcnt vmcnt(0) lgkmcnt(0)
	v_div_scale_f32 v11, s[14:15], v10, v10, 1.0
	v_div_scale_f32 v12, vcc, 1.0, v10, 1.0
	v_rcp_f32_e32 v13, v11
	v_fma_f32 v14, -v11, v13, 1.0
	v_fmac_f32_e32 v13, v14, v13
	v_mul_f32_e32 v14, v12, v13
	v_fma_f32 v15, -v11, v14, v12
	v_fmac_f32_e32 v14, v15, v13
	v_fma_f32 v11, -v11, v14, v12
	v_div_fmas_f32 v11, v11, v13, v14
	v_div_fixup_f32 v11, v11, v10, 1.0
	v_cndmask_b32_e64 v10, v11, v10, s[0:1]
	v_mul_f32_e32 v9, v9, v10
	ds_write_b32 v2, v9
.LBB47_22:                              ;   in Loop: Header=BB47_20 Depth=1
	s_or_b64 exec, exec, s[6:7]
	v_cmp_gt_i64_e32 vcc, s[4:5], v[0:1]
	s_waitcnt lgkmcnt(0)
	s_barrier
	s_and_saveexec_b64 s[6:7], vcc
	s_cbranch_execz .LBB47_24
; %bb.23:                               ;   in Loop: Header=BB47_20 Depth=1
	flat_load_dword v10, v[7:8]
	ds_read_b32 v11, v2
	s_waitcnt vmcnt(0) lgkmcnt(0)
	v_fma_f32 v9, -v10, v11, v9
.LBB47_24:                              ;   in Loop: Header=BB47_20 Depth=1
	s_or_b64 exec, exec, s[6:7]
	s_add_u32 s6, s4, -1
	s_addc_u32 s7, s5, -1
	s_add_u32 s4, s4, 1
	s_addc_u32 s5, s5, 0
	v_mov_b32_e32 v10, s9
	v_cmp_lt_u64_e64 s[4:5], s[4:5], 3
	v_add_co_u32_e32 v7, vcc, s8, v7
	v_addc_co_u32_e32 v8, vcc, v8, v10, vcc
	s_and_b64 vcc, exec, s[4:5]
	s_cbranch_vccnz .LBB47_26
; %bb.25:                               ;   in Loop: Header=BB47_20 Depth=1
	s_mov_b64 s[4:5], s[6:7]
	s_branch .LBB47_20
.LBB47_26:
	v_cmp_eq_u32_e32 vcc, 0, v0
	s_and_saveexec_b64 s[4:5], vcc
	s_cbranch_execz .LBB47_28
; %bb.27:
	s_add_u32 s2, s2, s12
	v_mad_u64_u32 v[1:2], s[6:7], s2, v0, 0
	s_addc_u32 s2, s3, s13
	v_mad_u64_u32 v[5:6], s[2:3], s2, v0, v[2:3]
	v_mov_b32_e32 v6, s11
	v_mov_b32_e32 v2, v5
	v_lshlrev_b64 v[0:1], 2, v[1:2]
	v_add_co_u32_e32 v0, vcc, s10, v0
	v_addc_co_u32_e32 v1, vcc, v6, v1, vcc
	flat_load_dword v0, v[0:1]
	s_waitcnt vmcnt(0) lgkmcnt(0)
	v_div_scale_f32 v1, s[2:3], v0, v0, 1.0
	v_div_scale_f32 v2, vcc, 1.0, v0, 1.0
	v_rcp_f32_e32 v5, v1
	v_fma_f32 v6, -v1, v5, 1.0
	v_fmac_f32_e32 v5, v6, v5
	v_mul_f32_e32 v6, v2, v5
	v_fma_f32 v7, -v1, v6, v2
	v_fmac_f32_e32 v6, v7, v5
	v_fma_f32 v1, -v1, v6, v2
	v_div_fmas_f32 v1, v1, v5, v6
	v_div_fixup_f32 v1, v1, v0, 1.0
	v_cndmask_b32_e64 v0, v1, v0, s[0:1]
	v_mul_f32_e32 v9, v9, v0
.LBB47_28:
	s_or_b64 exec, exec, s[4:5]
	global_store_dword v[3:4], v9, off
.LBB47_29:
	s_endpgm
	.section	.rodata,"a",@progbits
	.p2align	6, 0x0
	.amdhsa_kernel _ZL40rocblas_trsm_block_backward_substitutionIffPKfPfLb0ELb0ELb0EEv18rocblas_operation_llT0_T1_lllT2_lllib
		.amdhsa_group_segment_fixed_size 0
		.amdhsa_private_segment_fixed_size 0
		.amdhsa_kernarg_size 360
		.amdhsa_user_sgpr_count 6
		.amdhsa_user_sgpr_private_segment_buffer 1
		.amdhsa_user_sgpr_dispatch_ptr 0
		.amdhsa_user_sgpr_queue_ptr 0
		.amdhsa_user_sgpr_kernarg_segment_ptr 1
		.amdhsa_user_sgpr_dispatch_id 0
		.amdhsa_user_sgpr_flat_scratch_init 0
		.amdhsa_user_sgpr_private_segment_size 0
		.amdhsa_uses_dynamic_stack 0
		.amdhsa_system_sgpr_private_segment_wavefront_offset 0
		.amdhsa_system_sgpr_workgroup_id_x 1
		.amdhsa_system_sgpr_workgroup_id_y 1
		.amdhsa_system_sgpr_workgroup_id_z 1
		.amdhsa_system_sgpr_workgroup_info 0
		.amdhsa_system_vgpr_workitem_id 1
		.amdhsa_next_free_vgpr 16
		.amdhsa_next_free_sgpr 44
		.amdhsa_reserve_vcc 1
		.amdhsa_reserve_flat_scratch 0
		.amdhsa_float_round_mode_32 0
		.amdhsa_float_round_mode_16_64 0
		.amdhsa_float_denorm_mode_32 3
		.amdhsa_float_denorm_mode_16_64 3
		.amdhsa_dx10_clamp 1
		.amdhsa_ieee_mode 1
		.amdhsa_fp16_overflow 0
		.amdhsa_exception_fp_ieee_invalid_op 0
		.amdhsa_exception_fp_denorm_src 0
		.amdhsa_exception_fp_ieee_div_zero 0
		.amdhsa_exception_fp_ieee_overflow 0
		.amdhsa_exception_fp_ieee_underflow 0
		.amdhsa_exception_fp_ieee_inexact 0
		.amdhsa_exception_int_div_zero 0
	.end_amdhsa_kernel
	.section	.text._ZL40rocblas_trsm_block_backward_substitutionIffPKfPfLb0ELb0ELb0EEv18rocblas_operation_llT0_T1_lllT2_lllib,"axG",@progbits,_ZL40rocblas_trsm_block_backward_substitutionIffPKfPfLb0ELb0ELb0EEv18rocblas_operation_llT0_T1_lllT2_lllib,comdat
.Lfunc_end47:
	.size	_ZL40rocblas_trsm_block_backward_substitutionIffPKfPfLb0ELb0ELb0EEv18rocblas_operation_llT0_T1_lllT2_lllib, .Lfunc_end47-_ZL40rocblas_trsm_block_backward_substitutionIffPKfPfLb0ELb0ELb0EEv18rocblas_operation_llT0_T1_lllT2_lllib
                                        ; -- End function
	.set _ZL40rocblas_trsm_block_backward_substitutionIffPKfPfLb0ELb0ELb0EEv18rocblas_operation_llT0_T1_lllT2_lllib.num_vgpr, 16
	.set _ZL40rocblas_trsm_block_backward_substitutionIffPKfPfLb0ELb0ELb0EEv18rocblas_operation_llT0_T1_lllT2_lllib.num_agpr, 0
	.set _ZL40rocblas_trsm_block_backward_substitutionIffPKfPfLb0ELb0ELb0EEv18rocblas_operation_llT0_T1_lllT2_lllib.numbered_sgpr, 44
	.set _ZL40rocblas_trsm_block_backward_substitutionIffPKfPfLb0ELb0ELb0EEv18rocblas_operation_llT0_T1_lllT2_lllib.num_named_barrier, 0
	.set _ZL40rocblas_trsm_block_backward_substitutionIffPKfPfLb0ELb0ELb0EEv18rocblas_operation_llT0_T1_lllT2_lllib.private_seg_size, 0
	.set _ZL40rocblas_trsm_block_backward_substitutionIffPKfPfLb0ELb0ELb0EEv18rocblas_operation_llT0_T1_lllT2_lllib.uses_vcc, 1
	.set _ZL40rocblas_trsm_block_backward_substitutionIffPKfPfLb0ELb0ELb0EEv18rocblas_operation_llT0_T1_lllT2_lllib.uses_flat_scratch, 0
	.set _ZL40rocblas_trsm_block_backward_substitutionIffPKfPfLb0ELb0ELb0EEv18rocblas_operation_llT0_T1_lllT2_lllib.has_dyn_sized_stack, 0
	.set _ZL40rocblas_trsm_block_backward_substitutionIffPKfPfLb0ELb0ELb0EEv18rocblas_operation_llT0_T1_lllT2_lllib.has_recursion, 0
	.set _ZL40rocblas_trsm_block_backward_substitutionIffPKfPfLb0ELb0ELb0EEv18rocblas_operation_llT0_T1_lllT2_lllib.has_indirect_call, 0
	.section	.AMDGPU.csdata,"",@progbits
; Kernel info:
; codeLenInByte = 1372
; TotalNumSgprs: 48
; NumVgprs: 16
; ScratchSize: 0
; MemoryBound: 0
; FloatMode: 240
; IeeeMode: 1
; LDSByteSize: 0 bytes/workgroup (compile time only)
; SGPRBlocks: 5
; VGPRBlocks: 3
; NumSGPRsForWavesPerEU: 48
; NumVGPRsForWavesPerEU: 16
; Occupancy: 10
; WaveLimiterHint : 1
; COMPUTE_PGM_RSRC2:SCRATCH_EN: 0
; COMPUTE_PGM_RSRC2:USER_SGPR: 6
; COMPUTE_PGM_RSRC2:TRAP_HANDLER: 0
; COMPUTE_PGM_RSRC2:TGID_X_EN: 1
; COMPUTE_PGM_RSRC2:TGID_Y_EN: 1
; COMPUTE_PGM_RSRC2:TGID_Z_EN: 1
; COMPUTE_PGM_RSRC2:TIDIG_COMP_CNT: 1
	.section	.text._ZL39rocblas_trsm_block_forward_substitutionIffPKfPfLb0ELb0ELb1EEv18rocblas_operation_llT0_T1_lllT2_lllib,"axG",@progbits,_ZL39rocblas_trsm_block_forward_substitutionIffPKfPfLb0ELb0ELb1EEv18rocblas_operation_llT0_T1_lllT2_lllib,comdat
	.globl	_ZL39rocblas_trsm_block_forward_substitutionIffPKfPfLb0ELb0ELb1EEv18rocblas_operation_llT0_T1_lllT2_lllib ; -- Begin function _ZL39rocblas_trsm_block_forward_substitutionIffPKfPfLb0ELb0ELb1EEv18rocblas_operation_llT0_T1_lllT2_lllib
	.p2align	8
	.type	_ZL39rocblas_trsm_block_forward_substitutionIffPKfPfLb0ELb0ELb1EEv18rocblas_operation_llT0_T1_lllT2_lllib,@function
_ZL39rocblas_trsm_block_forward_substitutionIffPKfPfLb0ELb0ELb1EEv18rocblas_operation_llT0_T1_lllT2_lllib: ; @_ZL39rocblas_trsm_block_forward_substitutionIffPKfPfLb0ELb0ELb1EEv18rocblas_operation_llT0_T1_lllT2_lllib
; %bb.0:
	s_load_dwordx16 s[12:27], s[4:5], 0x20
	s_load_dwordx4 s[28:31], s[4:5], 0x8
	s_load_dword s9, s[4:5], 0x64
	s_load_dword s6, s[4:5], 0x74
	v_mov_b32_e32 v2, v1
	s_waitcnt lgkmcnt(0)
	s_mul_i32 s0, s19, s8
	s_mul_hi_u32 s1, s18, s8
	s_add_i32 s1, s1, s0
	s_mul_i32 s0, s18, s8
	s_lshl_b64 s[0:1], s[0:1], 2
	s_add_u32 s2, s12, s0
	s_addc_u32 s3, s13, s1
	s_lshl_b64 s[0:1], s[14:15], 2
	s_add_u32 s2, s2, s0
	s_addc_u32 s3, s3, s1
	s_add_u32 s10, s4, 0x68
	s_addc_u32 s11, s5, 0
	s_lshr_b32 s6, s6, 16
	s_bitcmp0_b32 s9, 0
	s_cbranch_scc1 .LBB48_7
; %bb.1:
	v_cmp_lt_i64_e64 s[0:1], s[28:29], 1
	s_lshl_b32 s9, s6, 2
	s_add_i32 s12, s9, 0
	s_and_b64 vcc, exec, s[0:1]
	s_cbranch_vccnz .LBB48_6
; %bb.2:
	v_lshlrev_b32_e32 v4, 2, v0
	v_mov_b32_e32 v1, 0
	v_cmp_gt_u64_e64 s[0:1], s[28:29], v[0:1]
	v_mov_b32_e32 v5, s3
	v_add_co_u32_e32 v1, vcc, s2, v4
	v_add_u32_e32 v3, s12, v4
	v_addc_co_u32_e32 v4, vcc, 0, v5, vcc
	s_mov_b32 s9, 0
	s_branch .LBB48_4
.LBB48_3:                               ;   in Loop: Header=BB48_4 Depth=1
	s_or_b64 exec, exec, s[2:3]
	s_add_i32 s9, s9, s6
	s_ashr_i32 s2, s9, 31
	v_mov_b32_e32 v5, s9
	v_mov_b32_e32 v6, s2
	v_cmp_le_i64_e32 vcc, s[28:29], v[5:6]
	s_cbranch_vccnz .LBB48_6
.LBB48_4:                               ; =>This Inner Loop Header: Depth=1
	v_add_u32_e32 v5, s9, v2
	v_cmp_gt_i32_e32 vcc, v0, v5
	s_and_b64 s[14:15], s[0:1], vcc
	s_and_saveexec_b64 s[2:3], s[14:15]
	s_cbranch_execz .LBB48_3
; %bb.5:                                ;   in Loop: Header=BB48_4 Depth=1
	v_ashrrev_i32_e32 v8, 31, v5
	v_mul_lo_u32 v9, s17, v5
	v_mad_u64_u32 v[6:7], s[14:15], s16, v5, 0
	v_mul_lo_u32 v8, s16, v8
	s_load_dword s13, s[10:11], 0xc
	v_add3_u32 v7, v7, v8, v9
	v_lshlrev_b64 v[6:7], 2, v[6:7]
	s_waitcnt lgkmcnt(0)
	s_and_b32 s13, s13, 0xffff
	v_add_co_u32_e32 v6, vcc, v1, v6
	v_addc_co_u32_e32 v7, vcc, v4, v7, vcc
	global_load_dword v6, v[6:7], off
	v_mul_lo_u32 v5, v5, s13
	v_lshl_add_u32 v5, v5, 2, v3
	s_waitcnt vmcnt(0)
	ds_write_b32 v5, v6
	s_branch .LBB48_3
.LBB48_6:
	s_mov_b64 s[0:1], src_shared_base
	s_load_dword s0, s[10:11], 0xc
	s_mov_b32 s13, s1
	s_mov_b32 s17, 0
	s_mov_b64 s[2:3], s[12:13]
	s_waitcnt lgkmcnt(0)
	s_and_b32 s16, s0, 0xffff
.LBB48_7:
	s_mul_i32 s7, s7, s6
	v_add_u32_e32 v3, s7, v2
	v_mov_b32_e32 v4, 0
	v_cmp_gt_i64_e32 vcc, s[30:31], v[3:4]
	s_and_saveexec_b64 s[0:1], vcc
	s_cbranch_execz .LBB48_17
; %bb.8:
	v_mov_b32_e32 v1, v4
	v_cmp_gt_i64_e32 vcc, s[28:29], v[0:1]
	s_and_b64 exec, exec, vcc
	s_cbranch_execz .LBB48_17
; %bb.9:
	s_mul_i32 s0, s27, s8
	s_mul_hi_u32 s1, s26, s8
	v_mad_u64_u32 v[4:5], s[6:7], s24, v3, 0
	s_add_i32 s1, s1, s0
	s_mul_i32 s0, s26, s8
	s_lshl_b64 s[0:1], s[0:1], 2
	s_add_u32 s6, s20, s0
	s_addc_u32 s7, s21, s1
	v_mad_u64_u32 v[5:6], s[0:1], s25, v3, v[5:6]
	s_lshl_b64 s[0:1], s[22:23], 2
	s_add_u32 s0, s6, s0
	v_lshlrev_b64 v[3:4], 2, v[4:5]
	s_addc_u32 s1, s7, s1
	v_mov_b32_e32 v5, s1
	v_add_co_u32_e32 v3, vcc, s0, v3
	v_addc_co_u32_e32 v4, vcc, v5, v4, vcc
	v_lshlrev_b32_e32 v5, 2, v0
	v_add_co_u32_e32 v3, vcc, v3, v5
	v_addc_co_u32_e32 v4, vcc, 0, v4, vcc
	global_load_dword v6, v[3:4], off
	s_load_dword s4, s[4:5], 0x18
	v_cmp_lt_u64_e64 s[0:1], s[28:29], 2
	s_and_b64 vcc, exec, s[0:1]
	s_waitcnt vmcnt(0) lgkmcnt(0)
	v_mul_f32_e32 v7, s4, v6
	s_cbranch_vccnz .LBB48_16
; %bb.10:
	s_add_u32 s0, s28, -1
	v_mov_b32_e32 v6, s3
	v_add_co_u32_e32 v5, vcc, s2, v5
	s_addc_u32 s1, s29, -1
	s_lshl_b64 s[2:3], s[16:17], 2
	v_addc_co_u32_e32 v6, vcc, 0, v6, vcc
	v_lshl_add_u32 v2, v2, 2, 0
	s_mov_b64 s[4:5], 0
	v_mov_b32_e32 v8, s3
	s_branch .LBB48_12
.LBB48_11:                              ;   in Loop: Header=BB48_12 Depth=1
	s_or_b64 exec, exec, s[6:7]
	s_add_u32 s4, s4, 1
	s_addc_u32 s5, s5, 0
	v_add_co_u32_e32 v5, vcc, s2, v5
	s_cmp_eq_u64 s[0:1], s[4:5]
	v_addc_co_u32_e32 v6, vcc, v6, v8, vcc
	s_cbranch_scc1 .LBB48_16
.LBB48_12:                              ; =>This Inner Loop Header: Depth=1
	v_cmp_eq_u64_e32 vcc, s[4:5], v[0:1]
	s_barrier
	s_and_saveexec_b64 s[6:7], vcc
; %bb.13:                               ;   in Loop: Header=BB48_12 Depth=1
	ds_write_b32 v2, v7
; %bb.14:                               ;   in Loop: Header=BB48_12 Depth=1
	s_or_b64 exec, exec, s[6:7]
	v_cmp_lt_u64_e32 vcc, s[4:5], v[0:1]
	s_waitcnt lgkmcnt(0)
	s_barrier
	s_and_saveexec_b64 s[6:7], vcc
	s_cbranch_execz .LBB48_11
; %bb.15:                               ;   in Loop: Header=BB48_12 Depth=1
	flat_load_dword v9, v[5:6]
	ds_read_b32 v10, v2
	s_waitcnt vmcnt(0) lgkmcnt(0)
	v_fma_f32 v7, -v9, v10, v7
	s_branch .LBB48_11
.LBB48_16:
	global_store_dword v[3:4], v7, off
.LBB48_17:
	s_endpgm
	.section	.rodata,"a",@progbits
	.p2align	6, 0x0
	.amdhsa_kernel _ZL39rocblas_trsm_block_forward_substitutionIffPKfPfLb0ELb0ELb1EEv18rocblas_operation_llT0_T1_lllT2_lllib
		.amdhsa_group_segment_fixed_size 0
		.amdhsa_private_segment_fixed_size 0
		.amdhsa_kernarg_size 360
		.amdhsa_user_sgpr_count 6
		.amdhsa_user_sgpr_private_segment_buffer 1
		.amdhsa_user_sgpr_dispatch_ptr 0
		.amdhsa_user_sgpr_queue_ptr 0
		.amdhsa_user_sgpr_kernarg_segment_ptr 1
		.amdhsa_user_sgpr_dispatch_id 0
		.amdhsa_user_sgpr_flat_scratch_init 0
		.amdhsa_user_sgpr_private_segment_size 0
		.amdhsa_uses_dynamic_stack 0
		.amdhsa_system_sgpr_private_segment_wavefront_offset 0
		.amdhsa_system_sgpr_workgroup_id_x 1
		.amdhsa_system_sgpr_workgroup_id_y 1
		.amdhsa_system_sgpr_workgroup_id_z 1
		.amdhsa_system_sgpr_workgroup_info 0
		.amdhsa_system_vgpr_workitem_id 1
		.amdhsa_next_free_vgpr 11
		.amdhsa_next_free_sgpr 32
		.amdhsa_reserve_vcc 1
		.amdhsa_reserve_flat_scratch 0
		.amdhsa_float_round_mode_32 0
		.amdhsa_float_round_mode_16_64 0
		.amdhsa_float_denorm_mode_32 3
		.amdhsa_float_denorm_mode_16_64 3
		.amdhsa_dx10_clamp 1
		.amdhsa_ieee_mode 1
		.amdhsa_fp16_overflow 0
		.amdhsa_exception_fp_ieee_invalid_op 0
		.amdhsa_exception_fp_denorm_src 0
		.amdhsa_exception_fp_ieee_div_zero 0
		.amdhsa_exception_fp_ieee_overflow 0
		.amdhsa_exception_fp_ieee_underflow 0
		.amdhsa_exception_fp_ieee_inexact 0
		.amdhsa_exception_int_div_zero 0
	.end_amdhsa_kernel
	.section	.text._ZL39rocblas_trsm_block_forward_substitutionIffPKfPfLb0ELb0ELb1EEv18rocblas_operation_llT0_T1_lllT2_lllib,"axG",@progbits,_ZL39rocblas_trsm_block_forward_substitutionIffPKfPfLb0ELb0ELb1EEv18rocblas_operation_llT0_T1_lllT2_lllib,comdat
.Lfunc_end48:
	.size	_ZL39rocblas_trsm_block_forward_substitutionIffPKfPfLb0ELb0ELb1EEv18rocblas_operation_llT0_T1_lllT2_lllib, .Lfunc_end48-_ZL39rocblas_trsm_block_forward_substitutionIffPKfPfLb0ELb0ELb1EEv18rocblas_operation_llT0_T1_lllT2_lllib
                                        ; -- End function
	.set _ZL39rocblas_trsm_block_forward_substitutionIffPKfPfLb0ELb0ELb1EEv18rocblas_operation_llT0_T1_lllT2_lllib.num_vgpr, 11
	.set _ZL39rocblas_trsm_block_forward_substitutionIffPKfPfLb0ELb0ELb1EEv18rocblas_operation_llT0_T1_lllT2_lllib.num_agpr, 0
	.set _ZL39rocblas_trsm_block_forward_substitutionIffPKfPfLb0ELb0ELb1EEv18rocblas_operation_llT0_T1_lllT2_lllib.numbered_sgpr, 32
	.set _ZL39rocblas_trsm_block_forward_substitutionIffPKfPfLb0ELb0ELb1EEv18rocblas_operation_llT0_T1_lllT2_lllib.num_named_barrier, 0
	.set _ZL39rocblas_trsm_block_forward_substitutionIffPKfPfLb0ELb0ELb1EEv18rocblas_operation_llT0_T1_lllT2_lllib.private_seg_size, 0
	.set _ZL39rocblas_trsm_block_forward_substitutionIffPKfPfLb0ELb0ELb1EEv18rocblas_operation_llT0_T1_lllT2_lllib.uses_vcc, 1
	.set _ZL39rocblas_trsm_block_forward_substitutionIffPKfPfLb0ELb0ELb1EEv18rocblas_operation_llT0_T1_lllT2_lllib.uses_flat_scratch, 0
	.set _ZL39rocblas_trsm_block_forward_substitutionIffPKfPfLb0ELb0ELb1EEv18rocblas_operation_llT0_T1_lllT2_lllib.has_dyn_sized_stack, 0
	.set _ZL39rocblas_trsm_block_forward_substitutionIffPKfPfLb0ELb0ELb1EEv18rocblas_operation_llT0_T1_lllT2_lllib.has_recursion, 0
	.set _ZL39rocblas_trsm_block_forward_substitutionIffPKfPfLb0ELb0ELb1EEv18rocblas_operation_llT0_T1_lllT2_lllib.has_indirect_call, 0
	.section	.AMDGPU.csdata,"",@progbits
; Kernel info:
; codeLenInByte = 692
; TotalNumSgprs: 36
; NumVgprs: 11
; ScratchSize: 0
; MemoryBound: 0
; FloatMode: 240
; IeeeMode: 1
; LDSByteSize: 0 bytes/workgroup (compile time only)
; SGPRBlocks: 4
; VGPRBlocks: 2
; NumSGPRsForWavesPerEU: 36
; NumVGPRsForWavesPerEU: 11
; Occupancy: 10
; WaveLimiterHint : 1
; COMPUTE_PGM_RSRC2:SCRATCH_EN: 0
; COMPUTE_PGM_RSRC2:USER_SGPR: 6
; COMPUTE_PGM_RSRC2:TRAP_HANDLER: 0
; COMPUTE_PGM_RSRC2:TGID_X_EN: 1
; COMPUTE_PGM_RSRC2:TGID_Y_EN: 1
; COMPUTE_PGM_RSRC2:TGID_Z_EN: 1
; COMPUTE_PGM_RSRC2:TIDIG_COMP_CNT: 1
	.section	.text._ZL40rocblas_trsm_block_backward_substitutionIffPKfPfLb0ELb0ELb1EEv18rocblas_operation_llT0_T1_lllT2_lllib,"axG",@progbits,_ZL40rocblas_trsm_block_backward_substitutionIffPKfPfLb0ELb0ELb1EEv18rocblas_operation_llT0_T1_lllT2_lllib,comdat
	.globl	_ZL40rocblas_trsm_block_backward_substitutionIffPKfPfLb0ELb0ELb1EEv18rocblas_operation_llT0_T1_lllT2_lllib ; -- Begin function _ZL40rocblas_trsm_block_backward_substitutionIffPKfPfLb0ELb0ELb1EEv18rocblas_operation_llT0_T1_lllT2_lllib
	.p2align	8
	.type	_ZL40rocblas_trsm_block_backward_substitutionIffPKfPfLb0ELb0ELb1EEv18rocblas_operation_llT0_T1_lllT2_lllib,@function
_ZL40rocblas_trsm_block_backward_substitutionIffPKfPfLb0ELb0ELb1EEv18rocblas_operation_llT0_T1_lllT2_lllib: ; @_ZL40rocblas_trsm_block_backward_substitutionIffPKfPfLb0ELb0ELb1EEv18rocblas_operation_llT0_T1_lllT2_lllib
; %bb.0:
	s_load_dwordx16 s[12:27], s[4:5], 0x20
	s_load_dwordx4 s[28:31], s[4:5], 0x8
	s_load_dword s9, s[4:5], 0x64
	s_load_dword s6, s[4:5], 0x74
	v_mov_b32_e32 v2, v1
	s_waitcnt lgkmcnt(0)
	s_mul_i32 s0, s19, s8
	s_mul_hi_u32 s1, s18, s8
	s_add_i32 s1, s1, s0
	s_mul_i32 s0, s18, s8
	s_lshl_b64 s[0:1], s[0:1], 2
	s_add_u32 s2, s12, s0
	s_addc_u32 s3, s13, s1
	s_lshl_b64 s[0:1], s[14:15], 2
	s_add_u32 s2, s2, s0
	s_addc_u32 s3, s3, s1
	s_add_u32 s12, s4, 0x68
	s_addc_u32 s13, s5, 0
	s_lshr_b32 s6, s6, 16
	s_bitcmp0_b32 s9, 0
	s_mov_b64 s[0:1], 1
	s_cbranch_scc1 .LBB49_6
; %bb.1:
	s_lshl_b32 s0, s6, 2
	s_add_i32 s14, s0, 0
	v_cmp_lt_i64_e64 s[0:1], s[28:29], 1
	s_mov_b64 s[10:11], 1
	s_and_b64 vcc, exec, s[0:1]
	s_cbranch_vccnz .LBB49_7
; %bb.2:
	v_mad_u64_u32 v[3:4], s[0:1], s16, v0, 0
	v_lshl_add_u32 v5, v0, 2, s14
	s_mov_b32 s9, 0
	v_mov_b32_e32 v1, v4
	v_mad_u64_u32 v[6:7], s[0:1], s17, v0, v[1:2]
	v_mov_b32_e32 v1, 0
	v_mov_b32_e32 v7, s3
	;; [unrolled: 1-line block ×3, first 2 shown]
	v_lshlrev_b64 v[3:4], 2, v[3:4]
	v_cmp_gt_u64_e64 s[0:1], s[28:29], v[0:1]
	v_add_co_u32_e32 v1, vcc, s2, v3
	v_addc_co_u32_e32 v6, vcc, v7, v4, vcc
	s_branch .LBB49_4
.LBB49_3:                               ;   in Loop: Header=BB49_4 Depth=1
	s_or_b64 exec, exec, s[2:3]
	s_add_i32 s9, s9, s6
	s_ashr_i32 s2, s9, 31
	v_mov_b32_e32 v3, s9
	v_mov_b32_e32 v4, s2
	v_cmp_le_i64_e32 vcc, s[28:29], v[3:4]
	s_cbranch_vccnz .LBB49_7
.LBB49_4:                               ; =>This Inner Loop Header: Depth=1
	v_add_u32_e32 v3, s9, v2
	v_ashrrev_i32_e32 v4, 31, v3
	v_cmp_gt_i64_e32 vcc, s[28:29], v[3:4]
	v_cmp_lt_i32_e64 s[2:3], v0, v3
	s_and_b64 s[2:3], s[2:3], vcc
	s_and_b64 s[16:17], s[0:1], s[2:3]
	s_and_saveexec_b64 s[2:3], s[16:17]
	s_cbranch_execz .LBB49_3
; %bb.5:                                ;   in Loop: Header=BB49_4 Depth=1
	v_lshlrev_b64 v[7:8], 2, v[3:4]
	s_load_dword s15, s[12:13], 0xc
	v_add_co_u32_e32 v7, vcc, v1, v7
	v_addc_co_u32_e32 v8, vcc, v6, v8, vcc
	global_load_dword v4, v[7:8], off
	s_waitcnt lgkmcnt(0)
	s_and_b32 s15, s15, 0xffff
	v_mul_lo_u32 v3, v3, s15
	v_lshl_add_u32 v3, v3, 2, v5
	s_waitcnt vmcnt(0)
	ds_write_b32 v3, v4
	s_branch .LBB49_3
.LBB49_6:
	s_mov_b64 s[10:11], s[16:17]
	s_branch .LBB49_8
.LBB49_7:
	s_mov_b64 s[0:1], src_shared_base
	s_load_dword s0, s[12:13], 0xc
	s_mov_b32 s15, s1
	s_mov_b64 s[2:3], s[14:15]
	s_waitcnt lgkmcnt(0)
	s_and_b32 s0, s0, 0xffff
.LBB49_8:
	s_mul_i32 s7, s7, s6
	v_add_u32_e32 v3, s7, v2
	v_mov_b32_e32 v4, 0
	v_cmp_gt_i64_e32 vcc, s[30:31], v[3:4]
	s_and_saveexec_b64 s[6:7], vcc
	s_cbranch_execz .LBB49_19
; %bb.9:
	v_mov_b32_e32 v1, v4
	v_cmp_gt_i64_e32 vcc, s[28:29], v[0:1]
	s_and_b64 exec, exec, vcc
	s_cbranch_execz .LBB49_19
; %bb.10:
	s_mul_i32 s1, s27, s8
	s_mul_hi_u32 s6, s26, s8
	s_add_i32 s7, s6, s1
	s_mul_i32 s6, s26, s8
	v_mad_u64_u32 v[5:6], s[8:9], s24, v0, 0
	s_lshl_b64 s[6:7], s[6:7], 2
	s_add_u32 s1, s20, s6
	s_addc_u32 s8, s21, s7
	v_mad_u64_u32 v[6:7], s[6:7], s25, v0, v[6:7]
	s_lshl_b64 s[6:7], s[22:23], 2
	s_add_u32 s1, s1, s6
	v_lshlrev_b64 v[5:6], 2, v[5:6]
	s_addc_u32 s6, s8, s7
	v_mov_b32_e32 v7, s6
	v_add_co_u32_e32 v5, vcc, s1, v5
	v_lshlrev_b64 v[3:4], 2, v[3:4]
	v_addc_co_u32_e32 v6, vcc, v7, v6, vcc
	v_add_co_u32_e32 v3, vcc, v5, v3
	v_addc_co_u32_e32 v4, vcc, v6, v4, vcc
	global_load_dword v5, v[3:4], off
	s_load_dword s1, s[4:5], 0x18
	v_cmp_lt_u64_e64 s[4:5], s[28:29], 2
	s_and_b64 vcc, exec, s[4:5]
	s_waitcnt vmcnt(0) lgkmcnt(0)
	v_mul_f32_e32 v7, s1, v5
	s_cbranch_vccnz .LBB49_18
; %bb.11:
	v_mad_u64_u32 v[5:6], s[4:5], s10, v0, 0
	v_lshl_add_u32 v2, v2, 2, 0
	v_mad_u64_u32 v[8:9], s[4:5], s11, v0, v[6:7]
	s_add_u32 s4, s28, -1
	s_addc_u32 s5, s29, -1
	s_mul_i32 s1, s0, s5
	s_mul_hi_u32 s6, s0, s4
	s_add_i32 s7, s6, s1
	s_mul_i32 s6, s0, s4
	s_lshl_b64 s[6:7], s[6:7], 2
	v_mov_b32_e32 v6, v8
	s_add_u32 s1, s2, s6
	v_lshlrev_b64 v[5:6], 2, v[5:6]
	s_addc_u32 s2, s3, s7
	s_lshl_b32 s0, s0, 2
	v_mov_b32_e32 v8, s2
	s_sub_u32 s2, 0, s0
	v_add_co_u32_e32 v5, vcc, s1, v5
	s_subb_u32 s0, 0, 0
	v_addc_co_u32_e32 v6, vcc, v8, v6, vcc
	v_mov_b32_e32 v8, s0
.LBB49_12:                              ; =>This Inner Loop Header: Depth=1
	v_cmp_eq_u64_e32 vcc, s[4:5], v[0:1]
	s_barrier
	s_and_saveexec_b64 s[0:1], vcc
; %bb.13:                               ;   in Loop: Header=BB49_12 Depth=1
	ds_write_b32 v2, v7
; %bb.14:                               ;   in Loop: Header=BB49_12 Depth=1
	s_or_b64 exec, exec, s[0:1]
	v_cmp_gt_i64_e32 vcc, s[4:5], v[0:1]
	s_waitcnt lgkmcnt(0)
	s_barrier
	s_and_saveexec_b64 s[0:1], vcc
	s_cbranch_execz .LBB49_16
; %bb.15:                               ;   in Loop: Header=BB49_12 Depth=1
	flat_load_dword v9, v[5:6]
	ds_read_b32 v10, v2
	s_waitcnt vmcnt(0) lgkmcnt(0)
	v_fma_f32 v7, -v9, v10, v7
.LBB49_16:                              ;   in Loop: Header=BB49_12 Depth=1
	s_or_b64 exec, exec, s[0:1]
	s_add_u32 s0, s4, -1
	s_addc_u32 s1, s5, -1
	s_add_u32 s4, s4, 1
	s_addc_u32 s5, s5, 0
	v_cmp_lt_u64_e64 s[4:5], s[4:5], 3
	v_add_co_u32_e32 v5, vcc, s2, v5
	v_addc_co_u32_e32 v6, vcc, v6, v8, vcc
	s_and_b64 vcc, exec, s[4:5]
	s_cbranch_vccnz .LBB49_18
; %bb.17:                               ;   in Loop: Header=BB49_12 Depth=1
	s_mov_b64 s[4:5], s[0:1]
	s_branch .LBB49_12
.LBB49_18:
	global_store_dword v[3:4], v7, off
.LBB49_19:
	s_endpgm
	.section	.rodata,"a",@progbits
	.p2align	6, 0x0
	.amdhsa_kernel _ZL40rocblas_trsm_block_backward_substitutionIffPKfPfLb0ELb0ELb1EEv18rocblas_operation_llT0_T1_lllT2_lllib
		.amdhsa_group_segment_fixed_size 0
		.amdhsa_private_segment_fixed_size 0
		.amdhsa_kernarg_size 360
		.amdhsa_user_sgpr_count 6
		.amdhsa_user_sgpr_private_segment_buffer 1
		.amdhsa_user_sgpr_dispatch_ptr 0
		.amdhsa_user_sgpr_queue_ptr 0
		.amdhsa_user_sgpr_kernarg_segment_ptr 1
		.amdhsa_user_sgpr_dispatch_id 0
		.amdhsa_user_sgpr_flat_scratch_init 0
		.amdhsa_user_sgpr_private_segment_size 0
		.amdhsa_uses_dynamic_stack 0
		.amdhsa_system_sgpr_private_segment_wavefront_offset 0
		.amdhsa_system_sgpr_workgroup_id_x 1
		.amdhsa_system_sgpr_workgroup_id_y 1
		.amdhsa_system_sgpr_workgroup_id_z 1
		.amdhsa_system_sgpr_workgroup_info 0
		.amdhsa_system_vgpr_workitem_id 1
		.amdhsa_next_free_vgpr 11
		.amdhsa_next_free_sgpr 32
		.amdhsa_reserve_vcc 1
		.amdhsa_reserve_flat_scratch 0
		.amdhsa_float_round_mode_32 0
		.amdhsa_float_round_mode_16_64 0
		.amdhsa_float_denorm_mode_32 3
		.amdhsa_float_denorm_mode_16_64 3
		.amdhsa_dx10_clamp 1
		.amdhsa_ieee_mode 1
		.amdhsa_fp16_overflow 0
		.amdhsa_exception_fp_ieee_invalid_op 0
		.amdhsa_exception_fp_denorm_src 0
		.amdhsa_exception_fp_ieee_div_zero 0
		.amdhsa_exception_fp_ieee_overflow 0
		.amdhsa_exception_fp_ieee_underflow 0
		.amdhsa_exception_fp_ieee_inexact 0
		.amdhsa_exception_int_div_zero 0
	.end_amdhsa_kernel
	.section	.text._ZL40rocblas_trsm_block_backward_substitutionIffPKfPfLb0ELb0ELb1EEv18rocblas_operation_llT0_T1_lllT2_lllib,"axG",@progbits,_ZL40rocblas_trsm_block_backward_substitutionIffPKfPfLb0ELb0ELb1EEv18rocblas_operation_llT0_T1_lllT2_lllib,comdat
.Lfunc_end49:
	.size	_ZL40rocblas_trsm_block_backward_substitutionIffPKfPfLb0ELb0ELb1EEv18rocblas_operation_llT0_T1_lllT2_lllib, .Lfunc_end49-_ZL40rocblas_trsm_block_backward_substitutionIffPKfPfLb0ELb0ELb1EEv18rocblas_operation_llT0_T1_lllT2_lllib
                                        ; -- End function
	.set _ZL40rocblas_trsm_block_backward_substitutionIffPKfPfLb0ELb0ELb1EEv18rocblas_operation_llT0_T1_lllT2_lllib.num_vgpr, 11
	.set _ZL40rocblas_trsm_block_backward_substitutionIffPKfPfLb0ELb0ELb1EEv18rocblas_operation_llT0_T1_lllT2_lllib.num_agpr, 0
	.set _ZL40rocblas_trsm_block_backward_substitutionIffPKfPfLb0ELb0ELb1EEv18rocblas_operation_llT0_T1_lllT2_lllib.numbered_sgpr, 32
	.set _ZL40rocblas_trsm_block_backward_substitutionIffPKfPfLb0ELb0ELb1EEv18rocblas_operation_llT0_T1_lllT2_lllib.num_named_barrier, 0
	.set _ZL40rocblas_trsm_block_backward_substitutionIffPKfPfLb0ELb0ELb1EEv18rocblas_operation_llT0_T1_lllT2_lllib.private_seg_size, 0
	.set _ZL40rocblas_trsm_block_backward_substitutionIffPKfPfLb0ELb0ELb1EEv18rocblas_operation_llT0_T1_lllT2_lllib.uses_vcc, 1
	.set _ZL40rocblas_trsm_block_backward_substitutionIffPKfPfLb0ELb0ELb1EEv18rocblas_operation_llT0_T1_lllT2_lllib.uses_flat_scratch, 0
	.set _ZL40rocblas_trsm_block_backward_substitutionIffPKfPfLb0ELb0ELb1EEv18rocblas_operation_llT0_T1_lllT2_lllib.has_dyn_sized_stack, 0
	.set _ZL40rocblas_trsm_block_backward_substitutionIffPKfPfLb0ELb0ELb1EEv18rocblas_operation_llT0_T1_lllT2_lllib.has_recursion, 0
	.set _ZL40rocblas_trsm_block_backward_substitutionIffPKfPfLb0ELb0ELb1EEv18rocblas_operation_llT0_T1_lllT2_lllib.has_indirect_call, 0
	.section	.AMDGPU.csdata,"",@progbits
; Kernel info:
; codeLenInByte = 796
; TotalNumSgprs: 36
; NumVgprs: 11
; ScratchSize: 0
; MemoryBound: 0
; FloatMode: 240
; IeeeMode: 1
; LDSByteSize: 0 bytes/workgroup (compile time only)
; SGPRBlocks: 4
; VGPRBlocks: 2
; NumSGPRsForWavesPerEU: 36
; NumVGPRsForWavesPerEU: 11
; Occupancy: 10
; WaveLimiterHint : 1
; COMPUTE_PGM_RSRC2:SCRATCH_EN: 0
; COMPUTE_PGM_RSRC2:USER_SGPR: 6
; COMPUTE_PGM_RSRC2:TRAP_HANDLER: 0
; COMPUTE_PGM_RSRC2:TGID_X_EN: 1
; COMPUTE_PGM_RSRC2:TGID_Y_EN: 1
; COMPUTE_PGM_RSRC2:TGID_Z_EN: 1
; COMPUTE_PGM_RSRC2:TIDIG_COMP_CNT: 1
	.section	.text._ZL39rocblas_trsm_block_forward_substitutionIffPKfPfLb0ELb1ELb0EEv18rocblas_operation_llT0_T1_lllT2_lllib,"axG",@progbits,_ZL39rocblas_trsm_block_forward_substitutionIffPKfPfLb0ELb1ELb0EEv18rocblas_operation_llT0_T1_lllT2_lllib,comdat
	.globl	_ZL39rocblas_trsm_block_forward_substitutionIffPKfPfLb0ELb1ELb0EEv18rocblas_operation_llT0_T1_lllT2_lllib ; -- Begin function _ZL39rocblas_trsm_block_forward_substitutionIffPKfPfLb0ELb1ELb0EEv18rocblas_operation_llT0_T1_lllT2_lllib
	.p2align	8
	.type	_ZL39rocblas_trsm_block_forward_substitutionIffPKfPfLb0ELb1ELb0EEv18rocblas_operation_llT0_T1_lllT2_lllib,@function
_ZL39rocblas_trsm_block_forward_substitutionIffPKfPfLb0ELb1ELb0EEv18rocblas_operation_llT0_T1_lllT2_lllib: ; @_ZL39rocblas_trsm_block_forward_substitutionIffPKfPfLb0ELb1ELb0EEv18rocblas_operation_llT0_T1_lllT2_lllib
; %bb.0:
	s_load_dword s9, s[4:5], 0x64
	s_load_dwordx16 s[12:27], s[4:5], 0x20
	s_load_dwordx4 s[28:31], s[4:5], 0x8
	s_load_dword s6, s[4:5], 0x74
	v_mov_b32_e32 v2, v1
	s_waitcnt lgkmcnt(0)
	s_bitcmp1_b32 s9, 0
	s_mul_i32 s2, s19, s8
	s_mul_hi_u32 s3, s18, s8
	s_cselect_b64 s[0:1], -1, 0
	s_add_i32 s3, s3, s2
	s_mul_i32 s2, s18, s8
	s_lshl_b64 s[2:3], s[2:3], 2
	s_add_u32 s10, s12, s2
	s_addc_u32 s11, s13, s3
	s_lshl_b64 s[2:3], s[14:15], 2
	s_add_u32 s2, s10, s2
	s_addc_u32 s3, s11, s3
	s_add_u32 s10, s4, 0x68
	s_addc_u32 s11, s5, 0
	s_lshr_b32 s6, s6, 16
	s_bitcmp0_b32 s9, 0
	s_cbranch_scc1 .LBB50_13
; %bb.1:
	v_cmp_lt_i64_e64 s[14:15], s[28:29], 1
	s_lshl_b32 s9, s6, 2
	s_add_i32 s12, s9, 0
	s_and_b64 vcc, exec, s[14:15]
	s_cbranch_vccnz .LBB50_12
; %bb.2:
	v_mad_u64_u32 v[3:4], s[14:15], s16, v0, 0
	v_mov_b32_e32 v1, 0
	v_cmp_le_u64_e32 vcc, s[28:29], v[0:1]
	v_mov_b32_e32 v1, v4
	v_mad_u64_u32 v[7:8], s[14:15], s17, v0, v[1:2]
	v_lshlrev_b32_e32 v6, 2, v0
	v_mov_b32_e32 v9, s3
	v_mov_b32_e32 v4, v7
	v_add_co_u32_e64 v1, s[2:3], s2, v6
	v_lshlrev_b64 v[3:4], 2, v[3:4]
	v_add_u32_e32 v5, s12, v6
	v_addc_co_u32_e64 v6, s[2:3], 0, v9, s[2:3]
	v_add_co_u32_e64 v3, s[2:3], v1, v3
	v_addc_co_u32_e64 v4, s[2:3], v6, v4, s[2:3]
	s_xor_b64 s[2:3], vcc, -1
	s_mov_b32 s9, s6
	v_mov_b32_e32 v7, v2
	s_branch .LBB50_4
.LBB50_3:                               ;   in Loop: Header=BB50_4 Depth=1
	s_or_b64 exec, exec, s[18:19]
	s_ashr_i32 s13, s9, 31
	s_waitcnt vmcnt(0)
	v_mov_b32_e32 v8, s9
	v_mov_b32_e32 v9, s13
	v_cmp_le_i64_e32 vcc, s[28:29], v[8:9]
	v_add_u32_e32 v7, s6, v7
	s_add_i32 s9, s9, s6
	s_cbranch_vccnz .LBB50_12
.LBB50_4:                               ; =>This Inner Loop Header: Depth=1
	v_cmp_gt_i32_e32 vcc, v0, v7
	s_and_b64 s[18:19], s[2:3], vcc
	s_mov_b64 s[14:15], 0
                                        ; implicit-def: $vgpr8
	s_and_saveexec_b64 s[34:35], s[18:19]
	s_xor_b64 s[18:19], exec, s[34:35]
	s_cbranch_execnz .LBB50_7
; %bb.5:                                ;   in Loop: Header=BB50_4 Depth=1
	s_or_saveexec_b64 s[18:19], s[18:19]
	v_mov_b32_e32 v9, v7
	s_xor_b64 exec, exec, s[18:19]
	s_cbranch_execnz .LBB50_8
.LBB50_6:                               ;   in Loop: Header=BB50_4 Depth=1
	s_or_b64 exec, exec, s[18:19]
	s_and_saveexec_b64 s[18:19], s[14:15]
	s_cbranch_execz .LBB50_3
	s_branch .LBB50_11
.LBB50_7:                               ;   in Loop: Header=BB50_4 Depth=1
	v_ashrrev_i32_e32 v8, 31, v7
	v_mul_lo_u32 v10, s17, v7
	v_mul_lo_u32 v11, s16, v8
	v_mad_u64_u32 v[8:9], s[34:35], s16, v7, 0
	s_mov_b64 s[14:15], exec
	v_add3_u32 v9, v9, v11, v10
	v_lshlrev_b64 v[8:9], 2, v[8:9]
	v_add_co_u32_e32 v8, vcc, v1, v8
	v_addc_co_u32_e32 v9, vcc, v6, v9, vcc
	global_load_dword v8, v[8:9], off
	s_or_saveexec_b64 s[18:19], s[18:19]
	v_mov_b32_e32 v9, v7
	s_xor_b64 exec, exec, s[18:19]
	s_cbranch_execz .LBB50_6
.LBB50_8:                               ;   in Loop: Header=BB50_4 Depth=1
	v_cmp_eq_u32_e32 vcc, v0, v7
	s_and_b64 s[38:39], s[2:3], vcc
	s_mov_b64 s[36:37], s[14:15]
                                        ; implicit-def: $vgpr8
	s_and_saveexec_b64 s[34:35], s[38:39]
	s_cbranch_execz .LBB50_10
; %bb.9:                                ;   in Loop: Header=BB50_4 Depth=1
	global_load_dword v8, v[3:4], off
	s_waitcnt vmcnt(0)
	v_div_scale_f32 v9, s[36:37], v8, v8, 1.0
	v_div_scale_f32 v10, vcc, 1.0, v8, 1.0
	s_or_b64 s[36:37], s[14:15], exec
	v_rcp_f32_e32 v11, v9
	v_fma_f32 v12, -v9, v11, 1.0
	v_fmac_f32_e32 v11, v12, v11
	v_mul_f32_e32 v12, v10, v11
	v_fma_f32 v13, -v9, v12, v10
	v_fmac_f32_e32 v12, v13, v11
	v_fma_f32 v9, -v9, v12, v10
	v_div_fmas_f32 v9, v9, v11, v12
	v_div_fixup_f32 v8, v9, v8, 1.0
.LBB50_10:                              ;   in Loop: Header=BB50_4 Depth=1
	s_or_b64 exec, exec, s[34:35]
	s_andn2_b64 s[14:15], s[14:15], exec
	s_and_b64 s[34:35], s[36:37], exec
	s_or_b64 s[14:15], s[14:15], s[34:35]
	v_mov_b32_e32 v9, v0
	s_or_b64 exec, exec, s[18:19]
	s_and_saveexec_b64 s[18:19], s[14:15]
	s_cbranch_execz .LBB50_3
.LBB50_11:                              ;   in Loop: Header=BB50_4 Depth=1
	s_load_dword s13, s[10:11], 0xc
	s_waitcnt lgkmcnt(0)
	s_and_b32 s13, s13, 0xffff
	v_mul_lo_u32 v9, v9, s13
	v_lshl_add_u32 v9, v9, 2, v5
	s_waitcnt vmcnt(0)
	ds_write_b32 v9, v8
	s_branch .LBB50_3
.LBB50_12:
	s_mov_b64 s[2:3], src_shared_base
	s_load_dword s2, s[10:11], 0xc
	s_mov_b32 s13, s3
	s_mov_b32 s17, 0
	s_waitcnt lgkmcnt(0)
	s_and_b32 s16, s2, 0xffff
	s_mov_b64 s[2:3], s[12:13]
.LBB50_13:
	s_mul_i32 s7, s7, s6
	v_add_u32_e32 v3, s7, v2
	v_mov_b32_e32 v4, 0
	v_cmp_gt_i64_e32 vcc, s[30:31], v[3:4]
	s_and_saveexec_b64 s[6:7], vcc
	s_cbranch_execz .LBB50_25
; %bb.14:
	v_mov_b32_e32 v1, v4
	v_cmp_gt_i64_e32 vcc, s[28:29], v[0:1]
	s_and_b64 exec, exec, vcc
	s_cbranch_execz .LBB50_25
; %bb.15:
	s_mul_i32 s6, s27, s8
	s_mul_hi_u32 s7, s26, s8
	s_add_i32 s7, s7, s6
	s_mul_i32 s6, s26, s8
	v_mad_u64_u32 v[5:6], s[8:9], s24, v0, 0
	s_lshl_b64 s[6:7], s[6:7], 2
	s_add_u32 s8, s20, s6
	s_addc_u32 s9, s21, s7
	v_mad_u64_u32 v[6:7], s[6:7], s25, v0, v[6:7]
	s_lshl_b64 s[6:7], s[22:23], 2
	s_add_u32 s6, s8, s6
	v_lshlrev_b64 v[5:6], 2, v[5:6]
	s_addc_u32 s7, s9, s7
	v_mov_b32_e32 v7, s7
	v_add_co_u32_e32 v5, vcc, s6, v5
	v_lshlrev_b64 v[3:4], 2, v[3:4]
	v_addc_co_u32_e32 v6, vcc, v7, v6, vcc
	v_add_co_u32_e32 v3, vcc, v5, v3
	v_addc_co_u32_e32 v4, vcc, v6, v4, vcc
	global_load_dword v5, v[3:4], off
	s_load_dword s8, s[4:5], 0x18
	v_cmp_lt_u64_e64 s[6:7], s[28:29], 2
	s_add_u32 s4, s28, -1
	s_addc_u32 s5, s29, -1
	s_and_b64 vcc, exec, s[6:7]
	s_waitcnt vmcnt(0) lgkmcnt(0)
	v_mul_f32_e32 v9, s8, v5
	s_cbranch_vccnz .LBB50_22
; %bb.16:
	v_mad_u64_u32 v[7:8], s[6:7], v0, s16, v[0:1]
	v_lshlrev_b32_e32 v6, 2, v0
	v_mov_b32_e32 v12, s3
	v_mov_b32_e32 v5, v8
	v_mad_u64_u32 v[10:11], s[6:7], v0, s17, v[5:6]
	v_add_co_u32_e32 v5, vcc, s2, v6
	v_mov_b32_e32 v8, v10
	v_lshlrev_b64 v[7:8], 2, v[7:8]
	v_addc_co_u32_e32 v6, vcc, 0, v12, vcc
	v_add_co_u32_e32 v7, vcc, s2, v7
	v_addc_co_u32_e32 v8, vcc, v12, v8, vcc
	v_lshl_add_u32 v2, v2, 2, 0
	s_lshl_b64 s[6:7], s[16:17], 2
	s_mov_b64 s[8:9], 0
	s_branch .LBB50_18
.LBB50_17:                              ;   in Loop: Header=BB50_18 Depth=1
	s_or_b64 exec, exec, s[10:11]
	s_add_u32 s8, s8, 1
	s_addc_u32 s9, s9, 0
	v_mov_b32_e32 v10, s7
	v_add_co_u32_e32 v5, vcc, s6, v5
	s_cmp_eq_u64 s[4:5], s[8:9]
	v_addc_co_u32_e32 v6, vcc, v6, v10, vcc
	s_cbranch_scc1 .LBB50_22
.LBB50_18:                              ; =>This Inner Loop Header: Depth=1
	v_cmp_eq_u64_e32 vcc, s[8:9], v[0:1]
	s_barrier
	s_and_saveexec_b64 s[10:11], vcc
	s_cbranch_execz .LBB50_20
; %bb.19:                               ;   in Loop: Header=BB50_18 Depth=1
	flat_load_dword v10, v[7:8]
	s_waitcnt vmcnt(0) lgkmcnt(0)
	v_div_scale_f32 v11, s[12:13], v10, v10, 1.0
	v_div_scale_f32 v12, vcc, 1.0, v10, 1.0
	v_rcp_f32_e32 v13, v11
	v_fma_f32 v14, -v11, v13, 1.0
	v_fmac_f32_e32 v13, v14, v13
	v_mul_f32_e32 v14, v12, v13
	v_fma_f32 v15, -v11, v14, v12
	v_fmac_f32_e32 v14, v15, v13
	v_fma_f32 v11, -v11, v14, v12
	v_div_fmas_f32 v11, v11, v13, v14
	v_div_fixup_f32 v11, v11, v10, 1.0
	v_cndmask_b32_e64 v10, v11, v10, s[0:1]
	v_mul_f32_e32 v9, v9, v10
	ds_write_b32 v2, v9
.LBB50_20:                              ;   in Loop: Header=BB50_18 Depth=1
	s_or_b64 exec, exec, s[10:11]
	v_cmp_lt_u64_e32 vcc, s[8:9], v[0:1]
	s_waitcnt lgkmcnt(0)
	s_barrier
	s_and_saveexec_b64 s[10:11], vcc
	s_cbranch_execz .LBB50_17
; %bb.21:                               ;   in Loop: Header=BB50_18 Depth=1
	flat_load_dword v10, v[5:6]
	ds_read_b32 v11, v2
	s_waitcnt vmcnt(0) lgkmcnt(0)
	v_fma_f32 v9, -v10, v11, v9
	s_branch .LBB50_17
.LBB50_22:
	v_cmp_eq_u64_e32 vcc, s[4:5], v[0:1]
	s_and_saveexec_b64 s[4:5], vcc
	s_cbranch_execz .LBB50_24
; %bb.23:
	v_mad_u64_u32 v[1:2], s[6:7], v0, s16, v[0:1]
	v_mad_u64_u32 v[5:6], s[6:7], v0, s17, v[2:3]
	v_mov_b32_e32 v6, s3
	v_mov_b32_e32 v2, v5
	v_lshlrev_b64 v[0:1], 2, v[1:2]
	v_add_co_u32_e32 v0, vcc, s2, v0
	v_addc_co_u32_e32 v1, vcc, v6, v1, vcc
	flat_load_dword v0, v[0:1]
	s_waitcnt vmcnt(0) lgkmcnt(0)
	v_div_scale_f32 v1, s[2:3], v0, v0, 1.0
	v_div_scale_f32 v2, vcc, 1.0, v0, 1.0
	v_rcp_f32_e32 v5, v1
	v_fma_f32 v6, -v1, v5, 1.0
	v_fmac_f32_e32 v5, v6, v5
	v_mul_f32_e32 v6, v2, v5
	v_fma_f32 v7, -v1, v6, v2
	v_fmac_f32_e32 v6, v7, v5
	v_fma_f32 v1, -v1, v6, v2
	v_div_fmas_f32 v1, v1, v5, v6
	v_div_fixup_f32 v1, v1, v0, 1.0
	v_cndmask_b32_e64 v0, v1, v0, s[0:1]
	v_mul_f32_e32 v9, v9, v0
.LBB50_24:
	s_or_b64 exec, exec, s[4:5]
	global_store_dword v[3:4], v9, off
.LBB50_25:
	s_endpgm
	.section	.rodata,"a",@progbits
	.p2align	6, 0x0
	.amdhsa_kernel _ZL39rocblas_trsm_block_forward_substitutionIffPKfPfLb0ELb1ELb0EEv18rocblas_operation_llT0_T1_lllT2_lllib
		.amdhsa_group_segment_fixed_size 0
		.amdhsa_private_segment_fixed_size 0
		.amdhsa_kernarg_size 360
		.amdhsa_user_sgpr_count 6
		.amdhsa_user_sgpr_private_segment_buffer 1
		.amdhsa_user_sgpr_dispatch_ptr 0
		.amdhsa_user_sgpr_queue_ptr 0
		.amdhsa_user_sgpr_kernarg_segment_ptr 1
		.amdhsa_user_sgpr_dispatch_id 0
		.amdhsa_user_sgpr_flat_scratch_init 0
		.amdhsa_user_sgpr_private_segment_size 0
		.amdhsa_uses_dynamic_stack 0
		.amdhsa_system_sgpr_private_segment_wavefront_offset 0
		.amdhsa_system_sgpr_workgroup_id_x 1
		.amdhsa_system_sgpr_workgroup_id_y 1
		.amdhsa_system_sgpr_workgroup_id_z 1
		.amdhsa_system_sgpr_workgroup_info 0
		.amdhsa_system_vgpr_workitem_id 1
		.amdhsa_next_free_vgpr 16
		.amdhsa_next_free_sgpr 40
		.amdhsa_reserve_vcc 1
		.amdhsa_reserve_flat_scratch 0
		.amdhsa_float_round_mode_32 0
		.amdhsa_float_round_mode_16_64 0
		.amdhsa_float_denorm_mode_32 3
		.amdhsa_float_denorm_mode_16_64 3
		.amdhsa_dx10_clamp 1
		.amdhsa_ieee_mode 1
		.amdhsa_fp16_overflow 0
		.amdhsa_exception_fp_ieee_invalid_op 0
		.amdhsa_exception_fp_denorm_src 0
		.amdhsa_exception_fp_ieee_div_zero 0
		.amdhsa_exception_fp_ieee_overflow 0
		.amdhsa_exception_fp_ieee_underflow 0
		.amdhsa_exception_fp_ieee_inexact 0
		.amdhsa_exception_int_div_zero 0
	.end_amdhsa_kernel
	.section	.text._ZL39rocblas_trsm_block_forward_substitutionIffPKfPfLb0ELb1ELb0EEv18rocblas_operation_llT0_T1_lllT2_lllib,"axG",@progbits,_ZL39rocblas_trsm_block_forward_substitutionIffPKfPfLb0ELb1ELb0EEv18rocblas_operation_llT0_T1_lllT2_lllib,comdat
.Lfunc_end50:
	.size	_ZL39rocblas_trsm_block_forward_substitutionIffPKfPfLb0ELb1ELb0EEv18rocblas_operation_llT0_T1_lllT2_lllib, .Lfunc_end50-_ZL39rocblas_trsm_block_forward_substitutionIffPKfPfLb0ELb1ELb0EEv18rocblas_operation_llT0_T1_lllT2_lllib
                                        ; -- End function
	.set _ZL39rocblas_trsm_block_forward_substitutionIffPKfPfLb0ELb1ELb0EEv18rocblas_operation_llT0_T1_lllT2_lllib.num_vgpr, 16
	.set _ZL39rocblas_trsm_block_forward_substitutionIffPKfPfLb0ELb1ELb0EEv18rocblas_operation_llT0_T1_lllT2_lllib.num_agpr, 0
	.set _ZL39rocblas_trsm_block_forward_substitutionIffPKfPfLb0ELb1ELb0EEv18rocblas_operation_llT0_T1_lllT2_lllib.numbered_sgpr, 40
	.set _ZL39rocblas_trsm_block_forward_substitutionIffPKfPfLb0ELb1ELb0EEv18rocblas_operation_llT0_T1_lllT2_lllib.num_named_barrier, 0
	.set _ZL39rocblas_trsm_block_forward_substitutionIffPKfPfLb0ELb1ELb0EEv18rocblas_operation_llT0_T1_lllT2_lllib.private_seg_size, 0
	.set _ZL39rocblas_trsm_block_forward_substitutionIffPKfPfLb0ELb1ELb0EEv18rocblas_operation_llT0_T1_lllT2_lllib.uses_vcc, 1
	.set _ZL39rocblas_trsm_block_forward_substitutionIffPKfPfLb0ELb1ELb0EEv18rocblas_operation_llT0_T1_lllT2_lllib.uses_flat_scratch, 0
	.set _ZL39rocblas_trsm_block_forward_substitutionIffPKfPfLb0ELb1ELb0EEv18rocblas_operation_llT0_T1_lllT2_lllib.has_dyn_sized_stack, 0
	.set _ZL39rocblas_trsm_block_forward_substitutionIffPKfPfLb0ELb1ELb0EEv18rocblas_operation_llT0_T1_lllT2_lllib.has_recursion, 0
	.set _ZL39rocblas_trsm_block_forward_substitutionIffPKfPfLb0ELb1ELb0EEv18rocblas_operation_llT0_T1_lllT2_lllib.has_indirect_call, 0
	.section	.AMDGPU.csdata,"",@progbits
; Kernel info:
; codeLenInByte = 1264
; TotalNumSgprs: 44
; NumVgprs: 16
; ScratchSize: 0
; MemoryBound: 0
; FloatMode: 240
; IeeeMode: 1
; LDSByteSize: 0 bytes/workgroup (compile time only)
; SGPRBlocks: 5
; VGPRBlocks: 3
; NumSGPRsForWavesPerEU: 44
; NumVGPRsForWavesPerEU: 16
; Occupancy: 10
; WaveLimiterHint : 1
; COMPUTE_PGM_RSRC2:SCRATCH_EN: 0
; COMPUTE_PGM_RSRC2:USER_SGPR: 6
; COMPUTE_PGM_RSRC2:TRAP_HANDLER: 0
; COMPUTE_PGM_RSRC2:TGID_X_EN: 1
; COMPUTE_PGM_RSRC2:TGID_Y_EN: 1
; COMPUTE_PGM_RSRC2:TGID_Z_EN: 1
; COMPUTE_PGM_RSRC2:TIDIG_COMP_CNT: 1
	.section	.text._ZL40rocblas_trsm_block_backward_substitutionIffPKfPfLb0ELb1ELb0EEv18rocblas_operation_llT0_T1_lllT2_lllib,"axG",@progbits,_ZL40rocblas_trsm_block_backward_substitutionIffPKfPfLb0ELb1ELb0EEv18rocblas_operation_llT0_T1_lllT2_lllib,comdat
	.globl	_ZL40rocblas_trsm_block_backward_substitutionIffPKfPfLb0ELb1ELb0EEv18rocblas_operation_llT0_T1_lllT2_lllib ; -- Begin function _ZL40rocblas_trsm_block_backward_substitutionIffPKfPfLb0ELb1ELb0EEv18rocblas_operation_llT0_T1_lllT2_lllib
	.p2align	8
	.type	_ZL40rocblas_trsm_block_backward_substitutionIffPKfPfLb0ELb1ELb0EEv18rocblas_operation_llT0_T1_lllT2_lllib,@function
_ZL40rocblas_trsm_block_backward_substitutionIffPKfPfLb0ELb1ELb0EEv18rocblas_operation_llT0_T1_lllT2_lllib: ; @_ZL40rocblas_trsm_block_backward_substitutionIffPKfPfLb0ELb1ELb0EEv18rocblas_operation_llT0_T1_lllT2_lllib
; %bb.0:
	s_load_dword s9, s[4:5], 0x64
	s_load_dwordx16 s[12:27], s[4:5], 0x20
	s_load_dwordx4 s[28:31], s[4:5], 0x8
	s_load_dword s6, s[4:5], 0x74
	v_mov_b32_e32 v2, v1
	s_waitcnt lgkmcnt(0)
	s_bitcmp1_b32 s9, 0
	s_mul_i32 s2, s19, s8
	s_mul_hi_u32 s3, s18, s8
	s_cselect_b64 s[0:1], -1, 0
	s_add_i32 s3, s3, s2
	s_mul_i32 s2, s18, s8
	s_lshl_b64 s[2:3], s[2:3], 2
	s_add_u32 s10, s12, s2
	s_addc_u32 s11, s13, s3
	s_lshl_b64 s[2:3], s[14:15], 2
	s_add_u32 s10, s10, s2
	s_addc_u32 s11, s11, s3
	s_add_u32 s14, s4, 0x68
	s_addc_u32 s15, s5, 0
	s_lshr_b32 s6, s6, 16
	s_bitcmp0_b32 s9, 0
	s_mov_b64 s[2:3], 1
	s_cbranch_scc1 .LBB51_14
; %bb.1:
	s_lshl_b32 s2, s6, 2
	s_add_i32 s18, s2, 0
	v_cmp_lt_i64_e64 s[2:3], s[28:29], 1
	s_mov_b64 s[12:13], 1
	s_and_b64 vcc, exec, s[2:3]
	s_cbranch_vccnz .LBB51_15
; %bb.2:
	v_mad_u64_u32 v[3:4], s[2:3], s16, v0, 0
	v_lshlrev_b32_e32 v6, 2, v0
	v_add_u32_e32 v7, s18, v6
	v_mov_b32_e32 v1, v4
	v_mad_u64_u32 v[4:5], s[2:3], s17, v0, v[1:2]
	v_mov_b32_e32 v1, 0
	v_cmp_le_u64_e64 s[16:17], s[28:29], v[0:1]
	v_lshlrev_b64 v[3:4], 2, v[3:4]
	v_cmp_gt_u64_e64 s[2:3], s[28:29], v[0:1]
	v_mov_b32_e32 v5, s11
	v_add_co_u32_e32 v1, vcc, s10, v3
	v_addc_co_u32_e32 v8, vcc, v5, v4, vcc
	v_add_co_u32_e32 v3, vcc, v1, v6
	v_addc_co_u32_e32 v4, vcc, 0, v8, vcc
	s_xor_b64 s[34:35], s[16:17], -1
	s_mov_b32 s9, s6
	v_mov_b32_e32 v5, v2
	s_branch .LBB51_4
.LBB51_3:                               ;   in Loop: Header=BB51_4 Depth=1
	s_or_b64 exec, exec, s[36:37]
	s_ashr_i32 s10, s9, 31
	s_waitcnt vmcnt(0)
	v_mov_b32_e32 v9, s9
	v_mov_b32_e32 v10, s10
	v_cmp_le_i64_e32 vcc, s[28:29], v[9:10]
	v_add_u32_e32 v5, s6, v5
	s_add_i32 s9, s9, s6
	s_cbranch_vccnz .LBB51_15
.LBB51_4:                               ; =>This Inner Loop Header: Depth=1
	s_mov_b64 s[10:11], 0
	s_mov_b64 s[38:39], s[16:17]
                                        ; implicit-def: $vgpr9
	s_and_saveexec_b64 s[36:37], s[2:3]
	s_cbranch_execnz .LBB51_7
; %bb.5:                                ;   in Loop: Header=BB51_4 Depth=1
	s_or_b64 exec, exec, s[36:37]
	v_mov_b32_e32 v6, v5
	s_and_saveexec_b64 s[36:37], s[38:39]
	s_cbranch_execnz .LBB51_10
.LBB51_6:                               ;   in Loop: Header=BB51_4 Depth=1
	s_or_b64 exec, exec, s[36:37]
	s_and_saveexec_b64 s[36:37], s[10:11]
	s_cbranch_execz .LBB51_3
	s_branch .LBB51_13
.LBB51_7:                               ;   in Loop: Header=BB51_4 Depth=1
	v_ashrrev_i32_e32 v6, 31, v5
	v_cmp_gt_i64_e32 vcc, s[28:29], v[5:6]
	v_cmp_lt_i32_e64 s[10:11], v0, v5
	s_and_b64 s[42:43], s[10:11], vcc
	s_mov_b64 s[38:39], -1
	s_mov_b64 s[10:11], 0
                                        ; implicit-def: $vgpr9
	s_and_saveexec_b64 s[40:41], s[42:43]
	s_cbranch_execz .LBB51_9
; %bb.8:                                ;   in Loop: Header=BB51_4 Depth=1
	v_lshlrev_b64 v[9:10], 2, v[5:6]
	s_mov_b64 s[10:11], exec
	v_add_co_u32_e32 v9, vcc, v1, v9
	v_addc_co_u32_e32 v10, vcc, v8, v10, vcc
	global_load_dword v9, v[9:10], off
	s_xor_b64 s[38:39], exec, -1
.LBB51_9:                               ;   in Loop: Header=BB51_4 Depth=1
	s_or_b64 exec, exec, s[40:41]
	s_andn2_b64 s[40:41], s[16:17], exec
	s_and_b64 s[38:39], s[38:39], exec
	s_and_b64 s[10:11], s[10:11], exec
	s_or_b64 s[38:39], s[40:41], s[38:39]
	s_or_b64 exec, exec, s[36:37]
	v_mov_b32_e32 v6, v5
	s_and_saveexec_b64 s[36:37], s[38:39]
	s_cbranch_execz .LBB51_6
.LBB51_10:                              ;   in Loop: Header=BB51_4 Depth=1
	v_cmp_eq_u32_e32 vcc, v0, v5
	s_and_b64 s[42:43], s[34:35], vcc
	s_mov_b64 s[40:41], s[10:11]
                                        ; implicit-def: $vgpr9
	s_and_saveexec_b64 s[38:39], s[42:43]
	s_cbranch_execz .LBB51_12
; %bb.11:                               ;   in Loop: Header=BB51_4 Depth=1
	global_load_dword v6, v[3:4], off
	s_waitcnt vmcnt(0)
	v_div_scale_f32 v9, s[40:41], v6, v6, 1.0
	v_div_scale_f32 v10, vcc, 1.0, v6, 1.0
	s_or_b64 s[40:41], s[10:11], exec
	v_rcp_f32_e32 v11, v9
	v_fma_f32 v12, -v9, v11, 1.0
	v_fmac_f32_e32 v11, v12, v11
	v_mul_f32_e32 v12, v10, v11
	v_fma_f32 v13, -v9, v12, v10
	v_fmac_f32_e32 v12, v13, v11
	v_fma_f32 v9, -v9, v12, v10
	v_div_fmas_f32 v9, v9, v11, v12
	v_div_fixup_f32 v9, v9, v6, 1.0
.LBB51_12:                              ;   in Loop: Header=BB51_4 Depth=1
	s_or_b64 exec, exec, s[38:39]
	s_andn2_b64 s[10:11], s[10:11], exec
	s_and_b64 s[38:39], s[40:41], exec
	s_or_b64 s[10:11], s[10:11], s[38:39]
	v_mov_b32_e32 v6, v0
	s_or_b64 exec, exec, s[36:37]
	s_and_saveexec_b64 s[36:37], s[10:11]
	s_cbranch_execz .LBB51_3
.LBB51_13:                              ;   in Loop: Header=BB51_4 Depth=1
	s_load_dword s10, s[14:15], 0xc
	s_waitcnt lgkmcnt(0)
	s_and_b32 s10, s10, 0xffff
	v_mul_lo_u32 v6, v6, s10
	v_lshl_add_u32 v6, v6, 2, v7
	s_waitcnt vmcnt(0)
	ds_write_b32 v6, v9
	s_branch .LBB51_3
.LBB51_14:
	s_mov_b64 s[12:13], s[16:17]
	s_branch .LBB51_16
.LBB51_15:
	s_load_dword s2, s[14:15], 0xc
	s_mov_b64 s[10:11], src_shared_base
	s_mov_b32 s19, s11
	s_mov_b32 s3, 0
	s_mov_b64 s[10:11], s[18:19]
	s_waitcnt lgkmcnt(0)
	s_and_b32 s2, s2, 0xffff
.LBB51_16:
	s_mul_i32 s7, s7, s6
	v_add_u32_e32 v3, s7, v2
	v_mov_b32_e32 v4, 0
	v_cmp_gt_i64_e32 vcc, s[30:31], v[3:4]
	s_and_saveexec_b64 s[6:7], vcc
	s_cbranch_execz .LBB51_29
; %bb.17:
	v_mov_b32_e32 v1, v4
	v_cmp_gt_i64_e32 vcc, s[28:29], v[0:1]
	s_and_b64 exec, exec, vcc
	s_cbranch_execz .LBB51_29
; %bb.18:
	s_mul_i32 s6, s27, s8
	s_mul_hi_u32 s7, s26, s8
	s_add_i32 s7, s7, s6
	s_mul_i32 s6, s26, s8
	v_mad_u64_u32 v[4:5], s[8:9], s24, v3, 0
	s_lshl_b64 s[6:7], s[6:7], 2
	s_add_u32 s8, s20, s6
	s_addc_u32 s9, s21, s7
	v_mad_u64_u32 v[5:6], s[6:7], s25, v3, v[5:6]
	s_lshl_b64 s[6:7], s[22:23], 2
	s_add_u32 s6, s8, s6
	v_lshlrev_b64 v[3:4], 2, v[4:5]
	s_addc_u32 s7, s9, s7
	v_mov_b32_e32 v5, s7
	v_add_co_u32_e32 v3, vcc, s6, v3
	v_addc_co_u32_e32 v4, vcc, v5, v4, vcc
	v_lshlrev_b32_e32 v5, 2, v0
	v_add_co_u32_e32 v3, vcc, v3, v5
	v_addc_co_u32_e32 v4, vcc, 0, v4, vcc
	global_load_dword v5, v[3:4], off
	s_load_dword s6, s[4:5], 0x18
	v_cmp_lt_u64_e64 s[4:5], s[28:29], 2
	s_and_b64 vcc, exec, s[4:5]
	s_waitcnt vmcnt(0) lgkmcnt(0)
	v_mul_f32_e32 v9, s6, v5
	s_cbranch_vccnz .LBB51_26
; %bb.19:
	s_add_u32 s4, s2, s12
	v_mad_u64_u32 v[5:6], s[4:5], s4, v0, 0
	s_addc_u32 s4, s3, s13
	v_mov_b32_e32 v12, s11
	v_mad_u64_u32 v[6:7], s[4:5], s4, v0, v[6:7]
	v_mad_u64_u32 v[7:8], s[4:5], s12, v0, 0
	v_lshlrev_b64 v[5:6], 2, v[5:6]
	v_lshl_add_u32 v2, v2, 2, 0
	v_mad_u64_u32 v[10:11], s[4:5], s13, v0, v[8:9]
	s_add_u32 s4, s28, -1
	s_addc_u32 s5, s29, -1
	s_mul_i32 s6, s2, s5
	s_mul_hi_u32 s7, s2, s4
	v_mov_b32_e32 v8, v10
	s_add_i32 s7, s7, s6
	s_mul_i32 s6, s2, s4
	v_add_co_u32_e32 v5, vcc, s10, v5
	s_lshl_b64 s[6:7], s[6:7], 2
	v_lshlrev_b64 v[7:8], 2, v[7:8]
	v_addc_co_u32_e32 v6, vcc, v12, v6, vcc
	s_add_u32 s6, s10, s6
	s_addc_u32 s7, s11, s7
	v_add_co_u32_e32 v7, vcc, s6, v7
	s_lshl_b32 s6, s2, 2
	v_mov_b32_e32 v10, s7
	s_sub_u32 s8, 0, s6
	v_addc_co_u32_e32 v8, vcc, v10, v8, vcc
	s_subb_u32 s9, 0, 0
.LBB51_20:                              ; =>This Inner Loop Header: Depth=1
	v_cmp_eq_u64_e32 vcc, s[4:5], v[0:1]
	s_barrier
	s_and_saveexec_b64 s[6:7], vcc
	s_cbranch_execz .LBB51_22
; %bb.21:                               ;   in Loop: Header=BB51_20 Depth=1
	flat_load_dword v10, v[5:6]
	s_waitcnt vmcnt(0) lgkmcnt(0)
	v_div_scale_f32 v11, s[14:15], v10, v10, 1.0
	v_div_scale_f32 v12, vcc, 1.0, v10, 1.0
	v_rcp_f32_e32 v13, v11
	v_fma_f32 v14, -v11, v13, 1.0
	v_fmac_f32_e32 v13, v14, v13
	v_mul_f32_e32 v14, v12, v13
	v_fma_f32 v15, -v11, v14, v12
	v_fmac_f32_e32 v14, v15, v13
	v_fma_f32 v11, -v11, v14, v12
	v_div_fmas_f32 v11, v11, v13, v14
	v_div_fixup_f32 v11, v11, v10, 1.0
	v_cndmask_b32_e64 v10, v11, v10, s[0:1]
	v_mul_f32_e32 v9, v9, v10
	ds_write_b32 v2, v9
.LBB51_22:                              ;   in Loop: Header=BB51_20 Depth=1
	s_or_b64 exec, exec, s[6:7]
	v_cmp_gt_i64_e32 vcc, s[4:5], v[0:1]
	s_waitcnt lgkmcnt(0)
	s_barrier
	s_and_saveexec_b64 s[6:7], vcc
	s_cbranch_execz .LBB51_24
; %bb.23:                               ;   in Loop: Header=BB51_20 Depth=1
	flat_load_dword v10, v[7:8]
	ds_read_b32 v11, v2
	s_waitcnt vmcnt(0) lgkmcnt(0)
	v_fma_f32 v9, -v10, v11, v9
.LBB51_24:                              ;   in Loop: Header=BB51_20 Depth=1
	s_or_b64 exec, exec, s[6:7]
	s_add_u32 s6, s4, -1
	s_addc_u32 s7, s5, -1
	s_add_u32 s4, s4, 1
	s_addc_u32 s5, s5, 0
	v_mov_b32_e32 v10, s9
	v_cmp_lt_u64_e64 s[4:5], s[4:5], 3
	v_add_co_u32_e32 v7, vcc, s8, v7
	v_addc_co_u32_e32 v8, vcc, v8, v10, vcc
	s_and_b64 vcc, exec, s[4:5]
	s_cbranch_vccnz .LBB51_26
; %bb.25:                               ;   in Loop: Header=BB51_20 Depth=1
	s_mov_b64 s[4:5], s[6:7]
	s_branch .LBB51_20
.LBB51_26:
	v_cmp_eq_u32_e32 vcc, 0, v0
	s_and_saveexec_b64 s[4:5], vcc
	s_cbranch_execz .LBB51_28
; %bb.27:
	s_add_u32 s2, s2, s12
	v_mad_u64_u32 v[1:2], s[6:7], s2, v0, 0
	s_addc_u32 s2, s3, s13
	v_mad_u64_u32 v[5:6], s[2:3], s2, v0, v[2:3]
	v_mov_b32_e32 v6, s11
	v_mov_b32_e32 v2, v5
	v_lshlrev_b64 v[0:1], 2, v[1:2]
	v_add_co_u32_e32 v0, vcc, s10, v0
	v_addc_co_u32_e32 v1, vcc, v6, v1, vcc
	flat_load_dword v0, v[0:1]
	s_waitcnt vmcnt(0) lgkmcnt(0)
	v_div_scale_f32 v1, s[2:3], v0, v0, 1.0
	v_div_scale_f32 v2, vcc, 1.0, v0, 1.0
	v_rcp_f32_e32 v5, v1
	v_fma_f32 v6, -v1, v5, 1.0
	v_fmac_f32_e32 v5, v6, v5
	v_mul_f32_e32 v6, v2, v5
	v_fma_f32 v7, -v1, v6, v2
	v_fmac_f32_e32 v6, v7, v5
	v_fma_f32 v1, -v1, v6, v2
	v_div_fmas_f32 v1, v1, v5, v6
	v_div_fixup_f32 v1, v1, v0, 1.0
	v_cndmask_b32_e64 v0, v1, v0, s[0:1]
	v_mul_f32_e32 v9, v9, v0
.LBB51_28:
	s_or_b64 exec, exec, s[4:5]
	global_store_dword v[3:4], v9, off
.LBB51_29:
	s_endpgm
	.section	.rodata,"a",@progbits
	.p2align	6, 0x0
	.amdhsa_kernel _ZL40rocblas_trsm_block_backward_substitutionIffPKfPfLb0ELb1ELb0EEv18rocblas_operation_llT0_T1_lllT2_lllib
		.amdhsa_group_segment_fixed_size 0
		.amdhsa_private_segment_fixed_size 0
		.amdhsa_kernarg_size 360
		.amdhsa_user_sgpr_count 6
		.amdhsa_user_sgpr_private_segment_buffer 1
		.amdhsa_user_sgpr_dispatch_ptr 0
		.amdhsa_user_sgpr_queue_ptr 0
		.amdhsa_user_sgpr_kernarg_segment_ptr 1
		.amdhsa_user_sgpr_dispatch_id 0
		.amdhsa_user_sgpr_flat_scratch_init 0
		.amdhsa_user_sgpr_private_segment_size 0
		.amdhsa_uses_dynamic_stack 0
		.amdhsa_system_sgpr_private_segment_wavefront_offset 0
		.amdhsa_system_sgpr_workgroup_id_x 1
		.amdhsa_system_sgpr_workgroup_id_y 1
		.amdhsa_system_sgpr_workgroup_id_z 1
		.amdhsa_system_sgpr_workgroup_info 0
		.amdhsa_system_vgpr_workitem_id 1
		.amdhsa_next_free_vgpr 16
		.amdhsa_next_free_sgpr 44
		.amdhsa_reserve_vcc 1
		.amdhsa_reserve_flat_scratch 0
		.amdhsa_float_round_mode_32 0
		.amdhsa_float_round_mode_16_64 0
		.amdhsa_float_denorm_mode_32 3
		.amdhsa_float_denorm_mode_16_64 3
		.amdhsa_dx10_clamp 1
		.amdhsa_ieee_mode 1
		.amdhsa_fp16_overflow 0
		.amdhsa_exception_fp_ieee_invalid_op 0
		.amdhsa_exception_fp_denorm_src 0
		.amdhsa_exception_fp_ieee_div_zero 0
		.amdhsa_exception_fp_ieee_overflow 0
		.amdhsa_exception_fp_ieee_underflow 0
		.amdhsa_exception_fp_ieee_inexact 0
		.amdhsa_exception_int_div_zero 0
	.end_amdhsa_kernel
	.section	.text._ZL40rocblas_trsm_block_backward_substitutionIffPKfPfLb0ELb1ELb0EEv18rocblas_operation_llT0_T1_lllT2_lllib,"axG",@progbits,_ZL40rocblas_trsm_block_backward_substitutionIffPKfPfLb0ELb1ELb0EEv18rocblas_operation_llT0_T1_lllT2_lllib,comdat
.Lfunc_end51:
	.size	_ZL40rocblas_trsm_block_backward_substitutionIffPKfPfLb0ELb1ELb0EEv18rocblas_operation_llT0_T1_lllT2_lllib, .Lfunc_end51-_ZL40rocblas_trsm_block_backward_substitutionIffPKfPfLb0ELb1ELb0EEv18rocblas_operation_llT0_T1_lllT2_lllib
                                        ; -- End function
	.set _ZL40rocblas_trsm_block_backward_substitutionIffPKfPfLb0ELb1ELb0EEv18rocblas_operation_llT0_T1_lllT2_lllib.num_vgpr, 16
	.set _ZL40rocblas_trsm_block_backward_substitutionIffPKfPfLb0ELb1ELb0EEv18rocblas_operation_llT0_T1_lllT2_lllib.num_agpr, 0
	.set _ZL40rocblas_trsm_block_backward_substitutionIffPKfPfLb0ELb1ELb0EEv18rocblas_operation_llT0_T1_lllT2_lllib.numbered_sgpr, 44
	.set _ZL40rocblas_trsm_block_backward_substitutionIffPKfPfLb0ELb1ELb0EEv18rocblas_operation_llT0_T1_lllT2_lllib.num_named_barrier, 0
	.set _ZL40rocblas_trsm_block_backward_substitutionIffPKfPfLb0ELb1ELb0EEv18rocblas_operation_llT0_T1_lllT2_lllib.private_seg_size, 0
	.set _ZL40rocblas_trsm_block_backward_substitutionIffPKfPfLb0ELb1ELb0EEv18rocblas_operation_llT0_T1_lllT2_lllib.uses_vcc, 1
	.set _ZL40rocblas_trsm_block_backward_substitutionIffPKfPfLb0ELb1ELb0EEv18rocblas_operation_llT0_T1_lllT2_lllib.uses_flat_scratch, 0
	.set _ZL40rocblas_trsm_block_backward_substitutionIffPKfPfLb0ELb1ELb0EEv18rocblas_operation_llT0_T1_lllT2_lllib.has_dyn_sized_stack, 0
	.set _ZL40rocblas_trsm_block_backward_substitutionIffPKfPfLb0ELb1ELb0EEv18rocblas_operation_llT0_T1_lllT2_lllib.has_recursion, 0
	.set _ZL40rocblas_trsm_block_backward_substitutionIffPKfPfLb0ELb1ELb0EEv18rocblas_operation_llT0_T1_lllT2_lllib.has_indirect_call, 0
	.section	.AMDGPU.csdata,"",@progbits
; Kernel info:
; codeLenInByte = 1368
; TotalNumSgprs: 48
; NumVgprs: 16
; ScratchSize: 0
; MemoryBound: 0
; FloatMode: 240
; IeeeMode: 1
; LDSByteSize: 0 bytes/workgroup (compile time only)
; SGPRBlocks: 5
; VGPRBlocks: 3
; NumSGPRsForWavesPerEU: 48
; NumVGPRsForWavesPerEU: 16
; Occupancy: 10
; WaveLimiterHint : 1
; COMPUTE_PGM_RSRC2:SCRATCH_EN: 0
; COMPUTE_PGM_RSRC2:USER_SGPR: 6
; COMPUTE_PGM_RSRC2:TRAP_HANDLER: 0
; COMPUTE_PGM_RSRC2:TGID_X_EN: 1
; COMPUTE_PGM_RSRC2:TGID_Y_EN: 1
; COMPUTE_PGM_RSRC2:TGID_Z_EN: 1
; COMPUTE_PGM_RSRC2:TIDIG_COMP_CNT: 1
	.section	.text._ZL39rocblas_trsm_block_forward_substitutionIffPKfPfLb0ELb1ELb1EEv18rocblas_operation_llT0_T1_lllT2_lllib,"axG",@progbits,_ZL39rocblas_trsm_block_forward_substitutionIffPKfPfLb0ELb1ELb1EEv18rocblas_operation_llT0_T1_lllT2_lllib,comdat
	.globl	_ZL39rocblas_trsm_block_forward_substitutionIffPKfPfLb0ELb1ELb1EEv18rocblas_operation_llT0_T1_lllT2_lllib ; -- Begin function _ZL39rocblas_trsm_block_forward_substitutionIffPKfPfLb0ELb1ELb1EEv18rocblas_operation_llT0_T1_lllT2_lllib
	.p2align	8
	.type	_ZL39rocblas_trsm_block_forward_substitutionIffPKfPfLb0ELb1ELb1EEv18rocblas_operation_llT0_T1_lllT2_lllib,@function
_ZL39rocblas_trsm_block_forward_substitutionIffPKfPfLb0ELb1ELb1EEv18rocblas_operation_llT0_T1_lllT2_lllib: ; @_ZL39rocblas_trsm_block_forward_substitutionIffPKfPfLb0ELb1ELb1EEv18rocblas_operation_llT0_T1_lllT2_lllib
; %bb.0:
	s_load_dwordx16 s[12:27], s[4:5], 0x20
	s_load_dwordx4 s[28:31], s[4:5], 0x8
	s_load_dword s9, s[4:5], 0x64
	s_load_dword s6, s[4:5], 0x74
	v_mov_b32_e32 v2, v1
	s_waitcnt lgkmcnt(0)
	s_mul_i32 s0, s19, s8
	s_mul_hi_u32 s1, s18, s8
	s_add_i32 s1, s1, s0
	s_mul_i32 s0, s18, s8
	s_lshl_b64 s[0:1], s[0:1], 2
	s_add_u32 s2, s12, s0
	s_addc_u32 s3, s13, s1
	s_lshl_b64 s[0:1], s[14:15], 2
	s_add_u32 s2, s2, s0
	s_addc_u32 s3, s3, s1
	s_add_u32 s10, s4, 0x68
	s_addc_u32 s11, s5, 0
	s_lshr_b32 s6, s6, 16
	s_bitcmp0_b32 s9, 0
	s_cbranch_scc1 .LBB52_7
; %bb.1:
	v_cmp_lt_i64_e64 s[0:1], s[28:29], 1
	s_lshl_b32 s9, s6, 2
	s_add_i32 s12, s9, 0
	s_and_b64 vcc, exec, s[0:1]
	s_cbranch_vccnz .LBB52_6
; %bb.2:
	v_lshlrev_b32_e32 v4, 2, v0
	v_mov_b32_e32 v1, 0
	v_cmp_gt_u64_e64 s[0:1], s[28:29], v[0:1]
	v_mov_b32_e32 v5, s3
	v_add_co_u32_e32 v1, vcc, s2, v4
	v_add_u32_e32 v3, s12, v4
	v_addc_co_u32_e32 v4, vcc, 0, v5, vcc
	s_mov_b32 s9, 0
	s_branch .LBB52_4
.LBB52_3:                               ;   in Loop: Header=BB52_4 Depth=1
	s_or_b64 exec, exec, s[2:3]
	s_add_i32 s9, s9, s6
	s_ashr_i32 s2, s9, 31
	v_mov_b32_e32 v5, s9
	v_mov_b32_e32 v6, s2
	v_cmp_le_i64_e32 vcc, s[28:29], v[5:6]
	s_cbranch_vccnz .LBB52_6
.LBB52_4:                               ; =>This Inner Loop Header: Depth=1
	v_add_u32_e32 v5, s9, v2
	v_cmp_gt_i32_e32 vcc, v0, v5
	s_and_b64 s[14:15], s[0:1], vcc
	s_and_saveexec_b64 s[2:3], s[14:15]
	s_cbranch_execz .LBB52_3
; %bb.5:                                ;   in Loop: Header=BB52_4 Depth=1
	v_ashrrev_i32_e32 v8, 31, v5
	v_mul_lo_u32 v9, s17, v5
	v_mad_u64_u32 v[6:7], s[14:15], s16, v5, 0
	v_mul_lo_u32 v8, s16, v8
	s_load_dword s13, s[10:11], 0xc
	v_add3_u32 v7, v7, v8, v9
	v_lshlrev_b64 v[6:7], 2, v[6:7]
	s_waitcnt lgkmcnt(0)
	s_and_b32 s13, s13, 0xffff
	v_add_co_u32_e32 v6, vcc, v1, v6
	v_addc_co_u32_e32 v7, vcc, v4, v7, vcc
	global_load_dword v6, v[6:7], off
	v_mul_lo_u32 v5, v5, s13
	v_lshl_add_u32 v5, v5, 2, v3
	s_waitcnt vmcnt(0)
	ds_write_b32 v5, v6
	s_branch .LBB52_3
.LBB52_6:
	s_mov_b64 s[0:1], src_shared_base
	s_load_dword s0, s[10:11], 0xc
	s_mov_b32 s13, s1
	s_mov_b32 s17, 0
	s_mov_b64 s[2:3], s[12:13]
	s_waitcnt lgkmcnt(0)
	s_and_b32 s16, s0, 0xffff
.LBB52_7:
	s_mul_i32 s7, s7, s6
	v_add_u32_e32 v3, s7, v2
	v_mov_b32_e32 v4, 0
	v_cmp_gt_i64_e32 vcc, s[30:31], v[3:4]
	s_and_saveexec_b64 s[0:1], vcc
	s_cbranch_execz .LBB52_17
; %bb.8:
	v_mov_b32_e32 v1, v4
	v_cmp_gt_i64_e32 vcc, s[28:29], v[0:1]
	s_and_b64 exec, exec, vcc
	s_cbranch_execz .LBB52_17
; %bb.9:
	s_mul_i32 s0, s27, s8
	s_mul_hi_u32 s1, s26, s8
	v_mad_u64_u32 v[5:6], s[6:7], s24, v0, 0
	s_add_i32 s1, s1, s0
	s_mul_i32 s0, s26, s8
	s_lshl_b64 s[0:1], s[0:1], 2
	s_add_u32 s6, s20, s0
	s_addc_u32 s7, s21, s1
	v_mad_u64_u32 v[6:7], s[0:1], s25, v0, v[6:7]
	s_lshl_b64 s[0:1], s[22:23], 2
	s_add_u32 s0, s6, s0
	v_lshlrev_b64 v[5:6], 2, v[5:6]
	s_addc_u32 s1, s7, s1
	v_mov_b32_e32 v7, s1
	v_add_co_u32_e32 v5, vcc, s0, v5
	v_lshlrev_b64 v[3:4], 2, v[3:4]
	v_addc_co_u32_e32 v6, vcc, v7, v6, vcc
	v_add_co_u32_e32 v3, vcc, v5, v3
	v_addc_co_u32_e32 v4, vcc, v6, v4, vcc
	global_load_dword v5, v[3:4], off
	s_load_dword s4, s[4:5], 0x18
	v_cmp_lt_u64_e64 s[0:1], s[28:29], 2
	s_and_b64 vcc, exec, s[0:1]
	s_waitcnt vmcnt(0) lgkmcnt(0)
	v_mul_f32_e32 v7, s4, v5
	s_cbranch_vccnz .LBB52_16
; %bb.10:
	v_lshlrev_b32_e32 v5, 2, v0
	s_add_u32 s0, s28, -1
	v_mov_b32_e32 v6, s3
	v_add_co_u32_e32 v5, vcc, s2, v5
	s_addc_u32 s1, s29, -1
	s_lshl_b64 s[2:3], s[16:17], 2
	v_addc_co_u32_e32 v6, vcc, 0, v6, vcc
	v_lshl_add_u32 v2, v2, 2, 0
	s_mov_b64 s[4:5], 0
	v_mov_b32_e32 v8, s3
	s_branch .LBB52_12
.LBB52_11:                              ;   in Loop: Header=BB52_12 Depth=1
	s_or_b64 exec, exec, s[6:7]
	s_add_u32 s4, s4, 1
	s_addc_u32 s5, s5, 0
	v_add_co_u32_e32 v5, vcc, s2, v5
	s_cmp_eq_u64 s[0:1], s[4:5]
	v_addc_co_u32_e32 v6, vcc, v6, v8, vcc
	s_cbranch_scc1 .LBB52_16
.LBB52_12:                              ; =>This Inner Loop Header: Depth=1
	v_cmp_eq_u64_e32 vcc, s[4:5], v[0:1]
	s_barrier
	s_and_saveexec_b64 s[6:7], vcc
; %bb.13:                               ;   in Loop: Header=BB52_12 Depth=1
	ds_write_b32 v2, v7
; %bb.14:                               ;   in Loop: Header=BB52_12 Depth=1
	s_or_b64 exec, exec, s[6:7]
	v_cmp_lt_u64_e32 vcc, s[4:5], v[0:1]
	s_waitcnt lgkmcnt(0)
	s_barrier
	s_and_saveexec_b64 s[6:7], vcc
	s_cbranch_execz .LBB52_11
; %bb.15:                               ;   in Loop: Header=BB52_12 Depth=1
	flat_load_dword v9, v[5:6]
	ds_read_b32 v10, v2
	s_waitcnt vmcnt(0) lgkmcnt(0)
	v_fma_f32 v7, -v9, v10, v7
	s_branch .LBB52_11
.LBB52_16:
	global_store_dword v[3:4], v7, off
.LBB52_17:
	s_endpgm
	.section	.rodata,"a",@progbits
	.p2align	6, 0x0
	.amdhsa_kernel _ZL39rocblas_trsm_block_forward_substitutionIffPKfPfLb0ELb1ELb1EEv18rocblas_operation_llT0_T1_lllT2_lllib
		.amdhsa_group_segment_fixed_size 0
		.amdhsa_private_segment_fixed_size 0
		.amdhsa_kernarg_size 360
		.amdhsa_user_sgpr_count 6
		.amdhsa_user_sgpr_private_segment_buffer 1
		.amdhsa_user_sgpr_dispatch_ptr 0
		.amdhsa_user_sgpr_queue_ptr 0
		.amdhsa_user_sgpr_kernarg_segment_ptr 1
		.amdhsa_user_sgpr_dispatch_id 0
		.amdhsa_user_sgpr_flat_scratch_init 0
		.amdhsa_user_sgpr_private_segment_size 0
		.amdhsa_uses_dynamic_stack 0
		.amdhsa_system_sgpr_private_segment_wavefront_offset 0
		.amdhsa_system_sgpr_workgroup_id_x 1
		.amdhsa_system_sgpr_workgroup_id_y 1
		.amdhsa_system_sgpr_workgroup_id_z 1
		.amdhsa_system_sgpr_workgroup_info 0
		.amdhsa_system_vgpr_workitem_id 1
		.amdhsa_next_free_vgpr 11
		.amdhsa_next_free_sgpr 32
		.amdhsa_reserve_vcc 1
		.amdhsa_reserve_flat_scratch 0
		.amdhsa_float_round_mode_32 0
		.amdhsa_float_round_mode_16_64 0
		.amdhsa_float_denorm_mode_32 3
		.amdhsa_float_denorm_mode_16_64 3
		.amdhsa_dx10_clamp 1
		.amdhsa_ieee_mode 1
		.amdhsa_fp16_overflow 0
		.amdhsa_exception_fp_ieee_invalid_op 0
		.amdhsa_exception_fp_denorm_src 0
		.amdhsa_exception_fp_ieee_div_zero 0
		.amdhsa_exception_fp_ieee_overflow 0
		.amdhsa_exception_fp_ieee_underflow 0
		.amdhsa_exception_fp_ieee_inexact 0
		.amdhsa_exception_int_div_zero 0
	.end_amdhsa_kernel
	.section	.text._ZL39rocblas_trsm_block_forward_substitutionIffPKfPfLb0ELb1ELb1EEv18rocblas_operation_llT0_T1_lllT2_lllib,"axG",@progbits,_ZL39rocblas_trsm_block_forward_substitutionIffPKfPfLb0ELb1ELb1EEv18rocblas_operation_llT0_T1_lllT2_lllib,comdat
.Lfunc_end52:
	.size	_ZL39rocblas_trsm_block_forward_substitutionIffPKfPfLb0ELb1ELb1EEv18rocblas_operation_llT0_T1_lllT2_lllib, .Lfunc_end52-_ZL39rocblas_trsm_block_forward_substitutionIffPKfPfLb0ELb1ELb1EEv18rocblas_operation_llT0_T1_lllT2_lllib
                                        ; -- End function
	.set _ZL39rocblas_trsm_block_forward_substitutionIffPKfPfLb0ELb1ELb1EEv18rocblas_operation_llT0_T1_lllT2_lllib.num_vgpr, 11
	.set _ZL39rocblas_trsm_block_forward_substitutionIffPKfPfLb0ELb1ELb1EEv18rocblas_operation_llT0_T1_lllT2_lllib.num_agpr, 0
	.set _ZL39rocblas_trsm_block_forward_substitutionIffPKfPfLb0ELb1ELb1EEv18rocblas_operation_llT0_T1_lllT2_lllib.numbered_sgpr, 32
	.set _ZL39rocblas_trsm_block_forward_substitutionIffPKfPfLb0ELb1ELb1EEv18rocblas_operation_llT0_T1_lllT2_lllib.num_named_barrier, 0
	.set _ZL39rocblas_trsm_block_forward_substitutionIffPKfPfLb0ELb1ELb1EEv18rocblas_operation_llT0_T1_lllT2_lllib.private_seg_size, 0
	.set _ZL39rocblas_trsm_block_forward_substitutionIffPKfPfLb0ELb1ELb1EEv18rocblas_operation_llT0_T1_lllT2_lllib.uses_vcc, 1
	.set _ZL39rocblas_trsm_block_forward_substitutionIffPKfPfLb0ELb1ELb1EEv18rocblas_operation_llT0_T1_lllT2_lllib.uses_flat_scratch, 0
	.set _ZL39rocblas_trsm_block_forward_substitutionIffPKfPfLb0ELb1ELb1EEv18rocblas_operation_llT0_T1_lllT2_lllib.has_dyn_sized_stack, 0
	.set _ZL39rocblas_trsm_block_forward_substitutionIffPKfPfLb0ELb1ELb1EEv18rocblas_operation_llT0_T1_lllT2_lllib.has_recursion, 0
	.set _ZL39rocblas_trsm_block_forward_substitutionIffPKfPfLb0ELb1ELb1EEv18rocblas_operation_llT0_T1_lllT2_lllib.has_indirect_call, 0
	.section	.AMDGPU.csdata,"",@progbits
; Kernel info:
; codeLenInByte = 700
; TotalNumSgprs: 36
; NumVgprs: 11
; ScratchSize: 0
; MemoryBound: 0
; FloatMode: 240
; IeeeMode: 1
; LDSByteSize: 0 bytes/workgroup (compile time only)
; SGPRBlocks: 4
; VGPRBlocks: 2
; NumSGPRsForWavesPerEU: 36
; NumVGPRsForWavesPerEU: 11
; Occupancy: 10
; WaveLimiterHint : 1
; COMPUTE_PGM_RSRC2:SCRATCH_EN: 0
; COMPUTE_PGM_RSRC2:USER_SGPR: 6
; COMPUTE_PGM_RSRC2:TRAP_HANDLER: 0
; COMPUTE_PGM_RSRC2:TGID_X_EN: 1
; COMPUTE_PGM_RSRC2:TGID_Y_EN: 1
; COMPUTE_PGM_RSRC2:TGID_Z_EN: 1
; COMPUTE_PGM_RSRC2:TIDIG_COMP_CNT: 1
	.section	.text._ZL40rocblas_trsm_block_backward_substitutionIffPKfPfLb0ELb1ELb1EEv18rocblas_operation_llT0_T1_lllT2_lllib,"axG",@progbits,_ZL40rocblas_trsm_block_backward_substitutionIffPKfPfLb0ELb1ELb1EEv18rocblas_operation_llT0_T1_lllT2_lllib,comdat
	.globl	_ZL40rocblas_trsm_block_backward_substitutionIffPKfPfLb0ELb1ELb1EEv18rocblas_operation_llT0_T1_lllT2_lllib ; -- Begin function _ZL40rocblas_trsm_block_backward_substitutionIffPKfPfLb0ELb1ELb1EEv18rocblas_operation_llT0_T1_lllT2_lllib
	.p2align	8
	.type	_ZL40rocblas_trsm_block_backward_substitutionIffPKfPfLb0ELb1ELb1EEv18rocblas_operation_llT0_T1_lllT2_lllib,@function
_ZL40rocblas_trsm_block_backward_substitutionIffPKfPfLb0ELb1ELb1EEv18rocblas_operation_llT0_T1_lllT2_lllib: ; @_ZL40rocblas_trsm_block_backward_substitutionIffPKfPfLb0ELb1ELb1EEv18rocblas_operation_llT0_T1_lllT2_lllib
; %bb.0:
	s_load_dwordx16 s[12:27], s[4:5], 0x20
	s_load_dwordx4 s[28:31], s[4:5], 0x8
	s_load_dword s9, s[4:5], 0x64
	s_load_dword s6, s[4:5], 0x74
	v_mov_b32_e32 v2, v1
	s_waitcnt lgkmcnt(0)
	s_mul_i32 s0, s19, s8
	s_mul_hi_u32 s1, s18, s8
	s_add_i32 s1, s1, s0
	s_mul_i32 s0, s18, s8
	s_lshl_b64 s[0:1], s[0:1], 2
	s_add_u32 s2, s12, s0
	s_addc_u32 s3, s13, s1
	s_lshl_b64 s[0:1], s[14:15], 2
	s_add_u32 s2, s2, s0
	s_addc_u32 s3, s3, s1
	s_add_u32 s12, s4, 0x68
	s_addc_u32 s13, s5, 0
	s_lshr_b32 s6, s6, 16
	s_bitcmp0_b32 s9, 0
	s_mov_b64 s[0:1], 1
	s_cbranch_scc1 .LBB53_6
; %bb.1:
	s_lshl_b32 s0, s6, 2
	s_add_i32 s14, s0, 0
	v_cmp_lt_i64_e64 s[0:1], s[28:29], 1
	s_mov_b64 s[10:11], 1
	s_and_b64 vcc, exec, s[0:1]
	s_cbranch_vccnz .LBB53_7
; %bb.2:
	v_mad_u64_u32 v[3:4], s[0:1], s16, v0, 0
	v_lshl_add_u32 v5, v0, 2, s14
	s_mov_b32 s9, 0
	v_mov_b32_e32 v1, v4
	v_mad_u64_u32 v[6:7], s[0:1], s17, v0, v[1:2]
	v_mov_b32_e32 v1, 0
	v_mov_b32_e32 v7, s3
	;; [unrolled: 1-line block ×3, first 2 shown]
	v_lshlrev_b64 v[3:4], 2, v[3:4]
	v_cmp_gt_u64_e64 s[0:1], s[28:29], v[0:1]
	v_add_co_u32_e32 v1, vcc, s2, v3
	v_addc_co_u32_e32 v6, vcc, v7, v4, vcc
	s_branch .LBB53_4
.LBB53_3:                               ;   in Loop: Header=BB53_4 Depth=1
	s_or_b64 exec, exec, s[2:3]
	s_add_i32 s9, s9, s6
	s_ashr_i32 s2, s9, 31
	v_mov_b32_e32 v3, s9
	v_mov_b32_e32 v4, s2
	v_cmp_le_i64_e32 vcc, s[28:29], v[3:4]
	s_cbranch_vccnz .LBB53_7
.LBB53_4:                               ; =>This Inner Loop Header: Depth=1
	v_add_u32_e32 v3, s9, v2
	v_ashrrev_i32_e32 v4, 31, v3
	v_cmp_gt_i64_e32 vcc, s[28:29], v[3:4]
	v_cmp_lt_i32_e64 s[2:3], v0, v3
	s_and_b64 s[2:3], s[2:3], vcc
	s_and_b64 s[16:17], s[0:1], s[2:3]
	s_and_saveexec_b64 s[2:3], s[16:17]
	s_cbranch_execz .LBB53_3
; %bb.5:                                ;   in Loop: Header=BB53_4 Depth=1
	v_lshlrev_b64 v[7:8], 2, v[3:4]
	s_load_dword s15, s[12:13], 0xc
	v_add_co_u32_e32 v7, vcc, v1, v7
	v_addc_co_u32_e32 v8, vcc, v6, v8, vcc
	global_load_dword v4, v[7:8], off
	s_waitcnt lgkmcnt(0)
	s_and_b32 s15, s15, 0xffff
	v_mul_lo_u32 v3, v3, s15
	v_lshl_add_u32 v3, v3, 2, v5
	s_waitcnt vmcnt(0)
	ds_write_b32 v3, v4
	s_branch .LBB53_3
.LBB53_6:
	s_mov_b64 s[10:11], s[16:17]
	s_branch .LBB53_8
.LBB53_7:
	s_mov_b64 s[0:1], src_shared_base
	s_load_dword s0, s[12:13], 0xc
	s_mov_b32 s15, s1
	s_mov_b64 s[2:3], s[14:15]
	s_waitcnt lgkmcnt(0)
	s_and_b32 s0, s0, 0xffff
.LBB53_8:
	s_mul_i32 s7, s7, s6
	v_add_u32_e32 v3, s7, v2
	v_mov_b32_e32 v4, 0
	v_cmp_gt_i64_e32 vcc, s[30:31], v[3:4]
	s_and_saveexec_b64 s[6:7], vcc
	s_cbranch_execz .LBB53_19
; %bb.9:
	v_mov_b32_e32 v1, v4
	v_cmp_gt_i64_e32 vcc, s[28:29], v[0:1]
	s_and_b64 exec, exec, vcc
	s_cbranch_execz .LBB53_19
; %bb.10:
	s_mul_i32 s1, s27, s8
	s_mul_hi_u32 s6, s26, s8
	s_add_i32 s7, s6, s1
	s_mul_i32 s6, s26, s8
	v_mad_u64_u32 v[4:5], s[8:9], s24, v3, 0
	s_lshl_b64 s[6:7], s[6:7], 2
	s_add_u32 s1, s20, s6
	s_addc_u32 s8, s21, s7
	v_mad_u64_u32 v[5:6], s[6:7], s25, v3, v[5:6]
	s_lshl_b64 s[6:7], s[22:23], 2
	s_add_u32 s1, s1, s6
	v_lshlrev_b64 v[3:4], 2, v[4:5]
	s_addc_u32 s6, s8, s7
	v_mov_b32_e32 v5, s6
	v_add_co_u32_e32 v3, vcc, s1, v3
	v_addc_co_u32_e32 v4, vcc, v5, v4, vcc
	v_lshlrev_b32_e32 v5, 2, v0
	v_add_co_u32_e32 v3, vcc, v3, v5
	v_addc_co_u32_e32 v4, vcc, 0, v4, vcc
	global_load_dword v5, v[3:4], off
	s_load_dword s1, s[4:5], 0x18
	v_cmp_lt_u64_e64 s[4:5], s[28:29], 2
	s_and_b64 vcc, exec, s[4:5]
	s_waitcnt vmcnt(0) lgkmcnt(0)
	v_mul_f32_e32 v7, s1, v5
	s_cbranch_vccnz .LBB53_18
; %bb.11:
	v_mad_u64_u32 v[5:6], s[4:5], s10, v0, 0
	v_lshl_add_u32 v2, v2, 2, 0
	v_mad_u64_u32 v[8:9], s[4:5], s11, v0, v[6:7]
	s_add_u32 s4, s28, -1
	s_addc_u32 s5, s29, -1
	s_mul_i32 s1, s0, s5
	s_mul_hi_u32 s6, s0, s4
	s_add_i32 s7, s6, s1
	s_mul_i32 s6, s0, s4
	s_lshl_b64 s[6:7], s[6:7], 2
	v_mov_b32_e32 v6, v8
	s_add_u32 s1, s2, s6
	v_lshlrev_b64 v[5:6], 2, v[5:6]
	s_addc_u32 s2, s3, s7
	s_lshl_b32 s0, s0, 2
	v_mov_b32_e32 v8, s2
	s_sub_u32 s2, 0, s0
	v_add_co_u32_e32 v5, vcc, s1, v5
	s_subb_u32 s0, 0, 0
	v_addc_co_u32_e32 v6, vcc, v8, v6, vcc
	v_mov_b32_e32 v8, s0
.LBB53_12:                              ; =>This Inner Loop Header: Depth=1
	v_cmp_eq_u64_e32 vcc, s[4:5], v[0:1]
	s_barrier
	s_and_saveexec_b64 s[0:1], vcc
; %bb.13:                               ;   in Loop: Header=BB53_12 Depth=1
	ds_write_b32 v2, v7
; %bb.14:                               ;   in Loop: Header=BB53_12 Depth=1
	s_or_b64 exec, exec, s[0:1]
	v_cmp_gt_i64_e32 vcc, s[4:5], v[0:1]
	s_waitcnt lgkmcnt(0)
	s_barrier
	s_and_saveexec_b64 s[0:1], vcc
	s_cbranch_execz .LBB53_16
; %bb.15:                               ;   in Loop: Header=BB53_12 Depth=1
	flat_load_dword v9, v[5:6]
	ds_read_b32 v10, v2
	s_waitcnt vmcnt(0) lgkmcnt(0)
	v_fma_f32 v7, -v9, v10, v7
.LBB53_16:                              ;   in Loop: Header=BB53_12 Depth=1
	s_or_b64 exec, exec, s[0:1]
	s_add_u32 s0, s4, -1
	s_addc_u32 s1, s5, -1
	s_add_u32 s4, s4, 1
	s_addc_u32 s5, s5, 0
	v_cmp_lt_u64_e64 s[4:5], s[4:5], 3
	v_add_co_u32_e32 v5, vcc, s2, v5
	v_addc_co_u32_e32 v6, vcc, v6, v8, vcc
	s_and_b64 vcc, exec, s[4:5]
	s_cbranch_vccnz .LBB53_18
; %bb.17:                               ;   in Loop: Header=BB53_12 Depth=1
	s_mov_b64 s[4:5], s[0:1]
	s_branch .LBB53_12
.LBB53_18:
	global_store_dword v[3:4], v7, off
.LBB53_19:
	s_endpgm
	.section	.rodata,"a",@progbits
	.p2align	6, 0x0
	.amdhsa_kernel _ZL40rocblas_trsm_block_backward_substitutionIffPKfPfLb0ELb1ELb1EEv18rocblas_operation_llT0_T1_lllT2_lllib
		.amdhsa_group_segment_fixed_size 0
		.amdhsa_private_segment_fixed_size 0
		.amdhsa_kernarg_size 360
		.amdhsa_user_sgpr_count 6
		.amdhsa_user_sgpr_private_segment_buffer 1
		.amdhsa_user_sgpr_dispatch_ptr 0
		.amdhsa_user_sgpr_queue_ptr 0
		.amdhsa_user_sgpr_kernarg_segment_ptr 1
		.amdhsa_user_sgpr_dispatch_id 0
		.amdhsa_user_sgpr_flat_scratch_init 0
		.amdhsa_user_sgpr_private_segment_size 0
		.amdhsa_uses_dynamic_stack 0
		.amdhsa_system_sgpr_private_segment_wavefront_offset 0
		.amdhsa_system_sgpr_workgroup_id_x 1
		.amdhsa_system_sgpr_workgroup_id_y 1
		.amdhsa_system_sgpr_workgroup_id_z 1
		.amdhsa_system_sgpr_workgroup_info 0
		.amdhsa_system_vgpr_workitem_id 1
		.amdhsa_next_free_vgpr 11
		.amdhsa_next_free_sgpr 32
		.amdhsa_reserve_vcc 1
		.amdhsa_reserve_flat_scratch 0
		.amdhsa_float_round_mode_32 0
		.amdhsa_float_round_mode_16_64 0
		.amdhsa_float_denorm_mode_32 3
		.amdhsa_float_denorm_mode_16_64 3
		.amdhsa_dx10_clamp 1
		.amdhsa_ieee_mode 1
		.amdhsa_fp16_overflow 0
		.amdhsa_exception_fp_ieee_invalid_op 0
		.amdhsa_exception_fp_denorm_src 0
		.amdhsa_exception_fp_ieee_div_zero 0
		.amdhsa_exception_fp_ieee_overflow 0
		.amdhsa_exception_fp_ieee_underflow 0
		.amdhsa_exception_fp_ieee_inexact 0
		.amdhsa_exception_int_div_zero 0
	.end_amdhsa_kernel
	.section	.text._ZL40rocblas_trsm_block_backward_substitutionIffPKfPfLb0ELb1ELb1EEv18rocblas_operation_llT0_T1_lllT2_lllib,"axG",@progbits,_ZL40rocblas_trsm_block_backward_substitutionIffPKfPfLb0ELb1ELb1EEv18rocblas_operation_llT0_T1_lllT2_lllib,comdat
.Lfunc_end53:
	.size	_ZL40rocblas_trsm_block_backward_substitutionIffPKfPfLb0ELb1ELb1EEv18rocblas_operation_llT0_T1_lllT2_lllib, .Lfunc_end53-_ZL40rocblas_trsm_block_backward_substitutionIffPKfPfLb0ELb1ELb1EEv18rocblas_operation_llT0_T1_lllT2_lllib
                                        ; -- End function
	.set _ZL40rocblas_trsm_block_backward_substitutionIffPKfPfLb0ELb1ELb1EEv18rocblas_operation_llT0_T1_lllT2_lllib.num_vgpr, 11
	.set _ZL40rocblas_trsm_block_backward_substitutionIffPKfPfLb0ELb1ELb1EEv18rocblas_operation_llT0_T1_lllT2_lllib.num_agpr, 0
	.set _ZL40rocblas_trsm_block_backward_substitutionIffPKfPfLb0ELb1ELb1EEv18rocblas_operation_llT0_T1_lllT2_lllib.numbered_sgpr, 32
	.set _ZL40rocblas_trsm_block_backward_substitutionIffPKfPfLb0ELb1ELb1EEv18rocblas_operation_llT0_T1_lllT2_lllib.num_named_barrier, 0
	.set _ZL40rocblas_trsm_block_backward_substitutionIffPKfPfLb0ELb1ELb1EEv18rocblas_operation_llT0_T1_lllT2_lllib.private_seg_size, 0
	.set _ZL40rocblas_trsm_block_backward_substitutionIffPKfPfLb0ELb1ELb1EEv18rocblas_operation_llT0_T1_lllT2_lllib.uses_vcc, 1
	.set _ZL40rocblas_trsm_block_backward_substitutionIffPKfPfLb0ELb1ELb1EEv18rocblas_operation_llT0_T1_lllT2_lllib.uses_flat_scratch, 0
	.set _ZL40rocblas_trsm_block_backward_substitutionIffPKfPfLb0ELb1ELb1EEv18rocblas_operation_llT0_T1_lllT2_lllib.has_dyn_sized_stack, 0
	.set _ZL40rocblas_trsm_block_backward_substitutionIffPKfPfLb0ELb1ELb1EEv18rocblas_operation_llT0_T1_lllT2_lllib.has_recursion, 0
	.set _ZL40rocblas_trsm_block_backward_substitutionIffPKfPfLb0ELb1ELb1EEv18rocblas_operation_llT0_T1_lllT2_lllib.has_indirect_call, 0
	.section	.AMDGPU.csdata,"",@progbits
; Kernel info:
; codeLenInByte = 792
; TotalNumSgprs: 36
; NumVgprs: 11
; ScratchSize: 0
; MemoryBound: 0
; FloatMode: 240
; IeeeMode: 1
; LDSByteSize: 0 bytes/workgroup (compile time only)
; SGPRBlocks: 4
; VGPRBlocks: 2
; NumSGPRsForWavesPerEU: 36
; NumVGPRsForWavesPerEU: 11
; Occupancy: 10
; WaveLimiterHint : 1
; COMPUTE_PGM_RSRC2:SCRATCH_EN: 0
; COMPUTE_PGM_RSRC2:USER_SGPR: 6
; COMPUTE_PGM_RSRC2:TRAP_HANDLER: 0
; COMPUTE_PGM_RSRC2:TGID_X_EN: 1
; COMPUTE_PGM_RSRC2:TGID_Y_EN: 1
; COMPUTE_PGM_RSRC2:TGID_Z_EN: 1
; COMPUTE_PGM_RSRC2:TIDIG_COMP_CNT: 1
	.section	.text._ZL39rocblas_trsm_block_forward_substitutionIffPKfPfLb1ELb1ELb0EEv18rocblas_operation_llT0_T1_lllT2_lllib,"axG",@progbits,_ZL39rocblas_trsm_block_forward_substitutionIffPKfPfLb1ELb1ELb0EEv18rocblas_operation_llT0_T1_lllT2_lllib,comdat
	.globl	_ZL39rocblas_trsm_block_forward_substitutionIffPKfPfLb1ELb1ELb0EEv18rocblas_operation_llT0_T1_lllT2_lllib ; -- Begin function _ZL39rocblas_trsm_block_forward_substitutionIffPKfPfLb1ELb1ELb0EEv18rocblas_operation_llT0_T1_lllT2_lllib
	.p2align	8
	.type	_ZL39rocblas_trsm_block_forward_substitutionIffPKfPfLb1ELb1ELb0EEv18rocblas_operation_llT0_T1_lllT2_lllib,@function
_ZL39rocblas_trsm_block_forward_substitutionIffPKfPfLb1ELb1ELb0EEv18rocblas_operation_llT0_T1_lllT2_lllib: ; @_ZL39rocblas_trsm_block_forward_substitutionIffPKfPfLb1ELb1ELb0EEv18rocblas_operation_llT0_T1_lllT2_lllib
; %bb.0:
	s_load_dword s9, s[4:5], 0x64
	s_load_dwordx16 s[12:27], s[4:5], 0x20
	s_load_dwordx4 s[28:31], s[4:5], 0x8
	s_load_dword s6, s[4:5], 0x74
	v_mov_b32_e32 v2, v1
	s_waitcnt lgkmcnt(0)
	s_bitcmp1_b32 s9, 0
	s_mul_i32 s2, s19, s8
	s_mul_hi_u32 s3, s18, s8
	s_cselect_b64 s[0:1], -1, 0
	s_add_i32 s3, s3, s2
	s_mul_i32 s2, s18, s8
	s_lshl_b64 s[2:3], s[2:3], 2
	s_add_u32 s10, s12, s2
	s_addc_u32 s11, s13, s3
	s_lshl_b64 s[2:3], s[14:15], 2
	s_add_u32 s2, s10, s2
	s_addc_u32 s3, s11, s3
	s_add_u32 s14, s4, 0x68
	s_addc_u32 s15, s5, 0
	s_lshr_b32 s6, s6, 16
	s_bitcmp0_b32 s9, 0
	s_mov_b64 s[12:13], 1
	s_cbranch_scc1 .LBB54_12
; %bb.1:
	v_cmp_lt_i64_e64 s[12:13], s[28:29], 1
	s_lshl_b32 s9, s6, 2
	s_add_i32 s18, s9, 0
	s_mov_b64 s[10:11], 1
	s_and_b64 vcc, exec, s[12:13]
	s_cbranch_vccnz .LBB54_13
; %bb.2:
	v_mad_u64_u32 v[3:4], s[12:13], s16, v0, 0
	v_lshlrev_b32_e32 v6, 2, v0
	v_add_u32_e32 v7, s18, v6
	v_mov_b32_e32 v1, v4
	v_mad_u64_u32 v[4:5], s[12:13], s17, v0, v[1:2]
	v_mov_b32_e32 v1, 0
	v_cmp_le_u64_e32 vcc, s[28:29], v[0:1]
	v_lshlrev_b64 v[3:4], 2, v[3:4]
	v_mov_b32_e32 v5, s3
	v_add_co_u32_e64 v1, s[2:3], s2, v3
	v_addc_co_u32_e64 v8, s[2:3], v5, v4, s[2:3]
	v_add_co_u32_e64 v3, s[2:3], v1, v6
	v_addc_co_u32_e64 v4, s[2:3], 0, v8, s[2:3]
	s_xor_b64 s[2:3], vcc, -1
	s_mov_b32 s9, s6
	v_mov_b32_e32 v5, v2
	s_branch .LBB54_4
.LBB54_3:                               ;   in Loop: Header=BB54_4 Depth=1
	s_or_b64 exec, exec, s[16:17]
	s_ashr_i32 s12, s9, 31
	v_mov_b32_e32 v9, s9
	v_mov_b32_e32 v10, s12
	v_cmp_le_i64_e32 vcc, s[28:29], v[9:10]
	v_add_u32_e32 v5, s6, v5
	s_add_i32 s9, s9, s6
	s_cbranch_vccnz .LBB54_13
.LBB54_4:                               ; =>This Inner Loop Header: Depth=1
	v_cmp_gt_i32_e32 vcc, v0, v5
	s_and_b64 s[16:17], s[2:3], vcc
	s_mov_b64 s[12:13], 0
                                        ; implicit-def: $vgpr6
	s_and_saveexec_b64 s[34:35], s[16:17]
	s_xor_b64 s[16:17], exec, s[34:35]
	s_cbranch_execnz .LBB54_7
; %bb.5:                                ;   in Loop: Header=BB54_4 Depth=1
	s_or_saveexec_b64 s[16:17], s[16:17]
	v_mov_b32_e32 v9, v5
	s_xor_b64 exec, exec, s[16:17]
	s_cbranch_execnz .LBB54_8
.LBB54_6:                               ;   in Loop: Header=BB54_4 Depth=1
	s_or_b64 exec, exec, s[16:17]
	s_and_saveexec_b64 s[16:17], s[12:13]
	s_cbranch_execz .LBB54_3
	s_branch .LBB54_11
.LBB54_7:                               ;   in Loop: Header=BB54_4 Depth=1
	s_waitcnt vmcnt(0)
	v_ashrrev_i32_e32 v6, 31, v5
	v_lshlrev_b64 v[9:10], 2, v[5:6]
	s_mov_b64 s[12:13], exec
	v_add_co_u32_e32 v9, vcc, v1, v9
	v_addc_co_u32_e32 v10, vcc, v8, v10, vcc
	global_load_dword v6, v[9:10], off
	s_or_saveexec_b64 s[16:17], s[16:17]
	v_mov_b32_e32 v9, v5
	s_xor_b64 exec, exec, s[16:17]
	s_cbranch_execz .LBB54_6
.LBB54_8:                               ;   in Loop: Header=BB54_4 Depth=1
	v_cmp_eq_u32_e32 vcc, v0, v5
	s_and_b64 s[38:39], s[2:3], vcc
	s_mov_b64 s[36:37], s[12:13]
                                        ; implicit-def: $vgpr6
	s_and_saveexec_b64 s[34:35], s[38:39]
	s_cbranch_execz .LBB54_10
; %bb.9:                                ;   in Loop: Header=BB54_4 Depth=1
	global_load_dword v6, v[3:4], off
	s_waitcnt vmcnt(0)
	v_div_scale_f32 v9, s[36:37], v6, v6, 1.0
	v_div_scale_f32 v10, vcc, 1.0, v6, 1.0
	s_or_b64 s[36:37], s[12:13], exec
	v_rcp_f32_e32 v11, v9
	v_fma_f32 v12, -v9, v11, 1.0
	v_fmac_f32_e32 v11, v12, v11
	v_mul_f32_e32 v12, v10, v11
	v_fma_f32 v13, -v9, v12, v10
	v_fmac_f32_e32 v12, v13, v11
	v_fma_f32 v9, -v9, v12, v10
	v_div_fmas_f32 v9, v9, v11, v12
	v_div_fixup_f32 v6, v9, v6, 1.0
.LBB54_10:                              ;   in Loop: Header=BB54_4 Depth=1
	s_or_b64 exec, exec, s[34:35]
	s_andn2_b64 s[12:13], s[12:13], exec
	s_and_b64 s[34:35], s[36:37], exec
	s_or_b64 s[12:13], s[12:13], s[34:35]
	v_mov_b32_e32 v9, v0
	s_or_b64 exec, exec, s[16:17]
	s_and_saveexec_b64 s[16:17], s[12:13]
	s_cbranch_execz .LBB54_3
.LBB54_11:                              ;   in Loop: Header=BB54_4 Depth=1
	s_load_dword s12, s[14:15], 0xc
	s_waitcnt lgkmcnt(0)
	s_and_b32 s12, s12, 0xffff
	v_mul_lo_u32 v9, v9, s12
	v_lshl_add_u32 v9, v9, 2, v7
	s_waitcnt vmcnt(0)
	ds_write_b32 v9, v6
	s_branch .LBB54_3
.LBB54_12:
	s_mov_b64 s[10:11], s[16:17]
	s_branch .LBB54_14
.LBB54_13:
	s_mov_b64 s[2:3], src_shared_base
	s_load_dword s2, s[14:15], 0xc
	s_mov_b32 s19, s3
	s_mov_b32 s13, 0
	s_waitcnt lgkmcnt(0)
	s_and_b32 s12, s2, 0xffff
	s_mov_b64 s[2:3], s[18:19]
.LBB54_14:
	s_mul_i32 s7, s7, s6
	v_add_u32_e32 v3, s7, v2
	v_mov_b32_e32 v4, 0
	v_cmp_gt_i64_e32 vcc, s[30:31], v[3:4]
	s_and_saveexec_b64 s[6:7], vcc
	s_cbranch_execz .LBB54_26
; %bb.15:
	v_mov_b32_e32 v1, v4
	v_cmp_gt_i64_e32 vcc, s[28:29], v[0:1]
	s_and_b64 exec, exec, vcc
	s_cbranch_execz .LBB54_26
; %bb.16:
	s_mul_i32 s6, s27, s8
	s_mul_hi_u32 s7, s26, s8
	s_add_i32 s7, s7, s6
	s_mul_i32 s6, s26, s8
	s_waitcnt vmcnt(0)
	v_mad_u64_u32 v[5:6], s[8:9], s24, v0, 0
	s_lshl_b64 s[6:7], s[6:7], 2
	s_add_u32 s8, s20, s6
	s_addc_u32 s9, s21, s7
	v_mad_u64_u32 v[6:7], s[6:7], s25, v0, v[6:7]
	s_lshl_b64 s[6:7], s[22:23], 2
	s_add_u32 s6, s8, s6
	v_lshlrev_b64 v[5:6], 2, v[5:6]
	s_addc_u32 s7, s9, s7
	v_mov_b32_e32 v7, s7
	v_add_co_u32_e32 v5, vcc, s6, v5
	v_lshlrev_b64 v[3:4], 2, v[3:4]
	v_addc_co_u32_e32 v6, vcc, v7, v6, vcc
	v_add_co_u32_e32 v3, vcc, v5, v3
	v_addc_co_u32_e32 v4, vcc, v6, v4, vcc
	global_load_dword v5, v[3:4], off
	s_load_dword s8, s[4:5], 0x18
	v_cmp_lt_u64_e64 s[6:7], s[28:29], 2
	s_add_u32 s4, s28, -1
	s_addc_u32 s5, s29, -1
	s_and_b64 vcc, exec, s[6:7]
	s_waitcnt vmcnt(0) lgkmcnt(0)
	v_mul_f32_e32 v9, s8, v5
	s_cbranch_vccnz .LBB54_23
; %bb.17:
	s_add_u32 s6, s12, s10
	v_mad_u64_u32 v[5:6], s[6:7], s6, v0, 0
	s_addc_u32 s6, s13, s11
	v_mov_b32_e32 v12, s3
	v_mad_u64_u32 v[6:7], s[6:7], s6, v0, v[6:7]
	v_mad_u64_u32 v[7:8], s[6:7], s10, v0, 0
	v_lshlrev_b64 v[5:6], 2, v[5:6]
	v_lshl_add_u32 v2, v2, 2, 0
	v_mad_u64_u32 v[10:11], s[6:7], s11, v0, v[8:9]
	v_add_co_u32_e32 v5, vcc, s2, v5
	v_mov_b32_e32 v8, v10
	v_lshlrev_b64 v[7:8], 2, v[7:8]
	v_addc_co_u32_e32 v6, vcc, v12, v6, vcc
	v_add_co_u32_e32 v7, vcc, s2, v7
	v_addc_co_u32_e32 v8, vcc, v12, v8, vcc
	s_lshl_b32 s14, s12, 2
	s_mov_b64 s[6:7], 0
	s_branch .LBB54_19
.LBB54_18:                              ;   in Loop: Header=BB54_19 Depth=1
	s_or_b64 exec, exec, s[8:9]
	s_add_u32 s6, s6, 1
	s_addc_u32 s7, s7, 0
	v_add_co_u32_e32 v7, vcc, s14, v7
	s_cmp_eq_u64 s[4:5], s[6:7]
	v_addc_co_u32_e32 v8, vcc, 0, v8, vcc
	s_cbranch_scc1 .LBB54_23
.LBB54_19:                              ; =>This Inner Loop Header: Depth=1
	v_cmp_eq_u64_e32 vcc, s[6:7], v[0:1]
	s_barrier
	s_and_saveexec_b64 s[8:9], vcc
	s_cbranch_execz .LBB54_21
; %bb.20:                               ;   in Loop: Header=BB54_19 Depth=1
	flat_load_dword v10, v[5:6]
	s_waitcnt vmcnt(0) lgkmcnt(0)
	v_div_scale_f32 v11, s[16:17], v10, v10, 1.0
	v_div_scale_f32 v12, vcc, 1.0, v10, 1.0
	v_rcp_f32_e32 v13, v11
	v_fma_f32 v14, -v11, v13, 1.0
	v_fmac_f32_e32 v13, v14, v13
	v_mul_f32_e32 v14, v12, v13
	v_fma_f32 v15, -v11, v14, v12
	v_fmac_f32_e32 v14, v15, v13
	v_fma_f32 v11, -v11, v14, v12
	v_div_fmas_f32 v11, v11, v13, v14
	v_div_fixup_f32 v11, v11, v10, 1.0
	v_cndmask_b32_e64 v10, v11, v10, s[0:1]
	v_mul_f32_e32 v9, v9, v10
	ds_write_b32 v2, v9
.LBB54_21:                              ;   in Loop: Header=BB54_19 Depth=1
	s_or_b64 exec, exec, s[8:9]
	v_cmp_lt_u64_e32 vcc, s[6:7], v[0:1]
	s_waitcnt lgkmcnt(0)
	s_barrier
	s_and_saveexec_b64 s[8:9], vcc
	s_cbranch_execz .LBB54_18
; %bb.22:                               ;   in Loop: Header=BB54_19 Depth=1
	flat_load_dword v10, v[7:8]
	ds_read_b32 v11, v2
	s_waitcnt vmcnt(0) lgkmcnt(0)
	v_fma_f32 v9, -v10, v11, v9
	s_branch .LBB54_18
.LBB54_23:
	v_cmp_eq_u64_e32 vcc, s[4:5], v[0:1]
	s_and_saveexec_b64 s[4:5], vcc
	s_cbranch_execz .LBB54_25
; %bb.24:
	s_add_u32 s6, s12, s10
	v_mad_u64_u32 v[1:2], s[6:7], s6, v0, 0
	s_addc_u32 s6, s13, s11
	v_mad_u64_u32 v[5:6], s[6:7], s6, v0, v[2:3]
	v_mov_b32_e32 v6, s3
	v_mov_b32_e32 v2, v5
	v_lshlrev_b64 v[0:1], 2, v[1:2]
	v_add_co_u32_e32 v0, vcc, s2, v0
	v_addc_co_u32_e32 v1, vcc, v6, v1, vcc
	flat_load_dword v0, v[0:1]
	s_waitcnt vmcnt(0) lgkmcnt(0)
	v_div_scale_f32 v1, s[2:3], v0, v0, 1.0
	v_div_scale_f32 v2, vcc, 1.0, v0, 1.0
	v_rcp_f32_e32 v5, v1
	v_fma_f32 v6, -v1, v5, 1.0
	v_fmac_f32_e32 v5, v6, v5
	v_mul_f32_e32 v6, v2, v5
	v_fma_f32 v7, -v1, v6, v2
	v_fmac_f32_e32 v6, v7, v5
	v_fma_f32 v1, -v1, v6, v2
	v_div_fmas_f32 v1, v1, v5, v6
	v_div_fixup_f32 v1, v1, v0, 1.0
	v_cndmask_b32_e64 v0, v1, v0, s[0:1]
	v_mul_f32_e32 v9, v9, v0
.LBB54_25:
	s_or_b64 exec, exec, s[4:5]
	global_store_dword v[3:4], v9, off
.LBB54_26:
	s_endpgm
	.section	.rodata,"a",@progbits
	.p2align	6, 0x0
	.amdhsa_kernel _ZL39rocblas_trsm_block_forward_substitutionIffPKfPfLb1ELb1ELb0EEv18rocblas_operation_llT0_T1_lllT2_lllib
		.amdhsa_group_segment_fixed_size 0
		.amdhsa_private_segment_fixed_size 0
		.amdhsa_kernarg_size 360
		.amdhsa_user_sgpr_count 6
		.amdhsa_user_sgpr_private_segment_buffer 1
		.amdhsa_user_sgpr_dispatch_ptr 0
		.amdhsa_user_sgpr_queue_ptr 0
		.amdhsa_user_sgpr_kernarg_segment_ptr 1
		.amdhsa_user_sgpr_dispatch_id 0
		.amdhsa_user_sgpr_flat_scratch_init 0
		.amdhsa_user_sgpr_private_segment_size 0
		.amdhsa_uses_dynamic_stack 0
		.amdhsa_system_sgpr_private_segment_wavefront_offset 0
		.amdhsa_system_sgpr_workgroup_id_x 1
		.amdhsa_system_sgpr_workgroup_id_y 1
		.amdhsa_system_sgpr_workgroup_id_z 1
		.amdhsa_system_sgpr_workgroup_info 0
		.amdhsa_system_vgpr_workitem_id 1
		.amdhsa_next_free_vgpr 16
		.amdhsa_next_free_sgpr 40
		.amdhsa_reserve_vcc 1
		.amdhsa_reserve_flat_scratch 0
		.amdhsa_float_round_mode_32 0
		.amdhsa_float_round_mode_16_64 0
		.amdhsa_float_denorm_mode_32 3
		.amdhsa_float_denorm_mode_16_64 3
		.amdhsa_dx10_clamp 1
		.amdhsa_ieee_mode 1
		.amdhsa_fp16_overflow 0
		.amdhsa_exception_fp_ieee_invalid_op 0
		.amdhsa_exception_fp_denorm_src 0
		.amdhsa_exception_fp_ieee_div_zero 0
		.amdhsa_exception_fp_ieee_overflow 0
		.amdhsa_exception_fp_ieee_underflow 0
		.amdhsa_exception_fp_ieee_inexact 0
		.amdhsa_exception_int_div_zero 0
	.end_amdhsa_kernel
	.section	.text._ZL39rocblas_trsm_block_forward_substitutionIffPKfPfLb1ELb1ELb0EEv18rocblas_operation_llT0_T1_lllT2_lllib,"axG",@progbits,_ZL39rocblas_trsm_block_forward_substitutionIffPKfPfLb1ELb1ELb0EEv18rocblas_operation_llT0_T1_lllT2_lllib,comdat
.Lfunc_end54:
	.size	_ZL39rocblas_trsm_block_forward_substitutionIffPKfPfLb1ELb1ELb0EEv18rocblas_operation_llT0_T1_lllT2_lllib, .Lfunc_end54-_ZL39rocblas_trsm_block_forward_substitutionIffPKfPfLb1ELb1ELb0EEv18rocblas_operation_llT0_T1_lllT2_lllib
                                        ; -- End function
	.set _ZL39rocblas_trsm_block_forward_substitutionIffPKfPfLb1ELb1ELb0EEv18rocblas_operation_llT0_T1_lllT2_lllib.num_vgpr, 16
	.set _ZL39rocblas_trsm_block_forward_substitutionIffPKfPfLb1ELb1ELb0EEv18rocblas_operation_llT0_T1_lllT2_lllib.num_agpr, 0
	.set _ZL39rocblas_trsm_block_forward_substitutionIffPKfPfLb1ELb1ELb0EEv18rocblas_operation_llT0_T1_lllT2_lllib.numbered_sgpr, 40
	.set _ZL39rocblas_trsm_block_forward_substitutionIffPKfPfLb1ELb1ELb0EEv18rocblas_operation_llT0_T1_lllT2_lllib.num_named_barrier, 0
	.set _ZL39rocblas_trsm_block_forward_substitutionIffPKfPfLb1ELb1ELb0EEv18rocblas_operation_llT0_T1_lllT2_lllib.private_seg_size, 0
	.set _ZL39rocblas_trsm_block_forward_substitutionIffPKfPfLb1ELb1ELb0EEv18rocblas_operation_llT0_T1_lllT2_lllib.uses_vcc, 1
	.set _ZL39rocblas_trsm_block_forward_substitutionIffPKfPfLb1ELb1ELb0EEv18rocblas_operation_llT0_T1_lllT2_lllib.uses_flat_scratch, 0
	.set _ZL39rocblas_trsm_block_forward_substitutionIffPKfPfLb1ELb1ELb0EEv18rocblas_operation_llT0_T1_lllT2_lllib.has_dyn_sized_stack, 0
	.set _ZL39rocblas_trsm_block_forward_substitutionIffPKfPfLb1ELb1ELb0EEv18rocblas_operation_llT0_T1_lllT2_lllib.has_recursion, 0
	.set _ZL39rocblas_trsm_block_forward_substitutionIffPKfPfLb1ELb1ELb0EEv18rocblas_operation_llT0_T1_lllT2_lllib.has_indirect_call, 0
	.section	.AMDGPU.csdata,"",@progbits
; Kernel info:
; codeLenInByte = 1276
; TotalNumSgprs: 44
; NumVgprs: 16
; ScratchSize: 0
; MemoryBound: 0
; FloatMode: 240
; IeeeMode: 1
; LDSByteSize: 0 bytes/workgroup (compile time only)
; SGPRBlocks: 5
; VGPRBlocks: 3
; NumSGPRsForWavesPerEU: 44
; NumVGPRsForWavesPerEU: 16
; Occupancy: 10
; WaveLimiterHint : 1
; COMPUTE_PGM_RSRC2:SCRATCH_EN: 0
; COMPUTE_PGM_RSRC2:USER_SGPR: 6
; COMPUTE_PGM_RSRC2:TRAP_HANDLER: 0
; COMPUTE_PGM_RSRC2:TGID_X_EN: 1
; COMPUTE_PGM_RSRC2:TGID_Y_EN: 1
; COMPUTE_PGM_RSRC2:TGID_Z_EN: 1
; COMPUTE_PGM_RSRC2:TIDIG_COMP_CNT: 1
	.section	.text._ZL40rocblas_trsm_block_backward_substitutionIffPKfPfLb1ELb1ELb0EEv18rocblas_operation_llT0_T1_lllT2_lllib,"axG",@progbits,_ZL40rocblas_trsm_block_backward_substitutionIffPKfPfLb1ELb1ELb0EEv18rocblas_operation_llT0_T1_lllT2_lllib,comdat
	.globl	_ZL40rocblas_trsm_block_backward_substitutionIffPKfPfLb1ELb1ELb0EEv18rocblas_operation_llT0_T1_lllT2_lllib ; -- Begin function _ZL40rocblas_trsm_block_backward_substitutionIffPKfPfLb1ELb1ELb0EEv18rocblas_operation_llT0_T1_lllT2_lllib
	.p2align	8
	.type	_ZL40rocblas_trsm_block_backward_substitutionIffPKfPfLb1ELb1ELb0EEv18rocblas_operation_llT0_T1_lllT2_lllib,@function
_ZL40rocblas_trsm_block_backward_substitutionIffPKfPfLb1ELb1ELb0EEv18rocblas_operation_llT0_T1_lllT2_lllib: ; @_ZL40rocblas_trsm_block_backward_substitutionIffPKfPfLb1ELb1ELb0EEv18rocblas_operation_llT0_T1_lllT2_lllib
; %bb.0:
	s_load_dword s9, s[4:5], 0x64
	s_load_dwordx16 s[12:27], s[4:5], 0x20
	s_load_dwordx4 s[28:31], s[4:5], 0x8
	s_load_dword s6, s[4:5], 0x74
	v_mov_b32_e32 v2, v1
	s_waitcnt lgkmcnt(0)
	s_bitcmp1_b32 s9, 0
	s_mul_i32 s2, s19, s8
	s_mul_hi_u32 s3, s18, s8
	s_cselect_b64 s[0:1], -1, 0
	s_add_i32 s3, s3, s2
	s_mul_i32 s2, s18, s8
	s_lshl_b64 s[2:3], s[2:3], 2
	s_add_u32 s10, s12, s2
	s_addc_u32 s11, s13, s3
	s_lshl_b64 s[2:3], s[14:15], 2
	s_add_u32 s10, s10, s2
	s_addc_u32 s11, s11, s3
	s_add_u32 s12, s4, 0x68
	s_addc_u32 s13, s5, 0
	s_lshr_b32 s6, s6, 16
	s_bitcmp0_b32 s9, 0
	s_cbranch_scc1 .LBB55_15
; %bb.1:
	v_cmp_lt_i64_e64 s[2:3], s[28:29], 1
	s_lshl_b32 s9, s6, 2
	s_add_i32 s14, s9, 0
	s_and_b64 vcc, exec, s[2:3]
	s_cbranch_vccnz .LBB55_14
; %bb.2:
	v_mad_u64_u32 v[3:4], s[2:3], s16, v0, 0
	v_mov_b32_e32 v1, 0
	v_cmp_le_u64_e64 s[18:19], s[28:29], v[0:1]
	v_cmp_gt_u64_e64 s[2:3], s[28:29], v[0:1]
	v_mov_b32_e32 v1, v4
	v_mad_u64_u32 v[4:5], s[34:35], s17, v0, v[1:2]
	v_lshlrev_b32_e32 v6, 2, v0
	v_mov_b32_e32 v8, s11
	v_add_co_u32_e32 v1, vcc, s10, v6
	v_lshlrev_b64 v[3:4], 2, v[3:4]
	v_addc_co_u32_e32 v8, vcc, 0, v8, vcc
	v_add_co_u32_e32 v3, vcc, v1, v3
	v_add_u32_e32 v7, s14, v6
	v_addc_co_u32_e32 v4, vcc, v8, v4, vcc
	s_xor_b64 s[34:35], s[18:19], -1
	s_mov_b32 s9, s6
	v_mov_b32_e32 v5, v2
	s_branch .LBB55_4
.LBB55_3:                               ;   in Loop: Header=BB55_4 Depth=1
	s_or_b64 exec, exec, s[36:37]
	s_ashr_i32 s10, s9, 31
	s_waitcnt vmcnt(0)
	v_mov_b32_e32 v9, s9
	v_mov_b32_e32 v10, s10
	v_cmp_le_i64_e32 vcc, s[28:29], v[9:10]
	v_add_u32_e32 v5, s6, v5
	s_add_i32 s9, s9, s6
	s_cbranch_vccnz .LBB55_14
.LBB55_4:                               ; =>This Inner Loop Header: Depth=1
	s_mov_b64 s[10:11], 0
	s_mov_b64 s[38:39], s[18:19]
                                        ; implicit-def: $vgpr9
	s_and_saveexec_b64 s[36:37], s[2:3]
	s_cbranch_execnz .LBB55_7
; %bb.5:                                ;   in Loop: Header=BB55_4 Depth=1
	s_or_b64 exec, exec, s[36:37]
	v_mov_b32_e32 v6, v5
	s_and_saveexec_b64 s[36:37], s[38:39]
	s_cbranch_execnz .LBB55_10
.LBB55_6:                               ;   in Loop: Header=BB55_4 Depth=1
	s_or_b64 exec, exec, s[36:37]
	s_and_saveexec_b64 s[36:37], s[10:11]
	s_cbranch_execz .LBB55_3
	s_branch .LBB55_13
.LBB55_7:                               ;   in Loop: Header=BB55_4 Depth=1
	v_ashrrev_i32_e32 v6, 31, v5
	v_cmp_gt_i64_e32 vcc, s[28:29], v[5:6]
	v_cmp_lt_i32_e64 s[10:11], v0, v5
	s_and_b64 s[42:43], s[10:11], vcc
	s_mov_b64 s[40:41], -1
	s_mov_b64 s[10:11], 0
                                        ; implicit-def: $vgpr9
	s_and_saveexec_b64 s[38:39], s[42:43]
	s_cbranch_execz .LBB55_9
; %bb.8:                                ;   in Loop: Header=BB55_4 Depth=1
	v_mul_lo_u32 v11, s17, v5
	v_mul_lo_u32 v6, s16, v6
	v_mad_u64_u32 v[9:10], s[40:41], s16, v5, 0
	s_mov_b64 s[10:11], exec
	s_xor_b64 s[40:41], exec, -1
	v_add3_u32 v10, v10, v6, v11
	v_lshlrev_b64 v[9:10], 2, v[9:10]
	v_add_co_u32_e32 v9, vcc, v1, v9
	v_addc_co_u32_e32 v10, vcc, v8, v10, vcc
	global_load_dword v9, v[9:10], off
.LBB55_9:                               ;   in Loop: Header=BB55_4 Depth=1
	s_or_b64 exec, exec, s[38:39]
	s_andn2_b64 s[38:39], s[18:19], exec
	s_and_b64 s[40:41], s[40:41], exec
	s_and_b64 s[10:11], s[10:11], exec
	s_or_b64 s[38:39], s[38:39], s[40:41]
	s_or_b64 exec, exec, s[36:37]
	v_mov_b32_e32 v6, v5
	s_and_saveexec_b64 s[36:37], s[38:39]
	s_cbranch_execz .LBB55_6
.LBB55_10:                              ;   in Loop: Header=BB55_4 Depth=1
	v_cmp_eq_u32_e32 vcc, v0, v5
	s_and_b64 s[42:43], s[34:35], vcc
	s_mov_b64 s[40:41], s[10:11]
                                        ; implicit-def: $vgpr9
	s_and_saveexec_b64 s[38:39], s[42:43]
	s_cbranch_execz .LBB55_12
; %bb.11:                               ;   in Loop: Header=BB55_4 Depth=1
	global_load_dword v6, v[3:4], off
	s_waitcnt vmcnt(0)
	v_div_scale_f32 v9, s[40:41], v6, v6, 1.0
	v_div_scale_f32 v10, vcc, 1.0, v6, 1.0
	s_or_b64 s[40:41], s[10:11], exec
	v_rcp_f32_e32 v11, v9
	v_fma_f32 v12, -v9, v11, 1.0
	v_fmac_f32_e32 v11, v12, v11
	v_mul_f32_e32 v12, v10, v11
	v_fma_f32 v13, -v9, v12, v10
	v_fmac_f32_e32 v12, v13, v11
	v_fma_f32 v9, -v9, v12, v10
	v_div_fmas_f32 v9, v9, v11, v12
	v_div_fixup_f32 v9, v9, v6, 1.0
.LBB55_12:                              ;   in Loop: Header=BB55_4 Depth=1
	s_or_b64 exec, exec, s[38:39]
	s_andn2_b64 s[10:11], s[10:11], exec
	s_and_b64 s[38:39], s[40:41], exec
	s_or_b64 s[10:11], s[10:11], s[38:39]
	v_mov_b32_e32 v6, v0
	s_or_b64 exec, exec, s[36:37]
	s_and_saveexec_b64 s[36:37], s[10:11]
	s_cbranch_execz .LBB55_3
.LBB55_13:                              ;   in Loop: Header=BB55_4 Depth=1
	s_load_dword s10, s[12:13], 0xc
	s_waitcnt lgkmcnt(0)
	s_and_b32 s10, s10, 0xffff
	v_mul_lo_u32 v6, v6, s10
	v_lshl_add_u32 v6, v6, 2, v7
	s_waitcnt vmcnt(0)
	ds_write_b32 v6, v9
	s_branch .LBB55_3
.LBB55_14:
	s_mov_b64 s[2:3], src_shared_base
	s_load_dword s2, s[12:13], 0xc
	s_mov_b32 s15, s3
	s_mov_b32 s17, 0
	s_mov_b64 s[10:11], s[14:15]
	s_waitcnt lgkmcnt(0)
	s_and_b32 s16, s2, 0xffff
.LBB55_15:
	s_mul_i32 s7, s7, s6
	v_add_u32_e32 v3, s7, v2
	v_mov_b32_e32 v4, 0
	v_cmp_gt_i64_e32 vcc, s[30:31], v[3:4]
	s_and_saveexec_b64 s[2:3], vcc
	s_cbranch_execz .LBB55_28
; %bb.16:
	v_mov_b32_e32 v1, v4
	v_cmp_gt_i64_e32 vcc, s[28:29], v[0:1]
	s_and_b64 exec, exec, vcc
	s_cbranch_execz .LBB55_28
; %bb.17:
	s_mul_i32 s2, s27, s8
	s_mul_hi_u32 s3, s26, s8
	v_mad_u64_u32 v[4:5], s[6:7], s24, v3, 0
	s_add_i32 s3, s3, s2
	s_mul_i32 s2, s26, s8
	s_lshl_b64 s[2:3], s[2:3], 2
	s_add_u32 s6, s20, s2
	s_addc_u32 s7, s21, s3
	v_mad_u64_u32 v[5:6], s[2:3], s25, v3, v[5:6]
	s_lshl_b64 s[2:3], s[22:23], 2
	s_add_u32 s2, s6, s2
	v_lshlrev_b64 v[3:4], 2, v[4:5]
	s_addc_u32 s3, s7, s3
	v_mov_b32_e32 v5, s3
	v_add_co_u32_e32 v3, vcc, s2, v3
	v_addc_co_u32_e32 v4, vcc, v5, v4, vcc
	v_lshlrev_b32_e32 v7, 2, v0
	v_add_co_u32_e32 v3, vcc, v3, v7
	v_addc_co_u32_e32 v4, vcc, 0, v4, vcc
	global_load_dword v5, v[3:4], off
	s_load_dword s4, s[4:5], 0x18
	v_cmp_lt_u64_e64 s[2:3], s[28:29], 2
	s_and_b64 vcc, exec, s[2:3]
	s_waitcnt vmcnt(0) lgkmcnt(0)
	v_mul_f32_e32 v9, s4, v5
	s_cbranch_vccnz .LBB55_25
; %bb.18:
	v_mad_u64_u32 v[5:6], s[2:3], v0, s16, v[0:1]
	v_mov_b32_e32 v8, s11
	v_lshl_add_u32 v2, v2, 2, 0
	v_mad_u64_u32 v[10:11], s[2:3], v0, s17, v[6:7]
	s_add_u32 s2, s28, -1
	s_addc_u32 s3, s29, -1
	s_mul_i32 s4, s16, s3
	s_mul_hi_u32 s5, s16, s2
	v_mov_b32_e32 v6, v10
	s_add_i32 s4, s5, s4
	s_mul_i32 s5, s17, s2
	v_lshlrev_b64 v[5:6], 2, v[5:6]
	s_add_i32 s5, s4, s5
	s_mul_i32 s4, s16, s2
	s_lshl_b64 s[4:5], s[4:5], 2
	v_add_co_u32_e32 v5, vcc, s10, v5
	s_add_u32 s4, s10, s4
	v_addc_co_u32_e32 v6, vcc, v8, v6, vcc
	s_addc_u32 s5, s11, s5
	v_mov_b32_e32 v8, s5
	v_add_co_u32_e32 v7, vcc, s4, v7
	s_lshl_b64 s[4:5], s[16:17], 2
	s_sub_u32 s6, 0, s4
	v_addc_co_u32_e32 v8, vcc, 0, v8, vcc
	s_subb_u32 s7, 0, s5
.LBB55_19:                              ; =>This Inner Loop Header: Depth=1
	v_cmp_eq_u64_e32 vcc, s[2:3], v[0:1]
	s_barrier
	s_and_saveexec_b64 s[4:5], vcc
	s_cbranch_execz .LBB55_21
; %bb.20:                               ;   in Loop: Header=BB55_19 Depth=1
	flat_load_dword v10, v[5:6]
	s_waitcnt vmcnt(0) lgkmcnt(0)
	v_div_scale_f32 v11, s[8:9], v10, v10, 1.0
	v_div_scale_f32 v12, vcc, 1.0, v10, 1.0
	v_rcp_f32_e32 v13, v11
	v_fma_f32 v14, -v11, v13, 1.0
	v_fmac_f32_e32 v13, v14, v13
	v_mul_f32_e32 v14, v12, v13
	v_fma_f32 v15, -v11, v14, v12
	v_fmac_f32_e32 v14, v15, v13
	v_fma_f32 v11, -v11, v14, v12
	v_div_fmas_f32 v11, v11, v13, v14
	v_div_fixup_f32 v11, v11, v10, 1.0
	v_cndmask_b32_e64 v10, v11, v10, s[0:1]
	v_mul_f32_e32 v9, v9, v10
	ds_write_b32 v2, v9
.LBB55_21:                              ;   in Loop: Header=BB55_19 Depth=1
	s_or_b64 exec, exec, s[4:5]
	v_cmp_gt_i64_e32 vcc, s[2:3], v[0:1]
	s_waitcnt lgkmcnt(0)
	s_barrier
	s_and_saveexec_b64 s[4:5], vcc
	s_cbranch_execz .LBB55_23
; %bb.22:                               ;   in Loop: Header=BB55_19 Depth=1
	flat_load_dword v10, v[7:8]
	ds_read_b32 v11, v2
	s_waitcnt vmcnt(0) lgkmcnt(0)
	v_fma_f32 v9, -v10, v11, v9
.LBB55_23:                              ;   in Loop: Header=BB55_19 Depth=1
	s_or_b64 exec, exec, s[4:5]
	s_add_u32 s4, s2, -1
	s_addc_u32 s5, s3, -1
	s_add_u32 s2, s2, 1
	s_addc_u32 s3, s3, 0
	v_mov_b32_e32 v10, s7
	v_cmp_lt_u64_e64 s[2:3], s[2:3], 3
	v_add_co_u32_e32 v7, vcc, s6, v7
	v_addc_co_u32_e32 v8, vcc, v8, v10, vcc
	s_and_b64 vcc, exec, s[2:3]
	s_cbranch_vccnz .LBB55_25
; %bb.24:                               ;   in Loop: Header=BB55_19 Depth=1
	s_mov_b64 s[2:3], s[4:5]
	s_branch .LBB55_19
.LBB55_25:
	v_cmp_eq_u32_e32 vcc, 0, v0
	s_and_saveexec_b64 s[2:3], vcc
	s_cbranch_execz .LBB55_27
; %bb.26:
	v_mad_u64_u32 v[1:2], s[4:5], v0, s16, v[0:1]
	v_mad_u64_u32 v[5:6], s[4:5], v0, s17, v[2:3]
	v_mov_b32_e32 v6, s11
	v_mov_b32_e32 v2, v5
	v_lshlrev_b64 v[0:1], 2, v[1:2]
	v_add_co_u32_e32 v0, vcc, s10, v0
	v_addc_co_u32_e32 v1, vcc, v6, v1, vcc
	flat_load_dword v0, v[0:1]
	s_waitcnt vmcnt(0) lgkmcnt(0)
	v_div_scale_f32 v1, s[4:5], v0, v0, 1.0
	v_div_scale_f32 v2, vcc, 1.0, v0, 1.0
	v_rcp_f32_e32 v5, v1
	v_fma_f32 v6, -v1, v5, 1.0
	v_fmac_f32_e32 v5, v6, v5
	v_mul_f32_e32 v6, v2, v5
	v_fma_f32 v7, -v1, v6, v2
	v_fmac_f32_e32 v6, v7, v5
	v_fma_f32 v1, -v1, v6, v2
	v_div_fmas_f32 v1, v1, v5, v6
	v_div_fixup_f32 v1, v1, v0, 1.0
	v_cndmask_b32_e64 v0, v1, v0, s[0:1]
	v_mul_f32_e32 v9, v9, v0
.LBB55_27:
	s_or_b64 exec, exec, s[2:3]
	global_store_dword v[3:4], v9, off
.LBB55_28:
	s_endpgm
	.section	.rodata,"a",@progbits
	.p2align	6, 0x0
	.amdhsa_kernel _ZL40rocblas_trsm_block_backward_substitutionIffPKfPfLb1ELb1ELb0EEv18rocblas_operation_llT0_T1_lllT2_lllib
		.amdhsa_group_segment_fixed_size 0
		.amdhsa_private_segment_fixed_size 0
		.amdhsa_kernarg_size 360
		.amdhsa_user_sgpr_count 6
		.amdhsa_user_sgpr_private_segment_buffer 1
		.amdhsa_user_sgpr_dispatch_ptr 0
		.amdhsa_user_sgpr_queue_ptr 0
		.amdhsa_user_sgpr_kernarg_segment_ptr 1
		.amdhsa_user_sgpr_dispatch_id 0
		.amdhsa_user_sgpr_flat_scratch_init 0
		.amdhsa_user_sgpr_private_segment_size 0
		.amdhsa_uses_dynamic_stack 0
		.amdhsa_system_sgpr_private_segment_wavefront_offset 0
		.amdhsa_system_sgpr_workgroup_id_x 1
		.amdhsa_system_sgpr_workgroup_id_y 1
		.amdhsa_system_sgpr_workgroup_id_z 1
		.amdhsa_system_sgpr_workgroup_info 0
		.amdhsa_system_vgpr_workitem_id 1
		.amdhsa_next_free_vgpr 16
		.amdhsa_next_free_sgpr 44
		.amdhsa_reserve_vcc 1
		.amdhsa_reserve_flat_scratch 0
		.amdhsa_float_round_mode_32 0
		.amdhsa_float_round_mode_16_64 0
		.amdhsa_float_denorm_mode_32 3
		.amdhsa_float_denorm_mode_16_64 3
		.amdhsa_dx10_clamp 1
		.amdhsa_ieee_mode 1
		.amdhsa_fp16_overflow 0
		.amdhsa_exception_fp_ieee_invalid_op 0
		.amdhsa_exception_fp_denorm_src 0
		.amdhsa_exception_fp_ieee_div_zero 0
		.amdhsa_exception_fp_ieee_overflow 0
		.amdhsa_exception_fp_ieee_underflow 0
		.amdhsa_exception_fp_ieee_inexact 0
		.amdhsa_exception_int_div_zero 0
	.end_amdhsa_kernel
	.section	.text._ZL40rocblas_trsm_block_backward_substitutionIffPKfPfLb1ELb1ELb0EEv18rocblas_operation_llT0_T1_lllT2_lllib,"axG",@progbits,_ZL40rocblas_trsm_block_backward_substitutionIffPKfPfLb1ELb1ELb0EEv18rocblas_operation_llT0_T1_lllT2_lllib,comdat
.Lfunc_end55:
	.size	_ZL40rocblas_trsm_block_backward_substitutionIffPKfPfLb1ELb1ELb0EEv18rocblas_operation_llT0_T1_lllT2_lllib, .Lfunc_end55-_ZL40rocblas_trsm_block_backward_substitutionIffPKfPfLb1ELb1ELb0EEv18rocblas_operation_llT0_T1_lllT2_lllib
                                        ; -- End function
	.set _ZL40rocblas_trsm_block_backward_substitutionIffPKfPfLb1ELb1ELb0EEv18rocblas_operation_llT0_T1_lllT2_lllib.num_vgpr, 16
	.set _ZL40rocblas_trsm_block_backward_substitutionIffPKfPfLb1ELb1ELb0EEv18rocblas_operation_llT0_T1_lllT2_lllib.num_agpr, 0
	.set _ZL40rocblas_trsm_block_backward_substitutionIffPKfPfLb1ELb1ELb0EEv18rocblas_operation_llT0_T1_lllT2_lllib.numbered_sgpr, 44
	.set _ZL40rocblas_trsm_block_backward_substitutionIffPKfPfLb1ELb1ELb0EEv18rocblas_operation_llT0_T1_lllT2_lllib.num_named_barrier, 0
	.set _ZL40rocblas_trsm_block_backward_substitutionIffPKfPfLb1ELb1ELb0EEv18rocblas_operation_llT0_T1_lllT2_lllib.private_seg_size, 0
	.set _ZL40rocblas_trsm_block_backward_substitutionIffPKfPfLb1ELb1ELb0EEv18rocblas_operation_llT0_T1_lllT2_lllib.uses_vcc, 1
	.set _ZL40rocblas_trsm_block_backward_substitutionIffPKfPfLb1ELb1ELb0EEv18rocblas_operation_llT0_T1_lllT2_lllib.uses_flat_scratch, 0
	.set _ZL40rocblas_trsm_block_backward_substitutionIffPKfPfLb1ELb1ELb0EEv18rocblas_operation_llT0_T1_lllT2_lllib.has_dyn_sized_stack, 0
	.set _ZL40rocblas_trsm_block_backward_substitutionIffPKfPfLb1ELb1ELb0EEv18rocblas_operation_llT0_T1_lllT2_lllib.has_recursion, 0
	.set _ZL40rocblas_trsm_block_backward_substitutionIffPKfPfLb1ELb1ELb0EEv18rocblas_operation_llT0_T1_lllT2_lllib.has_indirect_call, 0
	.section	.AMDGPU.csdata,"",@progbits
; Kernel info:
; codeLenInByte = 1352
; TotalNumSgprs: 48
; NumVgprs: 16
; ScratchSize: 0
; MemoryBound: 0
; FloatMode: 240
; IeeeMode: 1
; LDSByteSize: 0 bytes/workgroup (compile time only)
; SGPRBlocks: 5
; VGPRBlocks: 3
; NumSGPRsForWavesPerEU: 48
; NumVGPRsForWavesPerEU: 16
; Occupancy: 10
; WaveLimiterHint : 1
; COMPUTE_PGM_RSRC2:SCRATCH_EN: 0
; COMPUTE_PGM_RSRC2:USER_SGPR: 6
; COMPUTE_PGM_RSRC2:TRAP_HANDLER: 0
; COMPUTE_PGM_RSRC2:TGID_X_EN: 1
; COMPUTE_PGM_RSRC2:TGID_Y_EN: 1
; COMPUTE_PGM_RSRC2:TGID_Z_EN: 1
; COMPUTE_PGM_RSRC2:TIDIG_COMP_CNT: 1
	.section	.text._ZL39rocblas_trsm_block_forward_substitutionIffPKfPfLb1ELb1ELb1EEv18rocblas_operation_llT0_T1_lllT2_lllib,"axG",@progbits,_ZL39rocblas_trsm_block_forward_substitutionIffPKfPfLb1ELb1ELb1EEv18rocblas_operation_llT0_T1_lllT2_lllib,comdat
	.globl	_ZL39rocblas_trsm_block_forward_substitutionIffPKfPfLb1ELb1ELb1EEv18rocblas_operation_llT0_T1_lllT2_lllib ; -- Begin function _ZL39rocblas_trsm_block_forward_substitutionIffPKfPfLb1ELb1ELb1EEv18rocblas_operation_llT0_T1_lllT2_lllib
	.p2align	8
	.type	_ZL39rocblas_trsm_block_forward_substitutionIffPKfPfLb1ELb1ELb1EEv18rocblas_operation_llT0_T1_lllT2_lllib,@function
_ZL39rocblas_trsm_block_forward_substitutionIffPKfPfLb1ELb1ELb1EEv18rocblas_operation_llT0_T1_lllT2_lllib: ; @_ZL39rocblas_trsm_block_forward_substitutionIffPKfPfLb1ELb1ELb1EEv18rocblas_operation_llT0_T1_lllT2_lllib
; %bb.0:
	s_load_dwordx16 s[12:27], s[4:5], 0x20
	s_load_dwordx4 s[28:31], s[4:5], 0x8
	s_load_dword s9, s[4:5], 0x64
	s_load_dword s6, s[4:5], 0x74
	v_mov_b32_e32 v2, v1
	s_waitcnt lgkmcnt(0)
	s_mul_i32 s0, s19, s8
	s_mul_hi_u32 s1, s18, s8
	s_add_i32 s1, s1, s0
	s_mul_i32 s0, s18, s8
	s_lshl_b64 s[0:1], s[0:1], 2
	s_add_u32 s2, s12, s0
	s_addc_u32 s3, s13, s1
	s_lshl_b64 s[0:1], s[14:15], 2
	s_add_u32 s10, s2, s0
	s_addc_u32 s11, s3, s1
	s_add_u32 s12, s4, 0x68
	s_addc_u32 s13, s5, 0
	s_lshr_b32 s6, s6, 16
	s_bitcmp0_b32 s9, 0
	s_mov_b64 s[0:1], 1
	s_cbranch_scc1 .LBB56_6
; %bb.1:
	s_lshl_b32 s0, s6, 2
	s_add_i32 s14, s0, 0
	v_cmp_lt_i64_e64 s[0:1], s[28:29], 1
	s_mov_b64 s[2:3], 1
	s_and_b64 vcc, exec, s[0:1]
	s_cbranch_vccnz .LBB56_7
; %bb.2:
	v_mad_u64_u32 v[3:4], s[0:1], s16, v0, 0
	v_lshl_add_u32 v5, v0, 2, s14
	s_mov_b32 s9, 0
	v_mov_b32_e32 v1, v4
	v_mad_u64_u32 v[6:7], s[0:1], s17, v0, v[1:2]
	v_mov_b32_e32 v1, 0
	v_mov_b32_e32 v7, s11
	;; [unrolled: 1-line block ×3, first 2 shown]
	v_lshlrev_b64 v[3:4], 2, v[3:4]
	v_cmp_gt_u64_e64 s[0:1], s[28:29], v[0:1]
	v_add_co_u32_e32 v1, vcc, s10, v3
	v_addc_co_u32_e32 v6, vcc, v7, v4, vcc
	s_branch .LBB56_4
.LBB56_3:                               ;   in Loop: Header=BB56_4 Depth=1
	s_or_b64 exec, exec, s[10:11]
	s_add_i32 s9, s9, s6
	s_ashr_i32 s10, s9, 31
	v_mov_b32_e32 v3, s9
	v_mov_b32_e32 v4, s10
	v_cmp_le_i64_e32 vcc, s[28:29], v[3:4]
	s_cbranch_vccnz .LBB56_7
.LBB56_4:                               ; =>This Inner Loop Header: Depth=1
	v_add_u32_e32 v3, s9, v2
	v_cmp_gt_i32_e32 vcc, v0, v3
	s_and_b64 s[16:17], s[0:1], vcc
	s_and_saveexec_b64 s[10:11], s[16:17]
	s_cbranch_execz .LBB56_3
; %bb.5:                                ;   in Loop: Header=BB56_4 Depth=1
	v_ashrrev_i32_e32 v4, 31, v3
	v_lshlrev_b64 v[7:8], 2, v[3:4]
	s_load_dword s15, s[12:13], 0xc
	v_add_co_u32_e32 v7, vcc, v1, v7
	v_addc_co_u32_e32 v8, vcc, v6, v8, vcc
	global_load_dword v4, v[7:8], off
	s_waitcnt lgkmcnt(0)
	s_and_b32 s15, s15, 0xffff
	v_mul_lo_u32 v3, v3, s15
	v_lshl_add_u32 v3, v3, 2, v5
	s_waitcnt vmcnt(0)
	ds_write_b32 v3, v4
	s_branch .LBB56_3
.LBB56_6:
	s_mov_b64 s[2:3], s[16:17]
	s_branch .LBB56_8
.LBB56_7:
	s_mov_b64 s[0:1], src_shared_base
	s_load_dword s0, s[12:13], 0xc
	s_mov_b32 s15, s1
	s_mov_b64 s[10:11], s[14:15]
	s_waitcnt lgkmcnt(0)
	s_and_b32 s0, s0, 0xffff
.LBB56_8:
	s_mul_i32 s7, s7, s6
	v_add_u32_e32 v3, s7, v2
	v_mov_b32_e32 v4, 0
	v_cmp_gt_i64_e32 vcc, s[30:31], v[3:4]
	s_and_saveexec_b64 s[6:7], vcc
	s_cbranch_execz .LBB56_18
; %bb.9:
	v_mov_b32_e32 v1, v4
	v_cmp_gt_i64_e32 vcc, s[28:29], v[0:1]
	s_and_b64 exec, exec, vcc
	s_cbranch_execz .LBB56_18
; %bb.10:
	s_mul_i32 s1, s27, s8
	s_mul_hi_u32 s6, s26, s8
	s_add_i32 s7, s6, s1
	s_mul_i32 s6, s26, s8
	v_mad_u64_u32 v[5:6], s[8:9], s24, v0, 0
	s_lshl_b64 s[6:7], s[6:7], 2
	s_add_u32 s1, s20, s6
	s_addc_u32 s8, s21, s7
	v_mad_u64_u32 v[6:7], s[6:7], s25, v0, v[6:7]
	s_lshl_b64 s[6:7], s[22:23], 2
	s_add_u32 s1, s1, s6
	v_lshlrev_b64 v[5:6], 2, v[5:6]
	s_addc_u32 s6, s8, s7
	v_mov_b32_e32 v7, s6
	v_add_co_u32_e32 v5, vcc, s1, v5
	v_lshlrev_b64 v[3:4], 2, v[3:4]
	v_addc_co_u32_e32 v6, vcc, v7, v6, vcc
	v_add_co_u32_e32 v3, vcc, v5, v3
	v_addc_co_u32_e32 v4, vcc, v6, v4, vcc
	global_load_dword v5, v[3:4], off
	s_load_dword s1, s[4:5], 0x18
	v_cmp_lt_u64_e64 s[4:5], s[28:29], 2
	s_and_b64 vcc, exec, s[4:5]
	s_waitcnt vmcnt(0) lgkmcnt(0)
	v_mul_f32_e32 v7, s1, v5
	s_cbranch_vccnz .LBB56_17
; %bb.11:
	v_mad_u64_u32 v[5:6], s[4:5], s2, v0, 0
	v_lshl_add_u32 v2, v2, 2, 0
	v_mad_u64_u32 v[8:9], s[2:3], s3, v0, v[6:7]
	v_mov_b32_e32 v9, s11
	s_add_u32 s2, s28, -1
	v_mov_b32_e32 v6, v8
	v_lshlrev_b64 v[5:6], 2, v[5:6]
	s_addc_u32 s3, s29, -1
	v_add_co_u32_e32 v5, vcc, s10, v5
	v_addc_co_u32_e32 v6, vcc, v9, v6, vcc
	s_lshl_b32 s6, s0, 2
	s_mov_b64 s[0:1], 0
	s_branch .LBB56_13
.LBB56_12:                              ;   in Loop: Header=BB56_13 Depth=1
	s_or_b64 exec, exec, s[4:5]
	s_add_u32 s0, s0, 1
	s_addc_u32 s1, s1, 0
	v_add_co_u32_e32 v5, vcc, s6, v5
	s_cmp_eq_u64 s[2:3], s[0:1]
	v_addc_co_u32_e32 v6, vcc, 0, v6, vcc
	s_cbranch_scc1 .LBB56_17
.LBB56_13:                              ; =>This Inner Loop Header: Depth=1
	v_cmp_eq_u64_e32 vcc, s[0:1], v[0:1]
	s_barrier
	s_and_saveexec_b64 s[4:5], vcc
; %bb.14:                               ;   in Loop: Header=BB56_13 Depth=1
	ds_write_b32 v2, v7
; %bb.15:                               ;   in Loop: Header=BB56_13 Depth=1
	s_or_b64 exec, exec, s[4:5]
	v_cmp_lt_u64_e32 vcc, s[0:1], v[0:1]
	s_waitcnt lgkmcnt(0)
	s_barrier
	s_and_saveexec_b64 s[4:5], vcc
	s_cbranch_execz .LBB56_12
; %bb.16:                               ;   in Loop: Header=BB56_13 Depth=1
	flat_load_dword v8, v[5:6]
	ds_read_b32 v9, v2
	s_waitcnt vmcnt(0) lgkmcnt(0)
	v_fma_f32 v7, -v8, v9, v7
	s_branch .LBB56_12
.LBB56_17:
	global_store_dword v[3:4], v7, off
.LBB56_18:
	s_endpgm
	.section	.rodata,"a",@progbits
	.p2align	6, 0x0
	.amdhsa_kernel _ZL39rocblas_trsm_block_forward_substitutionIffPKfPfLb1ELb1ELb1EEv18rocblas_operation_llT0_T1_lllT2_lllib
		.amdhsa_group_segment_fixed_size 0
		.amdhsa_private_segment_fixed_size 0
		.amdhsa_kernarg_size 360
		.amdhsa_user_sgpr_count 6
		.amdhsa_user_sgpr_private_segment_buffer 1
		.amdhsa_user_sgpr_dispatch_ptr 0
		.amdhsa_user_sgpr_queue_ptr 0
		.amdhsa_user_sgpr_kernarg_segment_ptr 1
		.amdhsa_user_sgpr_dispatch_id 0
		.amdhsa_user_sgpr_flat_scratch_init 0
		.amdhsa_user_sgpr_private_segment_size 0
		.amdhsa_uses_dynamic_stack 0
		.amdhsa_system_sgpr_private_segment_wavefront_offset 0
		.amdhsa_system_sgpr_workgroup_id_x 1
		.amdhsa_system_sgpr_workgroup_id_y 1
		.amdhsa_system_sgpr_workgroup_id_z 1
		.amdhsa_system_sgpr_workgroup_info 0
		.amdhsa_system_vgpr_workitem_id 1
		.amdhsa_next_free_vgpr 10
		.amdhsa_next_free_sgpr 32
		.amdhsa_reserve_vcc 1
		.amdhsa_reserve_flat_scratch 0
		.amdhsa_float_round_mode_32 0
		.amdhsa_float_round_mode_16_64 0
		.amdhsa_float_denorm_mode_32 3
		.amdhsa_float_denorm_mode_16_64 3
		.amdhsa_dx10_clamp 1
		.amdhsa_ieee_mode 1
		.amdhsa_fp16_overflow 0
		.amdhsa_exception_fp_ieee_invalid_op 0
		.amdhsa_exception_fp_denorm_src 0
		.amdhsa_exception_fp_ieee_div_zero 0
		.amdhsa_exception_fp_ieee_overflow 0
		.amdhsa_exception_fp_ieee_underflow 0
		.amdhsa_exception_fp_ieee_inexact 0
		.amdhsa_exception_int_div_zero 0
	.end_amdhsa_kernel
	.section	.text._ZL39rocblas_trsm_block_forward_substitutionIffPKfPfLb1ELb1ELb1EEv18rocblas_operation_llT0_T1_lllT2_lllib,"axG",@progbits,_ZL39rocblas_trsm_block_forward_substitutionIffPKfPfLb1ELb1ELb1EEv18rocblas_operation_llT0_T1_lllT2_lllib,comdat
.Lfunc_end56:
	.size	_ZL39rocblas_trsm_block_forward_substitutionIffPKfPfLb1ELb1ELb1EEv18rocblas_operation_llT0_T1_lllT2_lllib, .Lfunc_end56-_ZL39rocblas_trsm_block_forward_substitutionIffPKfPfLb1ELb1ELb1EEv18rocblas_operation_llT0_T1_lllT2_lllib
                                        ; -- End function
	.set _ZL39rocblas_trsm_block_forward_substitutionIffPKfPfLb1ELb1ELb1EEv18rocblas_operation_llT0_T1_lllT2_lllib.num_vgpr, 10
	.set _ZL39rocblas_trsm_block_forward_substitutionIffPKfPfLb1ELb1ELb1EEv18rocblas_operation_llT0_T1_lllT2_lllib.num_agpr, 0
	.set _ZL39rocblas_trsm_block_forward_substitutionIffPKfPfLb1ELb1ELb1EEv18rocblas_operation_llT0_T1_lllT2_lllib.numbered_sgpr, 32
	.set _ZL39rocblas_trsm_block_forward_substitutionIffPKfPfLb1ELb1ELb1EEv18rocblas_operation_llT0_T1_lllT2_lllib.num_named_barrier, 0
	.set _ZL39rocblas_trsm_block_forward_substitutionIffPKfPfLb1ELb1ELb1EEv18rocblas_operation_llT0_T1_lllT2_lllib.private_seg_size, 0
	.set _ZL39rocblas_trsm_block_forward_substitutionIffPKfPfLb1ELb1ELb1EEv18rocblas_operation_llT0_T1_lllT2_lllib.uses_vcc, 1
	.set _ZL39rocblas_trsm_block_forward_substitutionIffPKfPfLb1ELb1ELb1EEv18rocblas_operation_llT0_T1_lllT2_lllib.uses_flat_scratch, 0
	.set _ZL39rocblas_trsm_block_forward_substitutionIffPKfPfLb1ELb1ELb1EEv18rocblas_operation_llT0_T1_lllT2_lllib.has_dyn_sized_stack, 0
	.set _ZL39rocblas_trsm_block_forward_substitutionIffPKfPfLb1ELb1ELb1EEv18rocblas_operation_llT0_T1_lllT2_lllib.has_recursion, 0
	.set _ZL39rocblas_trsm_block_forward_substitutionIffPKfPfLb1ELb1ELb1EEv18rocblas_operation_llT0_T1_lllT2_lllib.has_indirect_call, 0
	.section	.AMDGPU.csdata,"",@progbits
; Kernel info:
; codeLenInByte = 732
; TotalNumSgprs: 36
; NumVgprs: 10
; ScratchSize: 0
; MemoryBound: 0
; FloatMode: 240
; IeeeMode: 1
; LDSByteSize: 0 bytes/workgroup (compile time only)
; SGPRBlocks: 4
; VGPRBlocks: 2
; NumSGPRsForWavesPerEU: 36
; NumVGPRsForWavesPerEU: 10
; Occupancy: 10
; WaveLimiterHint : 1
; COMPUTE_PGM_RSRC2:SCRATCH_EN: 0
; COMPUTE_PGM_RSRC2:USER_SGPR: 6
; COMPUTE_PGM_RSRC2:TRAP_HANDLER: 0
; COMPUTE_PGM_RSRC2:TGID_X_EN: 1
; COMPUTE_PGM_RSRC2:TGID_Y_EN: 1
; COMPUTE_PGM_RSRC2:TGID_Z_EN: 1
; COMPUTE_PGM_RSRC2:TIDIG_COMP_CNT: 1
	.section	.text._ZL40rocblas_trsm_block_backward_substitutionIffPKfPfLb1ELb1ELb1EEv18rocblas_operation_llT0_T1_lllT2_lllib,"axG",@progbits,_ZL40rocblas_trsm_block_backward_substitutionIffPKfPfLb1ELb1ELb1EEv18rocblas_operation_llT0_T1_lllT2_lllib,comdat
	.globl	_ZL40rocblas_trsm_block_backward_substitutionIffPKfPfLb1ELb1ELb1EEv18rocblas_operation_llT0_T1_lllT2_lllib ; -- Begin function _ZL40rocblas_trsm_block_backward_substitutionIffPKfPfLb1ELb1ELb1EEv18rocblas_operation_llT0_T1_lllT2_lllib
	.p2align	8
	.type	_ZL40rocblas_trsm_block_backward_substitutionIffPKfPfLb1ELb1ELb1EEv18rocblas_operation_llT0_T1_lllT2_lllib,@function
_ZL40rocblas_trsm_block_backward_substitutionIffPKfPfLb1ELb1ELb1EEv18rocblas_operation_llT0_T1_lllT2_lllib: ; @_ZL40rocblas_trsm_block_backward_substitutionIffPKfPfLb1ELb1ELb1EEv18rocblas_operation_llT0_T1_lllT2_lllib
; %bb.0:
	s_load_dwordx16 s[12:27], s[4:5], 0x20
	s_load_dwordx4 s[28:31], s[4:5], 0x8
	s_load_dword s9, s[4:5], 0x64
	s_load_dword s6, s[4:5], 0x74
	v_mov_b32_e32 v2, v1
	s_waitcnt lgkmcnt(0)
	s_mul_i32 s0, s19, s8
	s_mul_hi_u32 s1, s18, s8
	s_add_i32 s1, s1, s0
	s_mul_i32 s0, s18, s8
	s_lshl_b64 s[0:1], s[0:1], 2
	s_add_u32 s2, s12, s0
	s_addc_u32 s3, s13, s1
	s_lshl_b64 s[0:1], s[14:15], 2
	s_add_u32 s2, s2, s0
	s_addc_u32 s3, s3, s1
	s_add_u32 s10, s4, 0x68
	s_addc_u32 s11, s5, 0
	s_lshr_b32 s6, s6, 16
	s_bitcmp0_b32 s9, 0
	s_cbranch_scc1 .LBB57_7
; %bb.1:
	v_cmp_lt_i64_e64 s[0:1], s[28:29], 1
	s_lshl_b32 s9, s6, 2
	s_add_i32 s12, s9, 0
	s_and_b64 vcc, exec, s[0:1]
	s_cbranch_vccnz .LBB57_6
; %bb.2:
	v_lshlrev_b32_e32 v3, 2, v0
	v_mov_b32_e32 v1, 0
	v_cmp_gt_u64_e64 s[0:1], s[28:29], v[0:1]
	v_mov_b32_e32 v4, s3
	v_add_co_u32_e32 v1, vcc, s2, v3
	v_add_u32_e32 v5, s12, v3
	v_addc_co_u32_e32 v6, vcc, 0, v4, vcc
	s_mov_b32 s9, 0
	s_branch .LBB57_4
.LBB57_3:                               ;   in Loop: Header=BB57_4 Depth=1
	s_or_b64 exec, exec, s[2:3]
	s_add_i32 s9, s9, s6
	s_ashr_i32 s2, s9, 31
	v_mov_b32_e32 v3, s9
	v_mov_b32_e32 v4, s2
	v_cmp_le_i64_e32 vcc, s[28:29], v[3:4]
	s_cbranch_vccnz .LBB57_6
.LBB57_4:                               ; =>This Inner Loop Header: Depth=1
	v_add_u32_e32 v3, s9, v2
	v_ashrrev_i32_e32 v4, 31, v3
	v_cmp_gt_i64_e32 vcc, s[28:29], v[3:4]
	v_cmp_lt_i32_e64 s[2:3], v0, v3
	s_and_b64 s[2:3], s[2:3], vcc
	s_and_b64 s[14:15], s[0:1], s[2:3]
	s_and_saveexec_b64 s[2:3], s[14:15]
	s_cbranch_execz .LBB57_3
; %bb.5:                                ;   in Loop: Header=BB57_4 Depth=1
	v_mul_lo_u32 v9, s17, v3
	v_mul_lo_u32 v4, s16, v4
	v_mad_u64_u32 v[7:8], s[14:15], s16, v3, 0
	s_load_dword s13, s[10:11], 0xc
	v_add3_u32 v8, v8, v4, v9
	v_lshlrev_b64 v[7:8], 2, v[7:8]
	v_add_co_u32_e32 v7, vcc, v1, v7
	v_addc_co_u32_e32 v8, vcc, v6, v8, vcc
	global_load_dword v4, v[7:8], off
	s_waitcnt lgkmcnt(0)
	s_and_b32 s13, s13, 0xffff
	v_mul_lo_u32 v3, v3, s13
	v_lshl_add_u32 v3, v3, 2, v5
	s_waitcnt vmcnt(0)
	ds_write_b32 v3, v4
	s_branch .LBB57_3
.LBB57_6:
	s_mov_b64 s[0:1], src_shared_base
	s_load_dword s0, s[10:11], 0xc
	s_mov_b32 s13, s1
	s_mov_b32 s17, 0
	s_mov_b64 s[2:3], s[12:13]
	s_waitcnt lgkmcnt(0)
	s_and_b32 s16, s0, 0xffff
.LBB57_7:
	s_mul_i32 s7, s7, s6
	v_add_u32_e32 v3, s7, v2
	v_mov_b32_e32 v4, 0
	v_cmp_gt_i64_e32 vcc, s[30:31], v[3:4]
	s_and_saveexec_b64 s[0:1], vcc
	s_cbranch_execz .LBB57_18
; %bb.8:
	v_mov_b32_e32 v1, v4
	v_cmp_gt_i64_e32 vcc, s[28:29], v[0:1]
	s_and_b64 exec, exec, vcc
	s_cbranch_execz .LBB57_18
; %bb.9:
	s_mul_i32 s0, s27, s8
	s_mul_hi_u32 s1, s26, s8
	v_mad_u64_u32 v[4:5], s[6:7], s24, v3, 0
	s_add_i32 s1, s1, s0
	s_mul_i32 s0, s26, s8
	s_lshl_b64 s[0:1], s[0:1], 2
	s_add_u32 s6, s20, s0
	s_addc_u32 s7, s21, s1
	v_mad_u64_u32 v[5:6], s[0:1], s25, v3, v[5:6]
	s_lshl_b64 s[0:1], s[22:23], 2
	s_add_u32 s0, s6, s0
	v_lshlrev_b64 v[3:4], 2, v[4:5]
	s_addc_u32 s1, s7, s1
	v_mov_b32_e32 v5, s1
	v_add_co_u32_e32 v3, vcc, s0, v3
	v_addc_co_u32_e32 v4, vcc, v5, v4, vcc
	v_lshlrev_b32_e32 v5, 2, v0
	v_add_co_u32_e32 v3, vcc, v3, v5
	v_addc_co_u32_e32 v4, vcc, 0, v4, vcc
	global_load_dword v6, v[3:4], off
	s_load_dword s4, s[4:5], 0x18
	v_cmp_lt_u64_e64 s[0:1], s[28:29], 2
	s_and_b64 vcc, exec, s[0:1]
	s_waitcnt vmcnt(0) lgkmcnt(0)
	v_mul_f32_e32 v7, s4, v6
	s_cbranch_vccnz .LBB57_17
; %bb.10:
	s_add_u32 s0, s28, -1
	s_addc_u32 s1, s29, -1
	s_mul_i32 s4, s16, s1
	s_mul_hi_u32 s5, s16, s0
	s_add_i32 s4, s5, s4
	s_mul_i32 s5, s17, s0
	s_add_i32 s5, s4, s5
	s_mul_i32 s4, s16, s0
	s_lshl_b64 s[4:5], s[4:5], 2
	s_add_u32 s2, s2, s4
	s_addc_u32 s3, s3, s5
	v_mov_b32_e32 v6, s3
	v_add_co_u32_e32 v5, vcc, s2, v5
	s_lshl_b64 s[2:3], s[16:17], 2
	s_sub_u32 s4, 0, s2
	s_subb_u32 s2, 0, s3
	v_lshl_add_u32 v2, v2, 2, 0
	v_addc_co_u32_e32 v6, vcc, 0, v6, vcc
	v_mov_b32_e32 v8, s2
.LBB57_11:                              ; =>This Inner Loop Header: Depth=1
	v_cmp_eq_u64_e32 vcc, s[0:1], v[0:1]
	s_barrier
	s_and_saveexec_b64 s[2:3], vcc
; %bb.12:                               ;   in Loop: Header=BB57_11 Depth=1
	ds_write_b32 v2, v7
; %bb.13:                               ;   in Loop: Header=BB57_11 Depth=1
	s_or_b64 exec, exec, s[2:3]
	v_cmp_gt_i64_e32 vcc, s[0:1], v[0:1]
	s_waitcnt lgkmcnt(0)
	s_barrier
	s_and_saveexec_b64 s[2:3], vcc
	s_cbranch_execz .LBB57_15
; %bb.14:                               ;   in Loop: Header=BB57_11 Depth=1
	flat_load_dword v9, v[5:6]
	ds_read_b32 v10, v2
	s_waitcnt vmcnt(0) lgkmcnt(0)
	v_fma_f32 v7, -v9, v10, v7
.LBB57_15:                              ;   in Loop: Header=BB57_11 Depth=1
	s_or_b64 exec, exec, s[2:3]
	s_add_u32 s2, s0, -1
	s_addc_u32 s3, s1, -1
	s_add_u32 s0, s0, 1
	s_addc_u32 s1, s1, 0
	v_cmp_lt_u64_e64 s[0:1], s[0:1], 3
	v_add_co_u32_e32 v5, vcc, s4, v5
	v_addc_co_u32_e32 v6, vcc, v6, v8, vcc
	s_and_b64 vcc, exec, s[0:1]
	s_cbranch_vccnz .LBB57_17
; %bb.16:                               ;   in Loop: Header=BB57_11 Depth=1
	s_mov_b64 s[0:1], s[2:3]
	s_branch .LBB57_11
.LBB57_17:
	global_store_dword v[3:4], v7, off
.LBB57_18:
	s_endpgm
	.section	.rodata,"a",@progbits
	.p2align	6, 0x0
	.amdhsa_kernel _ZL40rocblas_trsm_block_backward_substitutionIffPKfPfLb1ELb1ELb1EEv18rocblas_operation_llT0_T1_lllT2_lllib
		.amdhsa_group_segment_fixed_size 0
		.amdhsa_private_segment_fixed_size 0
		.amdhsa_kernarg_size 360
		.amdhsa_user_sgpr_count 6
		.amdhsa_user_sgpr_private_segment_buffer 1
		.amdhsa_user_sgpr_dispatch_ptr 0
		.amdhsa_user_sgpr_queue_ptr 0
		.amdhsa_user_sgpr_kernarg_segment_ptr 1
		.amdhsa_user_sgpr_dispatch_id 0
		.amdhsa_user_sgpr_flat_scratch_init 0
		.amdhsa_user_sgpr_private_segment_size 0
		.amdhsa_uses_dynamic_stack 0
		.amdhsa_system_sgpr_private_segment_wavefront_offset 0
		.amdhsa_system_sgpr_workgroup_id_x 1
		.amdhsa_system_sgpr_workgroup_id_y 1
		.amdhsa_system_sgpr_workgroup_id_z 1
		.amdhsa_system_sgpr_workgroup_info 0
		.amdhsa_system_vgpr_workitem_id 1
		.amdhsa_next_free_vgpr 11
		.amdhsa_next_free_sgpr 32
		.amdhsa_reserve_vcc 1
		.amdhsa_reserve_flat_scratch 0
		.amdhsa_float_round_mode_32 0
		.amdhsa_float_round_mode_16_64 0
		.amdhsa_float_denorm_mode_32 3
		.amdhsa_float_denorm_mode_16_64 3
		.amdhsa_dx10_clamp 1
		.amdhsa_ieee_mode 1
		.amdhsa_fp16_overflow 0
		.amdhsa_exception_fp_ieee_invalid_op 0
		.amdhsa_exception_fp_denorm_src 0
		.amdhsa_exception_fp_ieee_div_zero 0
		.amdhsa_exception_fp_ieee_overflow 0
		.amdhsa_exception_fp_ieee_underflow 0
		.amdhsa_exception_fp_ieee_inexact 0
		.amdhsa_exception_int_div_zero 0
	.end_amdhsa_kernel
	.section	.text._ZL40rocblas_trsm_block_backward_substitutionIffPKfPfLb1ELb1ELb1EEv18rocblas_operation_llT0_T1_lllT2_lllib,"axG",@progbits,_ZL40rocblas_trsm_block_backward_substitutionIffPKfPfLb1ELb1ELb1EEv18rocblas_operation_llT0_T1_lllT2_lllib,comdat
.Lfunc_end57:
	.size	_ZL40rocblas_trsm_block_backward_substitutionIffPKfPfLb1ELb1ELb1EEv18rocblas_operation_llT0_T1_lllT2_lllib, .Lfunc_end57-_ZL40rocblas_trsm_block_backward_substitutionIffPKfPfLb1ELb1ELb1EEv18rocblas_operation_llT0_T1_lllT2_lllib
                                        ; -- End function
	.set _ZL40rocblas_trsm_block_backward_substitutionIffPKfPfLb1ELb1ELb1EEv18rocblas_operation_llT0_T1_lllT2_lllib.num_vgpr, 11
	.set _ZL40rocblas_trsm_block_backward_substitutionIffPKfPfLb1ELb1ELb1EEv18rocblas_operation_llT0_T1_lllT2_lllib.num_agpr, 0
	.set _ZL40rocblas_trsm_block_backward_substitutionIffPKfPfLb1ELb1ELb1EEv18rocblas_operation_llT0_T1_lllT2_lllib.numbered_sgpr, 32
	.set _ZL40rocblas_trsm_block_backward_substitutionIffPKfPfLb1ELb1ELb1EEv18rocblas_operation_llT0_T1_lllT2_lllib.num_named_barrier, 0
	.set _ZL40rocblas_trsm_block_backward_substitutionIffPKfPfLb1ELb1ELb1EEv18rocblas_operation_llT0_T1_lllT2_lllib.private_seg_size, 0
	.set _ZL40rocblas_trsm_block_backward_substitutionIffPKfPfLb1ELb1ELb1EEv18rocblas_operation_llT0_T1_lllT2_lllib.uses_vcc, 1
	.set _ZL40rocblas_trsm_block_backward_substitutionIffPKfPfLb1ELb1ELb1EEv18rocblas_operation_llT0_T1_lllT2_lllib.uses_flat_scratch, 0
	.set _ZL40rocblas_trsm_block_backward_substitutionIffPKfPfLb1ELb1ELb1EEv18rocblas_operation_llT0_T1_lllT2_lllib.has_dyn_sized_stack, 0
	.set _ZL40rocblas_trsm_block_backward_substitutionIffPKfPfLb1ELb1ELb1EEv18rocblas_operation_llT0_T1_lllT2_lllib.has_recursion, 0
	.set _ZL40rocblas_trsm_block_backward_substitutionIffPKfPfLb1ELb1ELb1EEv18rocblas_operation_llT0_T1_lllT2_lllib.has_indirect_call, 0
	.section	.AMDGPU.csdata,"",@progbits
; Kernel info:
; codeLenInByte = 760
; TotalNumSgprs: 36
; NumVgprs: 11
; ScratchSize: 0
; MemoryBound: 0
; FloatMode: 240
; IeeeMode: 1
; LDSByteSize: 0 bytes/workgroup (compile time only)
; SGPRBlocks: 4
; VGPRBlocks: 2
; NumSGPRsForWavesPerEU: 36
; NumVGPRsForWavesPerEU: 11
; Occupancy: 10
; WaveLimiterHint : 1
; COMPUTE_PGM_RSRC2:SCRATCH_EN: 0
; COMPUTE_PGM_RSRC2:USER_SGPR: 6
; COMPUTE_PGM_RSRC2:TRAP_HANDLER: 0
; COMPUTE_PGM_RSRC2:TGID_X_EN: 1
; COMPUTE_PGM_RSRC2:TGID_Y_EN: 1
; COMPUTE_PGM_RSRC2:TGID_Z_EN: 1
; COMPUTE_PGM_RSRC2:TIDIG_COMP_CNT: 1
	.section	.text._ZL39rocblas_trsm_block_forward_substitutionIffPKfPfLb1ELb0ELb0EEv18rocblas_operation_llT0_T1_lllT2_lllib,"axG",@progbits,_ZL39rocblas_trsm_block_forward_substitutionIffPKfPfLb1ELb0ELb0EEv18rocblas_operation_llT0_T1_lllT2_lllib,comdat
	.globl	_ZL39rocblas_trsm_block_forward_substitutionIffPKfPfLb1ELb0ELb0EEv18rocblas_operation_llT0_T1_lllT2_lllib ; -- Begin function _ZL39rocblas_trsm_block_forward_substitutionIffPKfPfLb1ELb0ELb0EEv18rocblas_operation_llT0_T1_lllT2_lllib
	.p2align	8
	.type	_ZL39rocblas_trsm_block_forward_substitutionIffPKfPfLb1ELb0ELb0EEv18rocblas_operation_llT0_T1_lllT2_lllib,@function
_ZL39rocblas_trsm_block_forward_substitutionIffPKfPfLb1ELb0ELb0EEv18rocblas_operation_llT0_T1_lllT2_lllib: ; @_ZL39rocblas_trsm_block_forward_substitutionIffPKfPfLb1ELb0ELb0EEv18rocblas_operation_llT0_T1_lllT2_lllib
; %bb.0:
	s_load_dword s9, s[4:5], 0x64
	s_load_dwordx16 s[12:27], s[4:5], 0x20
	s_load_dwordx4 s[28:31], s[4:5], 0x8
	s_load_dword s6, s[4:5], 0x74
	v_mov_b32_e32 v2, v1
	s_waitcnt lgkmcnt(0)
	s_bitcmp1_b32 s9, 0
	s_mul_i32 s2, s19, s8
	s_mul_hi_u32 s3, s18, s8
	s_cselect_b64 s[0:1], -1, 0
	s_add_i32 s3, s3, s2
	s_mul_i32 s2, s18, s8
	s_lshl_b64 s[2:3], s[2:3], 2
	s_add_u32 s10, s12, s2
	s_addc_u32 s11, s13, s3
	s_lshl_b64 s[2:3], s[14:15], 2
	s_add_u32 s2, s10, s2
	s_addc_u32 s3, s11, s3
	s_add_u32 s14, s4, 0x68
	s_addc_u32 s15, s5, 0
	s_lshr_b32 s6, s6, 16
	s_bitcmp0_b32 s9, 0
	s_mov_b64 s[12:13], 1
	s_cbranch_scc1 .LBB58_12
; %bb.1:
	v_cmp_lt_i64_e64 s[12:13], s[28:29], 1
	s_lshl_b32 s9, s6, 2
	s_add_i32 s18, s9, 0
	s_mov_b64 s[10:11], 1
	s_and_b64 vcc, exec, s[12:13]
	s_cbranch_vccnz .LBB58_13
; %bb.2:
	v_mad_u64_u32 v[3:4], s[12:13], s16, v0, 0
	v_lshlrev_b32_e32 v6, 2, v0
	v_add_u32_e32 v7, s18, v6
	v_mov_b32_e32 v1, v4
	v_mad_u64_u32 v[4:5], s[12:13], s17, v0, v[1:2]
	v_mov_b32_e32 v1, 0
	v_cmp_le_u64_e32 vcc, s[28:29], v[0:1]
	v_lshlrev_b64 v[3:4], 2, v[3:4]
	v_mov_b32_e32 v5, s3
	v_add_co_u32_e64 v1, s[2:3], s2, v3
	v_addc_co_u32_e64 v8, s[2:3], v5, v4, s[2:3]
	v_add_co_u32_e64 v3, s[2:3], v1, v6
	v_addc_co_u32_e64 v4, s[2:3], 0, v8, s[2:3]
	s_xor_b64 s[2:3], vcc, -1
	s_mov_b32 s9, s6
	v_mov_b32_e32 v5, v2
	s_branch .LBB58_4
.LBB58_3:                               ;   in Loop: Header=BB58_4 Depth=1
	s_or_b64 exec, exec, s[16:17]
	s_ashr_i32 s12, s9, 31
	v_mov_b32_e32 v9, s9
	v_mov_b32_e32 v10, s12
	v_cmp_le_i64_e32 vcc, s[28:29], v[9:10]
	v_add_u32_e32 v5, s6, v5
	s_add_i32 s9, s9, s6
	s_cbranch_vccnz .LBB58_13
.LBB58_4:                               ; =>This Inner Loop Header: Depth=1
	v_cmp_gt_i32_e32 vcc, v0, v5
	s_and_b64 s[16:17], s[2:3], vcc
	s_mov_b64 s[12:13], 0
                                        ; implicit-def: $vgpr6
	s_and_saveexec_b64 s[34:35], s[16:17]
	s_xor_b64 s[16:17], exec, s[34:35]
	s_cbranch_execnz .LBB58_7
; %bb.5:                                ;   in Loop: Header=BB58_4 Depth=1
	s_or_saveexec_b64 s[16:17], s[16:17]
	v_mov_b32_e32 v9, v5
	s_xor_b64 exec, exec, s[16:17]
	s_cbranch_execnz .LBB58_8
.LBB58_6:                               ;   in Loop: Header=BB58_4 Depth=1
	s_or_b64 exec, exec, s[16:17]
	s_and_saveexec_b64 s[16:17], s[12:13]
	s_cbranch_execz .LBB58_3
	s_branch .LBB58_11
.LBB58_7:                               ;   in Loop: Header=BB58_4 Depth=1
	s_waitcnt vmcnt(0)
	v_ashrrev_i32_e32 v6, 31, v5
	v_lshlrev_b64 v[9:10], 2, v[5:6]
	s_mov_b64 s[12:13], exec
	v_add_co_u32_e32 v9, vcc, v1, v9
	v_addc_co_u32_e32 v10, vcc, v8, v10, vcc
	global_load_dword v6, v[9:10], off
	s_or_saveexec_b64 s[16:17], s[16:17]
	v_mov_b32_e32 v9, v5
	s_xor_b64 exec, exec, s[16:17]
	s_cbranch_execz .LBB58_6
.LBB58_8:                               ;   in Loop: Header=BB58_4 Depth=1
	v_cmp_eq_u32_e32 vcc, v0, v5
	s_and_b64 s[38:39], s[2:3], vcc
	s_mov_b64 s[36:37], s[12:13]
                                        ; implicit-def: $vgpr6
	s_and_saveexec_b64 s[34:35], s[38:39]
	s_cbranch_execz .LBB58_10
; %bb.9:                                ;   in Loop: Header=BB58_4 Depth=1
	global_load_dword v6, v[3:4], off
	s_waitcnt vmcnt(0)
	v_div_scale_f32 v9, s[36:37], v6, v6, 1.0
	v_div_scale_f32 v10, vcc, 1.0, v6, 1.0
	s_or_b64 s[36:37], s[12:13], exec
	v_rcp_f32_e32 v11, v9
	v_fma_f32 v12, -v9, v11, 1.0
	v_fmac_f32_e32 v11, v12, v11
	v_mul_f32_e32 v12, v10, v11
	v_fma_f32 v13, -v9, v12, v10
	v_fmac_f32_e32 v12, v13, v11
	v_fma_f32 v9, -v9, v12, v10
	v_div_fmas_f32 v9, v9, v11, v12
	v_div_fixup_f32 v6, v9, v6, 1.0
.LBB58_10:                              ;   in Loop: Header=BB58_4 Depth=1
	s_or_b64 exec, exec, s[34:35]
	s_andn2_b64 s[12:13], s[12:13], exec
	s_and_b64 s[34:35], s[36:37], exec
	s_or_b64 s[12:13], s[12:13], s[34:35]
	v_mov_b32_e32 v9, v0
	s_or_b64 exec, exec, s[16:17]
	s_and_saveexec_b64 s[16:17], s[12:13]
	s_cbranch_execz .LBB58_3
.LBB58_11:                              ;   in Loop: Header=BB58_4 Depth=1
	s_load_dword s12, s[14:15], 0xc
	s_waitcnt lgkmcnt(0)
	s_and_b32 s12, s12, 0xffff
	v_mul_lo_u32 v9, v9, s12
	v_lshl_add_u32 v9, v9, 2, v7
	s_waitcnt vmcnt(0)
	ds_write_b32 v9, v6
	s_branch .LBB58_3
.LBB58_12:
	s_mov_b64 s[10:11], s[16:17]
	s_branch .LBB58_14
.LBB58_13:
	s_mov_b64 s[2:3], src_shared_base
	s_load_dword s2, s[14:15], 0xc
	s_mov_b32 s19, s3
	s_mov_b32 s13, 0
	s_waitcnt lgkmcnt(0)
	s_and_b32 s12, s2, 0xffff
	s_mov_b64 s[2:3], s[18:19]
.LBB58_14:
	s_mul_i32 s7, s7, s6
	v_add_u32_e32 v3, s7, v2
	v_mov_b32_e32 v4, 0
	v_cmp_gt_i64_e32 vcc, s[30:31], v[3:4]
	s_and_saveexec_b64 s[6:7], vcc
	s_cbranch_execz .LBB58_26
; %bb.15:
	v_mov_b32_e32 v1, v4
	v_cmp_gt_i64_e32 vcc, s[28:29], v[0:1]
	s_and_b64 exec, exec, vcc
	s_cbranch_execz .LBB58_26
; %bb.16:
	s_mul_i32 s6, s27, s8
	s_mul_hi_u32 s7, s26, s8
	s_add_i32 s7, s7, s6
	s_mul_i32 s6, s26, s8
	v_mad_u64_u32 v[4:5], s[8:9], s24, v3, 0
	s_lshl_b64 s[6:7], s[6:7], 2
	s_add_u32 s8, s20, s6
	s_addc_u32 s9, s21, s7
	s_waitcnt vmcnt(0)
	v_mad_u64_u32 v[5:6], s[6:7], s25, v3, v[5:6]
	s_lshl_b64 s[6:7], s[22:23], 2
	s_add_u32 s6, s8, s6
	v_lshlrev_b64 v[3:4], 2, v[4:5]
	s_addc_u32 s7, s9, s7
	v_mov_b32_e32 v5, s7
	v_add_co_u32_e32 v3, vcc, s6, v3
	v_addc_co_u32_e32 v4, vcc, v5, v4, vcc
	v_lshlrev_b32_e32 v5, 2, v0
	v_add_co_u32_e32 v3, vcc, v3, v5
	v_addc_co_u32_e32 v4, vcc, 0, v4, vcc
	global_load_dword v5, v[3:4], off
	s_load_dword s8, s[4:5], 0x18
	v_cmp_lt_u64_e64 s[6:7], s[28:29], 2
	s_add_u32 s4, s28, -1
	s_addc_u32 s5, s29, -1
	s_and_b64 vcc, exec, s[6:7]
	s_waitcnt vmcnt(0) lgkmcnt(0)
	v_mul_f32_e32 v9, s8, v5
	s_cbranch_vccnz .LBB58_23
; %bb.17:
	s_add_u32 s6, s12, s10
	v_mad_u64_u32 v[5:6], s[6:7], s6, v0, 0
	s_addc_u32 s6, s13, s11
	v_mov_b32_e32 v12, s3
	v_mad_u64_u32 v[6:7], s[6:7], s6, v0, v[6:7]
	v_mad_u64_u32 v[7:8], s[6:7], s10, v0, 0
	v_lshlrev_b64 v[5:6], 2, v[5:6]
	v_lshl_add_u32 v2, v2, 2, 0
	v_mad_u64_u32 v[10:11], s[6:7], s11, v0, v[8:9]
	v_add_co_u32_e32 v5, vcc, s2, v5
	v_mov_b32_e32 v8, v10
	v_lshlrev_b64 v[7:8], 2, v[7:8]
	v_addc_co_u32_e32 v6, vcc, v12, v6, vcc
	v_add_co_u32_e32 v7, vcc, s2, v7
	v_addc_co_u32_e32 v8, vcc, v12, v8, vcc
	s_lshl_b32 s14, s12, 2
	s_mov_b64 s[6:7], 0
	s_branch .LBB58_19
.LBB58_18:                              ;   in Loop: Header=BB58_19 Depth=1
	s_or_b64 exec, exec, s[8:9]
	s_add_u32 s6, s6, 1
	s_addc_u32 s7, s7, 0
	v_add_co_u32_e32 v7, vcc, s14, v7
	s_cmp_eq_u64 s[4:5], s[6:7]
	v_addc_co_u32_e32 v8, vcc, 0, v8, vcc
	s_cbranch_scc1 .LBB58_23
.LBB58_19:                              ; =>This Inner Loop Header: Depth=1
	v_cmp_eq_u64_e32 vcc, s[6:7], v[0:1]
	s_barrier
	s_and_saveexec_b64 s[8:9], vcc
	s_cbranch_execz .LBB58_21
; %bb.20:                               ;   in Loop: Header=BB58_19 Depth=1
	flat_load_dword v10, v[5:6]
	s_waitcnt vmcnt(0) lgkmcnt(0)
	v_div_scale_f32 v11, s[16:17], v10, v10, 1.0
	v_div_scale_f32 v12, vcc, 1.0, v10, 1.0
	v_rcp_f32_e32 v13, v11
	v_fma_f32 v14, -v11, v13, 1.0
	v_fmac_f32_e32 v13, v14, v13
	v_mul_f32_e32 v14, v12, v13
	v_fma_f32 v15, -v11, v14, v12
	v_fmac_f32_e32 v14, v15, v13
	v_fma_f32 v11, -v11, v14, v12
	v_div_fmas_f32 v11, v11, v13, v14
	v_div_fixup_f32 v11, v11, v10, 1.0
	v_cndmask_b32_e64 v10, v11, v10, s[0:1]
	v_mul_f32_e32 v9, v9, v10
	ds_write_b32 v2, v9
.LBB58_21:                              ;   in Loop: Header=BB58_19 Depth=1
	s_or_b64 exec, exec, s[8:9]
	v_cmp_lt_u64_e32 vcc, s[6:7], v[0:1]
	s_waitcnt lgkmcnt(0)
	s_barrier
	s_and_saveexec_b64 s[8:9], vcc
	s_cbranch_execz .LBB58_18
; %bb.22:                               ;   in Loop: Header=BB58_19 Depth=1
	flat_load_dword v10, v[7:8]
	ds_read_b32 v11, v2
	s_waitcnt vmcnt(0) lgkmcnt(0)
	v_fma_f32 v9, -v10, v11, v9
	s_branch .LBB58_18
.LBB58_23:
	v_cmp_eq_u64_e32 vcc, s[4:5], v[0:1]
	s_and_saveexec_b64 s[4:5], vcc
	s_cbranch_execz .LBB58_25
; %bb.24:
	s_add_u32 s6, s12, s10
	v_mad_u64_u32 v[1:2], s[6:7], s6, v0, 0
	s_addc_u32 s6, s13, s11
	v_mad_u64_u32 v[5:6], s[6:7], s6, v0, v[2:3]
	v_mov_b32_e32 v6, s3
	v_mov_b32_e32 v2, v5
	v_lshlrev_b64 v[0:1], 2, v[1:2]
	v_add_co_u32_e32 v0, vcc, s2, v0
	v_addc_co_u32_e32 v1, vcc, v6, v1, vcc
	flat_load_dword v0, v[0:1]
	s_waitcnt vmcnt(0) lgkmcnt(0)
	v_div_scale_f32 v1, s[2:3], v0, v0, 1.0
	v_div_scale_f32 v2, vcc, 1.0, v0, 1.0
	v_rcp_f32_e32 v5, v1
	v_fma_f32 v6, -v1, v5, 1.0
	v_fmac_f32_e32 v5, v6, v5
	v_mul_f32_e32 v6, v2, v5
	v_fma_f32 v7, -v1, v6, v2
	v_fmac_f32_e32 v6, v7, v5
	v_fma_f32 v1, -v1, v6, v2
	v_div_fmas_f32 v1, v1, v5, v6
	v_div_fixup_f32 v1, v1, v0, 1.0
	v_cndmask_b32_e64 v0, v1, v0, s[0:1]
	v_mul_f32_e32 v9, v9, v0
.LBB58_25:
	s_or_b64 exec, exec, s[4:5]
	global_store_dword v[3:4], v9, off
.LBB58_26:
	s_endpgm
	.section	.rodata,"a",@progbits
	.p2align	6, 0x0
	.amdhsa_kernel _ZL39rocblas_trsm_block_forward_substitutionIffPKfPfLb1ELb0ELb0EEv18rocblas_operation_llT0_T1_lllT2_lllib
		.amdhsa_group_segment_fixed_size 0
		.amdhsa_private_segment_fixed_size 0
		.amdhsa_kernarg_size 360
		.amdhsa_user_sgpr_count 6
		.amdhsa_user_sgpr_private_segment_buffer 1
		.amdhsa_user_sgpr_dispatch_ptr 0
		.amdhsa_user_sgpr_queue_ptr 0
		.amdhsa_user_sgpr_kernarg_segment_ptr 1
		.amdhsa_user_sgpr_dispatch_id 0
		.amdhsa_user_sgpr_flat_scratch_init 0
		.amdhsa_user_sgpr_private_segment_size 0
		.amdhsa_uses_dynamic_stack 0
		.amdhsa_system_sgpr_private_segment_wavefront_offset 0
		.amdhsa_system_sgpr_workgroup_id_x 1
		.amdhsa_system_sgpr_workgroup_id_y 1
		.amdhsa_system_sgpr_workgroup_id_z 1
		.amdhsa_system_sgpr_workgroup_info 0
		.amdhsa_system_vgpr_workitem_id 1
		.amdhsa_next_free_vgpr 16
		.amdhsa_next_free_sgpr 40
		.amdhsa_reserve_vcc 1
		.amdhsa_reserve_flat_scratch 0
		.amdhsa_float_round_mode_32 0
		.amdhsa_float_round_mode_16_64 0
		.amdhsa_float_denorm_mode_32 3
		.amdhsa_float_denorm_mode_16_64 3
		.amdhsa_dx10_clamp 1
		.amdhsa_ieee_mode 1
		.amdhsa_fp16_overflow 0
		.amdhsa_exception_fp_ieee_invalid_op 0
		.amdhsa_exception_fp_denorm_src 0
		.amdhsa_exception_fp_ieee_div_zero 0
		.amdhsa_exception_fp_ieee_overflow 0
		.amdhsa_exception_fp_ieee_underflow 0
		.amdhsa_exception_fp_ieee_inexact 0
		.amdhsa_exception_int_div_zero 0
	.end_amdhsa_kernel
	.section	.text._ZL39rocblas_trsm_block_forward_substitutionIffPKfPfLb1ELb0ELb0EEv18rocblas_operation_llT0_T1_lllT2_lllib,"axG",@progbits,_ZL39rocblas_trsm_block_forward_substitutionIffPKfPfLb1ELb0ELb0EEv18rocblas_operation_llT0_T1_lllT2_lllib,comdat
.Lfunc_end58:
	.size	_ZL39rocblas_trsm_block_forward_substitutionIffPKfPfLb1ELb0ELb0EEv18rocblas_operation_llT0_T1_lllT2_lllib, .Lfunc_end58-_ZL39rocblas_trsm_block_forward_substitutionIffPKfPfLb1ELb0ELb0EEv18rocblas_operation_llT0_T1_lllT2_lllib
                                        ; -- End function
	.set _ZL39rocblas_trsm_block_forward_substitutionIffPKfPfLb1ELb0ELb0EEv18rocblas_operation_llT0_T1_lllT2_lllib.num_vgpr, 16
	.set _ZL39rocblas_trsm_block_forward_substitutionIffPKfPfLb1ELb0ELb0EEv18rocblas_operation_llT0_T1_lllT2_lllib.num_agpr, 0
	.set _ZL39rocblas_trsm_block_forward_substitutionIffPKfPfLb1ELb0ELb0EEv18rocblas_operation_llT0_T1_lllT2_lllib.numbered_sgpr, 40
	.set _ZL39rocblas_trsm_block_forward_substitutionIffPKfPfLb1ELb0ELb0EEv18rocblas_operation_llT0_T1_lllT2_lllib.num_named_barrier, 0
	.set _ZL39rocblas_trsm_block_forward_substitutionIffPKfPfLb1ELb0ELb0EEv18rocblas_operation_llT0_T1_lllT2_lllib.private_seg_size, 0
	.set _ZL39rocblas_trsm_block_forward_substitutionIffPKfPfLb1ELb0ELb0EEv18rocblas_operation_llT0_T1_lllT2_lllib.uses_vcc, 1
	.set _ZL39rocblas_trsm_block_forward_substitutionIffPKfPfLb1ELb0ELb0EEv18rocblas_operation_llT0_T1_lllT2_lllib.uses_flat_scratch, 0
	.set _ZL39rocblas_trsm_block_forward_substitutionIffPKfPfLb1ELb0ELb0EEv18rocblas_operation_llT0_T1_lllT2_lllib.has_dyn_sized_stack, 0
	.set _ZL39rocblas_trsm_block_forward_substitutionIffPKfPfLb1ELb0ELb0EEv18rocblas_operation_llT0_T1_lllT2_lllib.has_recursion, 0
	.set _ZL39rocblas_trsm_block_forward_substitutionIffPKfPfLb1ELb0ELb0EEv18rocblas_operation_llT0_T1_lllT2_lllib.has_indirect_call, 0
	.section	.AMDGPU.csdata,"",@progbits
; Kernel info:
; codeLenInByte = 1272
; TotalNumSgprs: 44
; NumVgprs: 16
; ScratchSize: 0
; MemoryBound: 0
; FloatMode: 240
; IeeeMode: 1
; LDSByteSize: 0 bytes/workgroup (compile time only)
; SGPRBlocks: 5
; VGPRBlocks: 3
; NumSGPRsForWavesPerEU: 44
; NumVGPRsForWavesPerEU: 16
; Occupancy: 10
; WaveLimiterHint : 1
; COMPUTE_PGM_RSRC2:SCRATCH_EN: 0
; COMPUTE_PGM_RSRC2:USER_SGPR: 6
; COMPUTE_PGM_RSRC2:TRAP_HANDLER: 0
; COMPUTE_PGM_RSRC2:TGID_X_EN: 1
; COMPUTE_PGM_RSRC2:TGID_Y_EN: 1
; COMPUTE_PGM_RSRC2:TGID_Z_EN: 1
; COMPUTE_PGM_RSRC2:TIDIG_COMP_CNT: 1
	.section	.text._ZL40rocblas_trsm_block_backward_substitutionIffPKfPfLb1ELb0ELb0EEv18rocblas_operation_llT0_T1_lllT2_lllib,"axG",@progbits,_ZL40rocblas_trsm_block_backward_substitutionIffPKfPfLb1ELb0ELb0EEv18rocblas_operation_llT0_T1_lllT2_lllib,comdat
	.globl	_ZL40rocblas_trsm_block_backward_substitutionIffPKfPfLb1ELb0ELb0EEv18rocblas_operation_llT0_T1_lllT2_lllib ; -- Begin function _ZL40rocblas_trsm_block_backward_substitutionIffPKfPfLb1ELb0ELb0EEv18rocblas_operation_llT0_T1_lllT2_lllib
	.p2align	8
	.type	_ZL40rocblas_trsm_block_backward_substitutionIffPKfPfLb1ELb0ELb0EEv18rocblas_operation_llT0_T1_lllT2_lllib,@function
_ZL40rocblas_trsm_block_backward_substitutionIffPKfPfLb1ELb0ELb0EEv18rocblas_operation_llT0_T1_lllT2_lllib: ; @_ZL40rocblas_trsm_block_backward_substitutionIffPKfPfLb1ELb0ELb0EEv18rocblas_operation_llT0_T1_lllT2_lllib
; %bb.0:
	s_load_dword s9, s[4:5], 0x64
	s_load_dwordx16 s[12:27], s[4:5], 0x20
	s_load_dwordx4 s[28:31], s[4:5], 0x8
	s_load_dword s6, s[4:5], 0x74
	v_mov_b32_e32 v2, v1
	s_waitcnt lgkmcnt(0)
	s_bitcmp1_b32 s9, 0
	s_mul_i32 s2, s19, s8
	s_mul_hi_u32 s3, s18, s8
	s_cselect_b64 s[0:1], -1, 0
	s_add_i32 s3, s3, s2
	s_mul_i32 s2, s18, s8
	s_lshl_b64 s[2:3], s[2:3], 2
	s_add_u32 s10, s12, s2
	s_addc_u32 s11, s13, s3
	s_lshl_b64 s[2:3], s[14:15], 2
	s_add_u32 s10, s10, s2
	s_addc_u32 s11, s11, s3
	s_add_u32 s12, s4, 0x68
	s_addc_u32 s13, s5, 0
	s_lshr_b32 s6, s6, 16
	s_bitcmp0_b32 s9, 0
	s_cbranch_scc1 .LBB59_15
; %bb.1:
	v_cmp_lt_i64_e64 s[2:3], s[28:29], 1
	s_lshl_b32 s9, s6, 2
	s_add_i32 s14, s9, 0
	s_and_b64 vcc, exec, s[2:3]
	s_cbranch_vccnz .LBB59_14
; %bb.2:
	v_mad_u64_u32 v[3:4], s[2:3], s16, v0, 0
	v_mov_b32_e32 v1, 0
	v_cmp_le_u64_e64 s[18:19], s[28:29], v[0:1]
	v_cmp_gt_u64_e64 s[2:3], s[28:29], v[0:1]
	v_mov_b32_e32 v1, v4
	v_mad_u64_u32 v[4:5], s[34:35], s17, v0, v[1:2]
	v_lshlrev_b32_e32 v6, 2, v0
	v_mov_b32_e32 v8, s11
	v_add_co_u32_e32 v1, vcc, s10, v6
	v_lshlrev_b64 v[3:4], 2, v[3:4]
	v_addc_co_u32_e32 v8, vcc, 0, v8, vcc
	v_add_co_u32_e32 v3, vcc, v1, v3
	v_add_u32_e32 v7, s14, v6
	v_addc_co_u32_e32 v4, vcc, v8, v4, vcc
	s_xor_b64 s[34:35], s[18:19], -1
	s_mov_b32 s9, s6
	v_mov_b32_e32 v5, v2
	s_branch .LBB59_4
.LBB59_3:                               ;   in Loop: Header=BB59_4 Depth=1
	s_or_b64 exec, exec, s[36:37]
	s_ashr_i32 s10, s9, 31
	s_waitcnt vmcnt(0)
	v_mov_b32_e32 v9, s9
	v_mov_b32_e32 v10, s10
	v_cmp_le_i64_e32 vcc, s[28:29], v[9:10]
	v_add_u32_e32 v5, s6, v5
	s_add_i32 s9, s9, s6
	s_cbranch_vccnz .LBB59_14
.LBB59_4:                               ; =>This Inner Loop Header: Depth=1
	s_mov_b64 s[10:11], 0
	s_mov_b64 s[38:39], s[18:19]
                                        ; implicit-def: $vgpr9
	s_and_saveexec_b64 s[36:37], s[2:3]
	s_cbranch_execnz .LBB59_7
; %bb.5:                                ;   in Loop: Header=BB59_4 Depth=1
	s_or_b64 exec, exec, s[36:37]
	v_mov_b32_e32 v6, v5
	s_and_saveexec_b64 s[36:37], s[38:39]
	s_cbranch_execnz .LBB59_10
.LBB59_6:                               ;   in Loop: Header=BB59_4 Depth=1
	s_or_b64 exec, exec, s[36:37]
	s_and_saveexec_b64 s[36:37], s[10:11]
	s_cbranch_execz .LBB59_3
	s_branch .LBB59_13
.LBB59_7:                               ;   in Loop: Header=BB59_4 Depth=1
	v_ashrrev_i32_e32 v6, 31, v5
	v_cmp_gt_i64_e32 vcc, s[28:29], v[5:6]
	v_cmp_lt_i32_e64 s[10:11], v0, v5
	s_and_b64 s[42:43], s[10:11], vcc
	s_mov_b64 s[40:41], -1
	s_mov_b64 s[10:11], 0
                                        ; implicit-def: $vgpr9
	s_and_saveexec_b64 s[38:39], s[42:43]
	s_cbranch_execz .LBB59_9
; %bb.8:                                ;   in Loop: Header=BB59_4 Depth=1
	v_mul_lo_u32 v11, s17, v5
	v_mul_lo_u32 v6, s16, v6
	v_mad_u64_u32 v[9:10], s[40:41], s16, v5, 0
	s_mov_b64 s[10:11], exec
	s_xor_b64 s[40:41], exec, -1
	v_add3_u32 v10, v10, v6, v11
	v_lshlrev_b64 v[9:10], 2, v[9:10]
	v_add_co_u32_e32 v9, vcc, v1, v9
	v_addc_co_u32_e32 v10, vcc, v8, v10, vcc
	global_load_dword v9, v[9:10], off
.LBB59_9:                               ;   in Loop: Header=BB59_4 Depth=1
	s_or_b64 exec, exec, s[38:39]
	s_andn2_b64 s[38:39], s[18:19], exec
	s_and_b64 s[40:41], s[40:41], exec
	s_and_b64 s[10:11], s[10:11], exec
	s_or_b64 s[38:39], s[38:39], s[40:41]
	s_or_b64 exec, exec, s[36:37]
	v_mov_b32_e32 v6, v5
	s_and_saveexec_b64 s[36:37], s[38:39]
	s_cbranch_execz .LBB59_6
.LBB59_10:                              ;   in Loop: Header=BB59_4 Depth=1
	v_cmp_eq_u32_e32 vcc, v0, v5
	s_and_b64 s[42:43], s[34:35], vcc
	s_mov_b64 s[40:41], s[10:11]
                                        ; implicit-def: $vgpr9
	s_and_saveexec_b64 s[38:39], s[42:43]
	s_cbranch_execz .LBB59_12
; %bb.11:                               ;   in Loop: Header=BB59_4 Depth=1
	global_load_dword v6, v[3:4], off
	s_waitcnt vmcnt(0)
	v_div_scale_f32 v9, s[40:41], v6, v6, 1.0
	v_div_scale_f32 v10, vcc, 1.0, v6, 1.0
	s_or_b64 s[40:41], s[10:11], exec
	v_rcp_f32_e32 v11, v9
	v_fma_f32 v12, -v9, v11, 1.0
	v_fmac_f32_e32 v11, v12, v11
	v_mul_f32_e32 v12, v10, v11
	v_fma_f32 v13, -v9, v12, v10
	v_fmac_f32_e32 v12, v13, v11
	v_fma_f32 v9, -v9, v12, v10
	v_div_fmas_f32 v9, v9, v11, v12
	v_div_fixup_f32 v9, v9, v6, 1.0
.LBB59_12:                              ;   in Loop: Header=BB59_4 Depth=1
	s_or_b64 exec, exec, s[38:39]
	s_andn2_b64 s[10:11], s[10:11], exec
	s_and_b64 s[38:39], s[40:41], exec
	s_or_b64 s[10:11], s[10:11], s[38:39]
	v_mov_b32_e32 v6, v0
	s_or_b64 exec, exec, s[36:37]
	s_and_saveexec_b64 s[36:37], s[10:11]
	s_cbranch_execz .LBB59_3
.LBB59_13:                              ;   in Loop: Header=BB59_4 Depth=1
	s_load_dword s10, s[12:13], 0xc
	s_waitcnt lgkmcnt(0)
	s_and_b32 s10, s10, 0xffff
	v_mul_lo_u32 v6, v6, s10
	v_lshl_add_u32 v6, v6, 2, v7
	s_waitcnt vmcnt(0)
	ds_write_b32 v6, v9
	s_branch .LBB59_3
.LBB59_14:
	s_mov_b64 s[2:3], src_shared_base
	s_load_dword s2, s[12:13], 0xc
	s_mov_b32 s15, s3
	s_mov_b32 s17, 0
	s_mov_b64 s[10:11], s[14:15]
	s_waitcnt lgkmcnt(0)
	s_and_b32 s16, s2, 0xffff
.LBB59_15:
	s_mul_i32 s7, s7, s6
	v_add_u32_e32 v3, s7, v2
	v_mov_b32_e32 v4, 0
	v_cmp_gt_i64_e32 vcc, s[30:31], v[3:4]
	s_and_saveexec_b64 s[2:3], vcc
	s_cbranch_execz .LBB59_28
; %bb.16:
	v_mov_b32_e32 v1, v4
	v_cmp_gt_i64_e32 vcc, s[28:29], v[0:1]
	s_and_b64 exec, exec, vcc
	s_cbranch_execz .LBB59_28
; %bb.17:
	s_mul_i32 s2, s27, s8
	s_mul_hi_u32 s3, s26, s8
	v_mad_u64_u32 v[5:6], s[6:7], s24, v0, 0
	s_add_i32 s3, s3, s2
	s_mul_i32 s2, s26, s8
	s_lshl_b64 s[2:3], s[2:3], 2
	s_add_u32 s6, s20, s2
	s_addc_u32 s7, s21, s3
	v_mad_u64_u32 v[6:7], s[2:3], s25, v0, v[6:7]
	s_lshl_b64 s[2:3], s[22:23], 2
	s_add_u32 s2, s6, s2
	v_lshlrev_b64 v[5:6], 2, v[5:6]
	s_addc_u32 s3, s7, s3
	v_mov_b32_e32 v7, s3
	v_add_co_u32_e32 v5, vcc, s2, v5
	v_lshlrev_b64 v[3:4], 2, v[3:4]
	v_addc_co_u32_e32 v6, vcc, v7, v6, vcc
	v_add_co_u32_e32 v3, vcc, v5, v3
	v_addc_co_u32_e32 v4, vcc, v6, v4, vcc
	global_load_dword v5, v[3:4], off
	s_load_dword s4, s[4:5], 0x18
	v_cmp_lt_u64_e64 s[2:3], s[28:29], 2
	s_and_b64 vcc, exec, s[2:3]
	s_waitcnt vmcnt(0) lgkmcnt(0)
	v_mul_f32_e32 v9, s4, v5
	s_cbranch_vccnz .LBB59_25
; %bb.18:
	v_mad_u64_u32 v[5:6], s[2:3], v0, s16, v[0:1]
	v_lshl_add_u32 v2, v2, 2, 0
	v_mad_u64_u32 v[6:7], s[2:3], v0, s17, v[6:7]
	s_add_u32 s2, s28, -1
	s_addc_u32 s3, s29, -1
	s_mul_i32 s4, s16, s3
	s_mul_hi_u32 s5, s16, s2
	s_add_i32 s4, s5, s4
	s_mul_i32 s5, s17, s2
	v_lshlrev_b64 v[5:6], 2, v[5:6]
	s_add_i32 s5, s4, s5
	s_mul_i32 s4, s16, s2
	s_lshl_b64 s[4:5], s[4:5], 2
	v_mov_b32_e32 v7, s11
	v_add_co_u32_e32 v5, vcc, s10, v5
	s_add_u32 s4, s10, s4
	v_addc_co_u32_e32 v6, vcc, v7, v6, vcc
	v_lshlrev_b32_e32 v7, 2, v0
	s_addc_u32 s5, s11, s5
	v_mov_b32_e32 v8, s5
	v_add_co_u32_e32 v7, vcc, s4, v7
	s_lshl_b64 s[4:5], s[16:17], 2
	s_sub_u32 s6, 0, s4
	v_addc_co_u32_e32 v8, vcc, 0, v8, vcc
	s_subb_u32 s7, 0, s5
.LBB59_19:                              ; =>This Inner Loop Header: Depth=1
	v_cmp_eq_u64_e32 vcc, s[2:3], v[0:1]
	s_barrier
	s_and_saveexec_b64 s[4:5], vcc
	s_cbranch_execz .LBB59_21
; %bb.20:                               ;   in Loop: Header=BB59_19 Depth=1
	flat_load_dword v10, v[5:6]
	s_waitcnt vmcnt(0) lgkmcnt(0)
	v_div_scale_f32 v11, s[8:9], v10, v10, 1.0
	v_div_scale_f32 v12, vcc, 1.0, v10, 1.0
	v_rcp_f32_e32 v13, v11
	v_fma_f32 v14, -v11, v13, 1.0
	v_fmac_f32_e32 v13, v14, v13
	v_mul_f32_e32 v14, v12, v13
	v_fma_f32 v15, -v11, v14, v12
	v_fmac_f32_e32 v14, v15, v13
	v_fma_f32 v11, -v11, v14, v12
	v_div_fmas_f32 v11, v11, v13, v14
	v_div_fixup_f32 v11, v11, v10, 1.0
	v_cndmask_b32_e64 v10, v11, v10, s[0:1]
	v_mul_f32_e32 v9, v9, v10
	ds_write_b32 v2, v9
.LBB59_21:                              ;   in Loop: Header=BB59_19 Depth=1
	s_or_b64 exec, exec, s[4:5]
	v_cmp_gt_i64_e32 vcc, s[2:3], v[0:1]
	s_waitcnt lgkmcnt(0)
	s_barrier
	s_and_saveexec_b64 s[4:5], vcc
	s_cbranch_execz .LBB59_23
; %bb.22:                               ;   in Loop: Header=BB59_19 Depth=1
	flat_load_dword v10, v[7:8]
	ds_read_b32 v11, v2
	s_waitcnt vmcnt(0) lgkmcnt(0)
	v_fma_f32 v9, -v10, v11, v9
.LBB59_23:                              ;   in Loop: Header=BB59_19 Depth=1
	s_or_b64 exec, exec, s[4:5]
	s_add_u32 s4, s2, -1
	s_addc_u32 s5, s3, -1
	s_add_u32 s2, s2, 1
	s_addc_u32 s3, s3, 0
	v_mov_b32_e32 v10, s7
	v_cmp_lt_u64_e64 s[2:3], s[2:3], 3
	v_add_co_u32_e32 v7, vcc, s6, v7
	v_addc_co_u32_e32 v8, vcc, v8, v10, vcc
	s_and_b64 vcc, exec, s[2:3]
	s_cbranch_vccnz .LBB59_25
; %bb.24:                               ;   in Loop: Header=BB59_19 Depth=1
	s_mov_b64 s[2:3], s[4:5]
	s_branch .LBB59_19
.LBB59_25:
	v_cmp_eq_u32_e32 vcc, 0, v0
	s_and_saveexec_b64 s[2:3], vcc
	s_cbranch_execz .LBB59_27
; %bb.26:
	v_mad_u64_u32 v[1:2], s[4:5], v0, s16, v[0:1]
	v_mad_u64_u32 v[5:6], s[4:5], v0, s17, v[2:3]
	v_mov_b32_e32 v6, s11
	v_mov_b32_e32 v2, v5
	v_lshlrev_b64 v[0:1], 2, v[1:2]
	v_add_co_u32_e32 v0, vcc, s10, v0
	v_addc_co_u32_e32 v1, vcc, v6, v1, vcc
	flat_load_dword v0, v[0:1]
	s_waitcnt vmcnt(0) lgkmcnt(0)
	v_div_scale_f32 v1, s[4:5], v0, v0, 1.0
	v_div_scale_f32 v2, vcc, 1.0, v0, 1.0
	v_rcp_f32_e32 v5, v1
	v_fma_f32 v6, -v1, v5, 1.0
	v_fmac_f32_e32 v5, v6, v5
	v_mul_f32_e32 v6, v2, v5
	v_fma_f32 v7, -v1, v6, v2
	v_fmac_f32_e32 v6, v7, v5
	v_fma_f32 v1, -v1, v6, v2
	v_div_fmas_f32 v1, v1, v5, v6
	v_div_fixup_f32 v1, v1, v0, 1.0
	v_cndmask_b32_e64 v0, v1, v0, s[0:1]
	v_mul_f32_e32 v9, v9, v0
.LBB59_27:
	s_or_b64 exec, exec, s[2:3]
	global_store_dword v[3:4], v9, off
.LBB59_28:
	s_endpgm
	.section	.rodata,"a",@progbits
	.p2align	6, 0x0
	.amdhsa_kernel _ZL40rocblas_trsm_block_backward_substitutionIffPKfPfLb1ELb0ELb0EEv18rocblas_operation_llT0_T1_lllT2_lllib
		.amdhsa_group_segment_fixed_size 0
		.amdhsa_private_segment_fixed_size 0
		.amdhsa_kernarg_size 360
		.amdhsa_user_sgpr_count 6
		.amdhsa_user_sgpr_private_segment_buffer 1
		.amdhsa_user_sgpr_dispatch_ptr 0
		.amdhsa_user_sgpr_queue_ptr 0
		.amdhsa_user_sgpr_kernarg_segment_ptr 1
		.amdhsa_user_sgpr_dispatch_id 0
		.amdhsa_user_sgpr_flat_scratch_init 0
		.amdhsa_user_sgpr_private_segment_size 0
		.amdhsa_uses_dynamic_stack 0
		.amdhsa_system_sgpr_private_segment_wavefront_offset 0
		.amdhsa_system_sgpr_workgroup_id_x 1
		.amdhsa_system_sgpr_workgroup_id_y 1
		.amdhsa_system_sgpr_workgroup_id_z 1
		.amdhsa_system_sgpr_workgroup_info 0
		.amdhsa_system_vgpr_workitem_id 1
		.amdhsa_next_free_vgpr 16
		.amdhsa_next_free_sgpr 44
		.amdhsa_reserve_vcc 1
		.amdhsa_reserve_flat_scratch 0
		.amdhsa_float_round_mode_32 0
		.amdhsa_float_round_mode_16_64 0
		.amdhsa_float_denorm_mode_32 3
		.amdhsa_float_denorm_mode_16_64 3
		.amdhsa_dx10_clamp 1
		.amdhsa_ieee_mode 1
		.amdhsa_fp16_overflow 0
		.amdhsa_exception_fp_ieee_invalid_op 0
		.amdhsa_exception_fp_denorm_src 0
		.amdhsa_exception_fp_ieee_div_zero 0
		.amdhsa_exception_fp_ieee_overflow 0
		.amdhsa_exception_fp_ieee_underflow 0
		.amdhsa_exception_fp_ieee_inexact 0
		.amdhsa_exception_int_div_zero 0
	.end_amdhsa_kernel
	.section	.text._ZL40rocblas_trsm_block_backward_substitutionIffPKfPfLb1ELb0ELb0EEv18rocblas_operation_llT0_T1_lllT2_lllib,"axG",@progbits,_ZL40rocblas_trsm_block_backward_substitutionIffPKfPfLb1ELb0ELb0EEv18rocblas_operation_llT0_T1_lllT2_lllib,comdat
.Lfunc_end59:
	.size	_ZL40rocblas_trsm_block_backward_substitutionIffPKfPfLb1ELb0ELb0EEv18rocblas_operation_llT0_T1_lllT2_lllib, .Lfunc_end59-_ZL40rocblas_trsm_block_backward_substitutionIffPKfPfLb1ELb0ELb0EEv18rocblas_operation_llT0_T1_lllT2_lllib
                                        ; -- End function
	.set _ZL40rocblas_trsm_block_backward_substitutionIffPKfPfLb1ELb0ELb0EEv18rocblas_operation_llT0_T1_lllT2_lllib.num_vgpr, 16
	.set _ZL40rocblas_trsm_block_backward_substitutionIffPKfPfLb1ELb0ELb0EEv18rocblas_operation_llT0_T1_lllT2_lllib.num_agpr, 0
	.set _ZL40rocblas_trsm_block_backward_substitutionIffPKfPfLb1ELb0ELb0EEv18rocblas_operation_llT0_T1_lllT2_lllib.numbered_sgpr, 44
	.set _ZL40rocblas_trsm_block_backward_substitutionIffPKfPfLb1ELb0ELb0EEv18rocblas_operation_llT0_T1_lllT2_lllib.num_named_barrier, 0
	.set _ZL40rocblas_trsm_block_backward_substitutionIffPKfPfLb1ELb0ELb0EEv18rocblas_operation_llT0_T1_lllT2_lllib.private_seg_size, 0
	.set _ZL40rocblas_trsm_block_backward_substitutionIffPKfPfLb1ELb0ELb0EEv18rocblas_operation_llT0_T1_lllT2_lllib.uses_vcc, 1
	.set _ZL40rocblas_trsm_block_backward_substitutionIffPKfPfLb1ELb0ELb0EEv18rocblas_operation_llT0_T1_lllT2_lllib.uses_flat_scratch, 0
	.set _ZL40rocblas_trsm_block_backward_substitutionIffPKfPfLb1ELb0ELb0EEv18rocblas_operation_llT0_T1_lllT2_lllib.has_dyn_sized_stack, 0
	.set _ZL40rocblas_trsm_block_backward_substitutionIffPKfPfLb1ELb0ELb0EEv18rocblas_operation_llT0_T1_lllT2_lllib.has_recursion, 0
	.set _ZL40rocblas_trsm_block_backward_substitutionIffPKfPfLb1ELb0ELb0EEv18rocblas_operation_llT0_T1_lllT2_lllib.has_indirect_call, 0
	.section	.AMDGPU.csdata,"",@progbits
; Kernel info:
; codeLenInByte = 1356
; TotalNumSgprs: 48
; NumVgprs: 16
; ScratchSize: 0
; MemoryBound: 0
; FloatMode: 240
; IeeeMode: 1
; LDSByteSize: 0 bytes/workgroup (compile time only)
; SGPRBlocks: 5
; VGPRBlocks: 3
; NumSGPRsForWavesPerEU: 48
; NumVGPRsForWavesPerEU: 16
; Occupancy: 10
; WaveLimiterHint : 1
; COMPUTE_PGM_RSRC2:SCRATCH_EN: 0
; COMPUTE_PGM_RSRC2:USER_SGPR: 6
; COMPUTE_PGM_RSRC2:TRAP_HANDLER: 0
; COMPUTE_PGM_RSRC2:TGID_X_EN: 1
; COMPUTE_PGM_RSRC2:TGID_Y_EN: 1
; COMPUTE_PGM_RSRC2:TGID_Z_EN: 1
; COMPUTE_PGM_RSRC2:TIDIG_COMP_CNT: 1
	.section	.text._ZL39rocblas_trsm_block_forward_substitutionIffPKfPfLb1ELb0ELb1EEv18rocblas_operation_llT0_T1_lllT2_lllib,"axG",@progbits,_ZL39rocblas_trsm_block_forward_substitutionIffPKfPfLb1ELb0ELb1EEv18rocblas_operation_llT0_T1_lllT2_lllib,comdat
	.globl	_ZL39rocblas_trsm_block_forward_substitutionIffPKfPfLb1ELb0ELb1EEv18rocblas_operation_llT0_T1_lllT2_lllib ; -- Begin function _ZL39rocblas_trsm_block_forward_substitutionIffPKfPfLb1ELb0ELb1EEv18rocblas_operation_llT0_T1_lllT2_lllib
	.p2align	8
	.type	_ZL39rocblas_trsm_block_forward_substitutionIffPKfPfLb1ELb0ELb1EEv18rocblas_operation_llT0_T1_lllT2_lllib,@function
_ZL39rocblas_trsm_block_forward_substitutionIffPKfPfLb1ELb0ELb1EEv18rocblas_operation_llT0_T1_lllT2_lllib: ; @_ZL39rocblas_trsm_block_forward_substitutionIffPKfPfLb1ELb0ELb1EEv18rocblas_operation_llT0_T1_lllT2_lllib
; %bb.0:
	s_load_dwordx16 s[12:27], s[4:5], 0x20
	s_load_dwordx4 s[28:31], s[4:5], 0x8
	s_load_dword s9, s[4:5], 0x64
	s_load_dword s6, s[4:5], 0x74
	v_mov_b32_e32 v2, v1
	s_waitcnt lgkmcnt(0)
	s_mul_i32 s0, s19, s8
	s_mul_hi_u32 s1, s18, s8
	s_add_i32 s1, s1, s0
	s_mul_i32 s0, s18, s8
	s_lshl_b64 s[0:1], s[0:1], 2
	s_add_u32 s2, s12, s0
	s_addc_u32 s3, s13, s1
	s_lshl_b64 s[0:1], s[14:15], 2
	s_add_u32 s10, s2, s0
	s_addc_u32 s11, s3, s1
	s_add_u32 s12, s4, 0x68
	s_addc_u32 s13, s5, 0
	s_lshr_b32 s6, s6, 16
	s_bitcmp0_b32 s9, 0
	s_mov_b64 s[0:1], 1
	s_cbranch_scc1 .LBB60_6
; %bb.1:
	s_lshl_b32 s0, s6, 2
	s_add_i32 s14, s0, 0
	v_cmp_lt_i64_e64 s[0:1], s[28:29], 1
	s_mov_b64 s[2:3], 1
	s_and_b64 vcc, exec, s[0:1]
	s_cbranch_vccnz .LBB60_7
; %bb.2:
	v_mad_u64_u32 v[3:4], s[0:1], s16, v0, 0
	v_lshl_add_u32 v5, v0, 2, s14
	s_mov_b32 s9, 0
	v_mov_b32_e32 v1, v4
	v_mad_u64_u32 v[6:7], s[0:1], s17, v0, v[1:2]
	v_mov_b32_e32 v1, 0
	v_mov_b32_e32 v7, s11
	;; [unrolled: 1-line block ×3, first 2 shown]
	v_lshlrev_b64 v[3:4], 2, v[3:4]
	v_cmp_gt_u64_e64 s[0:1], s[28:29], v[0:1]
	v_add_co_u32_e32 v1, vcc, s10, v3
	v_addc_co_u32_e32 v6, vcc, v7, v4, vcc
	s_branch .LBB60_4
.LBB60_3:                               ;   in Loop: Header=BB60_4 Depth=1
	s_or_b64 exec, exec, s[10:11]
	s_add_i32 s9, s9, s6
	s_ashr_i32 s10, s9, 31
	v_mov_b32_e32 v3, s9
	v_mov_b32_e32 v4, s10
	v_cmp_le_i64_e32 vcc, s[28:29], v[3:4]
	s_cbranch_vccnz .LBB60_7
.LBB60_4:                               ; =>This Inner Loop Header: Depth=1
	v_add_u32_e32 v3, s9, v2
	v_cmp_gt_i32_e32 vcc, v0, v3
	s_and_b64 s[16:17], s[0:1], vcc
	s_and_saveexec_b64 s[10:11], s[16:17]
	s_cbranch_execz .LBB60_3
; %bb.5:                                ;   in Loop: Header=BB60_4 Depth=1
	v_ashrrev_i32_e32 v4, 31, v3
	v_lshlrev_b64 v[7:8], 2, v[3:4]
	s_load_dword s15, s[12:13], 0xc
	v_add_co_u32_e32 v7, vcc, v1, v7
	v_addc_co_u32_e32 v8, vcc, v6, v8, vcc
	global_load_dword v4, v[7:8], off
	s_waitcnt lgkmcnt(0)
	s_and_b32 s15, s15, 0xffff
	v_mul_lo_u32 v3, v3, s15
	v_lshl_add_u32 v3, v3, 2, v5
	s_waitcnt vmcnt(0)
	ds_write_b32 v3, v4
	s_branch .LBB60_3
.LBB60_6:
	s_mov_b64 s[2:3], s[16:17]
	s_branch .LBB60_8
.LBB60_7:
	s_mov_b64 s[0:1], src_shared_base
	s_load_dword s0, s[12:13], 0xc
	s_mov_b32 s15, s1
	s_mov_b64 s[10:11], s[14:15]
	s_waitcnt lgkmcnt(0)
	s_and_b32 s0, s0, 0xffff
.LBB60_8:
	s_mul_i32 s7, s7, s6
	v_add_u32_e32 v3, s7, v2
	v_mov_b32_e32 v4, 0
	v_cmp_gt_i64_e32 vcc, s[30:31], v[3:4]
	s_and_saveexec_b64 s[6:7], vcc
	s_cbranch_execz .LBB60_18
; %bb.9:
	v_mov_b32_e32 v1, v4
	v_cmp_gt_i64_e32 vcc, s[28:29], v[0:1]
	s_and_b64 exec, exec, vcc
	s_cbranch_execz .LBB60_18
; %bb.10:
	s_mul_i32 s1, s27, s8
	s_mul_hi_u32 s6, s26, s8
	s_add_i32 s7, s6, s1
	s_mul_i32 s6, s26, s8
	v_mad_u64_u32 v[4:5], s[8:9], s24, v3, 0
	s_lshl_b64 s[6:7], s[6:7], 2
	s_add_u32 s1, s20, s6
	s_addc_u32 s8, s21, s7
	v_mad_u64_u32 v[5:6], s[6:7], s25, v3, v[5:6]
	s_lshl_b64 s[6:7], s[22:23], 2
	s_add_u32 s1, s1, s6
	v_lshlrev_b64 v[3:4], 2, v[4:5]
	s_addc_u32 s6, s8, s7
	v_mov_b32_e32 v5, s6
	v_add_co_u32_e32 v3, vcc, s1, v3
	v_addc_co_u32_e32 v4, vcc, v5, v4, vcc
	v_lshlrev_b32_e32 v5, 2, v0
	v_add_co_u32_e32 v3, vcc, v3, v5
	v_addc_co_u32_e32 v4, vcc, 0, v4, vcc
	global_load_dword v5, v[3:4], off
	s_load_dword s1, s[4:5], 0x18
	v_cmp_lt_u64_e64 s[4:5], s[28:29], 2
	s_and_b64 vcc, exec, s[4:5]
	s_waitcnt vmcnt(0) lgkmcnt(0)
	v_mul_f32_e32 v7, s1, v5
	s_cbranch_vccnz .LBB60_17
; %bb.11:
	v_mad_u64_u32 v[5:6], s[4:5], s2, v0, 0
	v_lshl_add_u32 v2, v2, 2, 0
	v_mad_u64_u32 v[8:9], s[2:3], s3, v0, v[6:7]
	v_mov_b32_e32 v9, s11
	s_add_u32 s2, s28, -1
	v_mov_b32_e32 v6, v8
	v_lshlrev_b64 v[5:6], 2, v[5:6]
	s_addc_u32 s3, s29, -1
	v_add_co_u32_e32 v5, vcc, s10, v5
	v_addc_co_u32_e32 v6, vcc, v9, v6, vcc
	s_lshl_b32 s6, s0, 2
	s_mov_b64 s[0:1], 0
	s_branch .LBB60_13
.LBB60_12:                              ;   in Loop: Header=BB60_13 Depth=1
	s_or_b64 exec, exec, s[4:5]
	s_add_u32 s0, s0, 1
	s_addc_u32 s1, s1, 0
	v_add_co_u32_e32 v5, vcc, s6, v5
	s_cmp_eq_u64 s[2:3], s[0:1]
	v_addc_co_u32_e32 v6, vcc, 0, v6, vcc
	s_cbranch_scc1 .LBB60_17
.LBB60_13:                              ; =>This Inner Loop Header: Depth=1
	v_cmp_eq_u64_e32 vcc, s[0:1], v[0:1]
	s_barrier
	s_and_saveexec_b64 s[4:5], vcc
; %bb.14:                               ;   in Loop: Header=BB60_13 Depth=1
	ds_write_b32 v2, v7
; %bb.15:                               ;   in Loop: Header=BB60_13 Depth=1
	s_or_b64 exec, exec, s[4:5]
	v_cmp_lt_u64_e32 vcc, s[0:1], v[0:1]
	s_waitcnt lgkmcnt(0)
	s_barrier
	s_and_saveexec_b64 s[4:5], vcc
	s_cbranch_execz .LBB60_12
; %bb.16:                               ;   in Loop: Header=BB60_13 Depth=1
	flat_load_dword v8, v[5:6]
	ds_read_b32 v9, v2
	s_waitcnt vmcnt(0) lgkmcnt(0)
	v_fma_f32 v7, -v8, v9, v7
	s_branch .LBB60_12
.LBB60_17:
	global_store_dword v[3:4], v7, off
.LBB60_18:
	s_endpgm
	.section	.rodata,"a",@progbits
	.p2align	6, 0x0
	.amdhsa_kernel _ZL39rocblas_trsm_block_forward_substitutionIffPKfPfLb1ELb0ELb1EEv18rocblas_operation_llT0_T1_lllT2_lllib
		.amdhsa_group_segment_fixed_size 0
		.amdhsa_private_segment_fixed_size 0
		.amdhsa_kernarg_size 360
		.amdhsa_user_sgpr_count 6
		.amdhsa_user_sgpr_private_segment_buffer 1
		.amdhsa_user_sgpr_dispatch_ptr 0
		.amdhsa_user_sgpr_queue_ptr 0
		.amdhsa_user_sgpr_kernarg_segment_ptr 1
		.amdhsa_user_sgpr_dispatch_id 0
		.amdhsa_user_sgpr_flat_scratch_init 0
		.amdhsa_user_sgpr_private_segment_size 0
		.amdhsa_uses_dynamic_stack 0
		.amdhsa_system_sgpr_private_segment_wavefront_offset 0
		.amdhsa_system_sgpr_workgroup_id_x 1
		.amdhsa_system_sgpr_workgroup_id_y 1
		.amdhsa_system_sgpr_workgroup_id_z 1
		.amdhsa_system_sgpr_workgroup_info 0
		.amdhsa_system_vgpr_workitem_id 1
		.amdhsa_next_free_vgpr 10
		.amdhsa_next_free_sgpr 32
		.amdhsa_reserve_vcc 1
		.amdhsa_reserve_flat_scratch 0
		.amdhsa_float_round_mode_32 0
		.amdhsa_float_round_mode_16_64 0
		.amdhsa_float_denorm_mode_32 3
		.amdhsa_float_denorm_mode_16_64 3
		.amdhsa_dx10_clamp 1
		.amdhsa_ieee_mode 1
		.amdhsa_fp16_overflow 0
		.amdhsa_exception_fp_ieee_invalid_op 0
		.amdhsa_exception_fp_denorm_src 0
		.amdhsa_exception_fp_ieee_div_zero 0
		.amdhsa_exception_fp_ieee_overflow 0
		.amdhsa_exception_fp_ieee_underflow 0
		.amdhsa_exception_fp_ieee_inexact 0
		.amdhsa_exception_int_div_zero 0
	.end_amdhsa_kernel
	.section	.text._ZL39rocblas_trsm_block_forward_substitutionIffPKfPfLb1ELb0ELb1EEv18rocblas_operation_llT0_T1_lllT2_lllib,"axG",@progbits,_ZL39rocblas_trsm_block_forward_substitutionIffPKfPfLb1ELb0ELb1EEv18rocblas_operation_llT0_T1_lllT2_lllib,comdat
.Lfunc_end60:
	.size	_ZL39rocblas_trsm_block_forward_substitutionIffPKfPfLb1ELb0ELb1EEv18rocblas_operation_llT0_T1_lllT2_lllib, .Lfunc_end60-_ZL39rocblas_trsm_block_forward_substitutionIffPKfPfLb1ELb0ELb1EEv18rocblas_operation_llT0_T1_lllT2_lllib
                                        ; -- End function
	.set _ZL39rocblas_trsm_block_forward_substitutionIffPKfPfLb1ELb0ELb1EEv18rocblas_operation_llT0_T1_lllT2_lllib.num_vgpr, 10
	.set _ZL39rocblas_trsm_block_forward_substitutionIffPKfPfLb1ELb0ELb1EEv18rocblas_operation_llT0_T1_lllT2_lllib.num_agpr, 0
	.set _ZL39rocblas_trsm_block_forward_substitutionIffPKfPfLb1ELb0ELb1EEv18rocblas_operation_llT0_T1_lllT2_lllib.numbered_sgpr, 32
	.set _ZL39rocblas_trsm_block_forward_substitutionIffPKfPfLb1ELb0ELb1EEv18rocblas_operation_llT0_T1_lllT2_lllib.num_named_barrier, 0
	.set _ZL39rocblas_trsm_block_forward_substitutionIffPKfPfLb1ELb0ELb1EEv18rocblas_operation_llT0_T1_lllT2_lllib.private_seg_size, 0
	.set _ZL39rocblas_trsm_block_forward_substitutionIffPKfPfLb1ELb0ELb1EEv18rocblas_operation_llT0_T1_lllT2_lllib.uses_vcc, 1
	.set _ZL39rocblas_trsm_block_forward_substitutionIffPKfPfLb1ELb0ELb1EEv18rocblas_operation_llT0_T1_lllT2_lllib.uses_flat_scratch, 0
	.set _ZL39rocblas_trsm_block_forward_substitutionIffPKfPfLb1ELb0ELb1EEv18rocblas_operation_llT0_T1_lllT2_lllib.has_dyn_sized_stack, 0
	.set _ZL39rocblas_trsm_block_forward_substitutionIffPKfPfLb1ELb0ELb1EEv18rocblas_operation_llT0_T1_lllT2_lllib.has_recursion, 0
	.set _ZL39rocblas_trsm_block_forward_substitutionIffPKfPfLb1ELb0ELb1EEv18rocblas_operation_llT0_T1_lllT2_lllib.has_indirect_call, 0
	.section	.AMDGPU.csdata,"",@progbits
; Kernel info:
; codeLenInByte = 728
; TotalNumSgprs: 36
; NumVgprs: 10
; ScratchSize: 0
; MemoryBound: 0
; FloatMode: 240
; IeeeMode: 1
; LDSByteSize: 0 bytes/workgroup (compile time only)
; SGPRBlocks: 4
; VGPRBlocks: 2
; NumSGPRsForWavesPerEU: 36
; NumVGPRsForWavesPerEU: 10
; Occupancy: 10
; WaveLimiterHint : 1
; COMPUTE_PGM_RSRC2:SCRATCH_EN: 0
; COMPUTE_PGM_RSRC2:USER_SGPR: 6
; COMPUTE_PGM_RSRC2:TRAP_HANDLER: 0
; COMPUTE_PGM_RSRC2:TGID_X_EN: 1
; COMPUTE_PGM_RSRC2:TGID_Y_EN: 1
; COMPUTE_PGM_RSRC2:TGID_Z_EN: 1
; COMPUTE_PGM_RSRC2:TIDIG_COMP_CNT: 1
	.section	.text._ZL40rocblas_trsm_block_backward_substitutionIffPKfPfLb1ELb0ELb1EEv18rocblas_operation_llT0_T1_lllT2_lllib,"axG",@progbits,_ZL40rocblas_trsm_block_backward_substitutionIffPKfPfLb1ELb0ELb1EEv18rocblas_operation_llT0_T1_lllT2_lllib,comdat
	.globl	_ZL40rocblas_trsm_block_backward_substitutionIffPKfPfLb1ELb0ELb1EEv18rocblas_operation_llT0_T1_lllT2_lllib ; -- Begin function _ZL40rocblas_trsm_block_backward_substitutionIffPKfPfLb1ELb0ELb1EEv18rocblas_operation_llT0_T1_lllT2_lllib
	.p2align	8
	.type	_ZL40rocblas_trsm_block_backward_substitutionIffPKfPfLb1ELb0ELb1EEv18rocblas_operation_llT0_T1_lllT2_lllib,@function
_ZL40rocblas_trsm_block_backward_substitutionIffPKfPfLb1ELb0ELb1EEv18rocblas_operation_llT0_T1_lllT2_lllib: ; @_ZL40rocblas_trsm_block_backward_substitutionIffPKfPfLb1ELb0ELb1EEv18rocblas_operation_llT0_T1_lllT2_lllib
; %bb.0:
	s_load_dwordx16 s[12:27], s[4:5], 0x20
	s_load_dwordx4 s[28:31], s[4:5], 0x8
	s_load_dword s9, s[4:5], 0x64
	s_load_dword s6, s[4:5], 0x74
	v_mov_b32_e32 v2, v1
	s_waitcnt lgkmcnt(0)
	s_mul_i32 s0, s19, s8
	s_mul_hi_u32 s1, s18, s8
	s_add_i32 s1, s1, s0
	s_mul_i32 s0, s18, s8
	s_lshl_b64 s[0:1], s[0:1], 2
	s_add_u32 s2, s12, s0
	s_addc_u32 s3, s13, s1
	s_lshl_b64 s[0:1], s[14:15], 2
	s_add_u32 s2, s2, s0
	s_addc_u32 s3, s3, s1
	s_add_u32 s10, s4, 0x68
	s_addc_u32 s11, s5, 0
	s_lshr_b32 s6, s6, 16
	s_bitcmp0_b32 s9, 0
	s_cbranch_scc1 .LBB61_7
; %bb.1:
	v_cmp_lt_i64_e64 s[0:1], s[28:29], 1
	s_lshl_b32 s9, s6, 2
	s_add_i32 s12, s9, 0
	s_and_b64 vcc, exec, s[0:1]
	s_cbranch_vccnz .LBB61_6
; %bb.2:
	v_lshlrev_b32_e32 v3, 2, v0
	v_mov_b32_e32 v1, 0
	v_cmp_gt_u64_e64 s[0:1], s[28:29], v[0:1]
	v_mov_b32_e32 v4, s3
	v_add_co_u32_e32 v1, vcc, s2, v3
	v_add_u32_e32 v5, s12, v3
	v_addc_co_u32_e32 v6, vcc, 0, v4, vcc
	s_mov_b32 s9, 0
	s_branch .LBB61_4
.LBB61_3:                               ;   in Loop: Header=BB61_4 Depth=1
	s_or_b64 exec, exec, s[2:3]
	s_add_i32 s9, s9, s6
	s_ashr_i32 s2, s9, 31
	v_mov_b32_e32 v3, s9
	v_mov_b32_e32 v4, s2
	v_cmp_le_i64_e32 vcc, s[28:29], v[3:4]
	s_cbranch_vccnz .LBB61_6
.LBB61_4:                               ; =>This Inner Loop Header: Depth=1
	v_add_u32_e32 v3, s9, v2
	v_ashrrev_i32_e32 v4, 31, v3
	v_cmp_gt_i64_e32 vcc, s[28:29], v[3:4]
	v_cmp_lt_i32_e64 s[2:3], v0, v3
	s_and_b64 s[2:3], s[2:3], vcc
	s_and_b64 s[14:15], s[0:1], s[2:3]
	s_and_saveexec_b64 s[2:3], s[14:15]
	s_cbranch_execz .LBB61_3
; %bb.5:                                ;   in Loop: Header=BB61_4 Depth=1
	v_mul_lo_u32 v9, s17, v3
	v_mul_lo_u32 v4, s16, v4
	v_mad_u64_u32 v[7:8], s[14:15], s16, v3, 0
	s_load_dword s13, s[10:11], 0xc
	v_add3_u32 v8, v8, v4, v9
	v_lshlrev_b64 v[7:8], 2, v[7:8]
	v_add_co_u32_e32 v7, vcc, v1, v7
	v_addc_co_u32_e32 v8, vcc, v6, v8, vcc
	global_load_dword v4, v[7:8], off
	s_waitcnt lgkmcnt(0)
	s_and_b32 s13, s13, 0xffff
	v_mul_lo_u32 v3, v3, s13
	v_lshl_add_u32 v3, v3, 2, v5
	s_waitcnt vmcnt(0)
	ds_write_b32 v3, v4
	s_branch .LBB61_3
.LBB61_6:
	s_mov_b64 s[0:1], src_shared_base
	s_load_dword s0, s[10:11], 0xc
	s_mov_b32 s13, s1
	s_mov_b32 s17, 0
	s_mov_b64 s[2:3], s[12:13]
	s_waitcnt lgkmcnt(0)
	s_and_b32 s16, s0, 0xffff
.LBB61_7:
	s_mul_i32 s7, s7, s6
	v_add_u32_e32 v3, s7, v2
	v_mov_b32_e32 v4, 0
	v_cmp_gt_i64_e32 vcc, s[30:31], v[3:4]
	s_and_saveexec_b64 s[0:1], vcc
	s_cbranch_execz .LBB61_18
; %bb.8:
	v_mov_b32_e32 v1, v4
	v_cmp_gt_i64_e32 vcc, s[28:29], v[0:1]
	s_and_b64 exec, exec, vcc
	s_cbranch_execz .LBB61_18
; %bb.9:
	s_mul_i32 s0, s27, s8
	s_mul_hi_u32 s1, s26, s8
	v_mad_u64_u32 v[5:6], s[6:7], s24, v0, 0
	s_add_i32 s1, s1, s0
	s_mul_i32 s0, s26, s8
	s_lshl_b64 s[0:1], s[0:1], 2
	s_add_u32 s6, s20, s0
	s_addc_u32 s7, s21, s1
	v_mad_u64_u32 v[6:7], s[0:1], s25, v0, v[6:7]
	s_lshl_b64 s[0:1], s[22:23], 2
	s_add_u32 s0, s6, s0
	v_lshlrev_b64 v[5:6], 2, v[5:6]
	s_addc_u32 s1, s7, s1
	v_mov_b32_e32 v7, s1
	v_add_co_u32_e32 v5, vcc, s0, v5
	v_lshlrev_b64 v[3:4], 2, v[3:4]
	v_addc_co_u32_e32 v6, vcc, v7, v6, vcc
	v_add_co_u32_e32 v3, vcc, v5, v3
	v_addc_co_u32_e32 v4, vcc, v6, v4, vcc
	global_load_dword v5, v[3:4], off
	s_load_dword s4, s[4:5], 0x18
	v_cmp_lt_u64_e64 s[0:1], s[28:29], 2
	s_and_b64 vcc, exec, s[0:1]
	s_waitcnt vmcnt(0) lgkmcnt(0)
	v_mul_f32_e32 v7, s4, v5
	s_cbranch_vccnz .LBB61_17
; %bb.10:
	s_add_u32 s0, s28, -1
	s_addc_u32 s1, s29, -1
	s_mul_i32 s4, s16, s1
	s_mul_hi_u32 s5, s16, s0
	s_add_i32 s4, s5, s4
	s_mul_i32 s5, s17, s0
	s_add_i32 s5, s4, s5
	s_mul_i32 s4, s16, s0
	s_lshl_b64 s[4:5], s[4:5], 2
	s_add_u32 s2, s2, s4
	v_lshlrev_b32_e32 v5, 2, v0
	s_addc_u32 s3, s3, s5
	v_mov_b32_e32 v6, s3
	v_add_co_u32_e32 v5, vcc, s2, v5
	s_lshl_b64 s[2:3], s[16:17], 2
	s_sub_u32 s4, 0, s2
	s_subb_u32 s2, 0, s3
	v_lshl_add_u32 v2, v2, 2, 0
	v_addc_co_u32_e32 v6, vcc, 0, v6, vcc
	v_mov_b32_e32 v8, s2
.LBB61_11:                              ; =>This Inner Loop Header: Depth=1
	v_cmp_eq_u64_e32 vcc, s[0:1], v[0:1]
	s_barrier
	s_and_saveexec_b64 s[2:3], vcc
; %bb.12:                               ;   in Loop: Header=BB61_11 Depth=1
	ds_write_b32 v2, v7
; %bb.13:                               ;   in Loop: Header=BB61_11 Depth=1
	s_or_b64 exec, exec, s[2:3]
	v_cmp_gt_i64_e32 vcc, s[0:1], v[0:1]
	s_waitcnt lgkmcnt(0)
	s_barrier
	s_and_saveexec_b64 s[2:3], vcc
	s_cbranch_execz .LBB61_15
; %bb.14:                               ;   in Loop: Header=BB61_11 Depth=1
	flat_load_dword v9, v[5:6]
	ds_read_b32 v10, v2
	s_waitcnt vmcnt(0) lgkmcnt(0)
	v_fma_f32 v7, -v9, v10, v7
.LBB61_15:                              ;   in Loop: Header=BB61_11 Depth=1
	s_or_b64 exec, exec, s[2:3]
	s_add_u32 s2, s0, -1
	s_addc_u32 s3, s1, -1
	s_add_u32 s0, s0, 1
	s_addc_u32 s1, s1, 0
	v_cmp_lt_u64_e64 s[0:1], s[0:1], 3
	v_add_co_u32_e32 v5, vcc, s4, v5
	v_addc_co_u32_e32 v6, vcc, v6, v8, vcc
	s_and_b64 vcc, exec, s[0:1]
	s_cbranch_vccnz .LBB61_17
; %bb.16:                               ;   in Loop: Header=BB61_11 Depth=1
	s_mov_b64 s[0:1], s[2:3]
	s_branch .LBB61_11
.LBB61_17:
	global_store_dword v[3:4], v7, off
.LBB61_18:
	s_endpgm
	.section	.rodata,"a",@progbits
	.p2align	6, 0x0
	.amdhsa_kernel _ZL40rocblas_trsm_block_backward_substitutionIffPKfPfLb1ELb0ELb1EEv18rocblas_operation_llT0_T1_lllT2_lllib
		.amdhsa_group_segment_fixed_size 0
		.amdhsa_private_segment_fixed_size 0
		.amdhsa_kernarg_size 360
		.amdhsa_user_sgpr_count 6
		.amdhsa_user_sgpr_private_segment_buffer 1
		.amdhsa_user_sgpr_dispatch_ptr 0
		.amdhsa_user_sgpr_queue_ptr 0
		.amdhsa_user_sgpr_kernarg_segment_ptr 1
		.amdhsa_user_sgpr_dispatch_id 0
		.amdhsa_user_sgpr_flat_scratch_init 0
		.amdhsa_user_sgpr_private_segment_size 0
		.amdhsa_uses_dynamic_stack 0
		.amdhsa_system_sgpr_private_segment_wavefront_offset 0
		.amdhsa_system_sgpr_workgroup_id_x 1
		.amdhsa_system_sgpr_workgroup_id_y 1
		.amdhsa_system_sgpr_workgroup_id_z 1
		.amdhsa_system_sgpr_workgroup_info 0
		.amdhsa_system_vgpr_workitem_id 1
		.amdhsa_next_free_vgpr 11
		.amdhsa_next_free_sgpr 32
		.amdhsa_reserve_vcc 1
		.amdhsa_reserve_flat_scratch 0
		.amdhsa_float_round_mode_32 0
		.amdhsa_float_round_mode_16_64 0
		.amdhsa_float_denorm_mode_32 3
		.amdhsa_float_denorm_mode_16_64 3
		.amdhsa_dx10_clamp 1
		.amdhsa_ieee_mode 1
		.amdhsa_fp16_overflow 0
		.amdhsa_exception_fp_ieee_invalid_op 0
		.amdhsa_exception_fp_denorm_src 0
		.amdhsa_exception_fp_ieee_div_zero 0
		.amdhsa_exception_fp_ieee_overflow 0
		.amdhsa_exception_fp_ieee_underflow 0
		.amdhsa_exception_fp_ieee_inexact 0
		.amdhsa_exception_int_div_zero 0
	.end_amdhsa_kernel
	.section	.text._ZL40rocblas_trsm_block_backward_substitutionIffPKfPfLb1ELb0ELb1EEv18rocblas_operation_llT0_T1_lllT2_lllib,"axG",@progbits,_ZL40rocblas_trsm_block_backward_substitutionIffPKfPfLb1ELb0ELb1EEv18rocblas_operation_llT0_T1_lllT2_lllib,comdat
.Lfunc_end61:
	.size	_ZL40rocblas_trsm_block_backward_substitutionIffPKfPfLb1ELb0ELb1EEv18rocblas_operation_llT0_T1_lllT2_lllib, .Lfunc_end61-_ZL40rocblas_trsm_block_backward_substitutionIffPKfPfLb1ELb0ELb1EEv18rocblas_operation_llT0_T1_lllT2_lllib
                                        ; -- End function
	.set _ZL40rocblas_trsm_block_backward_substitutionIffPKfPfLb1ELb0ELb1EEv18rocblas_operation_llT0_T1_lllT2_lllib.num_vgpr, 11
	.set _ZL40rocblas_trsm_block_backward_substitutionIffPKfPfLb1ELb0ELb1EEv18rocblas_operation_llT0_T1_lllT2_lllib.num_agpr, 0
	.set _ZL40rocblas_trsm_block_backward_substitutionIffPKfPfLb1ELb0ELb1EEv18rocblas_operation_llT0_T1_lllT2_lllib.numbered_sgpr, 32
	.set _ZL40rocblas_trsm_block_backward_substitutionIffPKfPfLb1ELb0ELb1EEv18rocblas_operation_llT0_T1_lllT2_lllib.num_named_barrier, 0
	.set _ZL40rocblas_trsm_block_backward_substitutionIffPKfPfLb1ELb0ELb1EEv18rocblas_operation_llT0_T1_lllT2_lllib.private_seg_size, 0
	.set _ZL40rocblas_trsm_block_backward_substitutionIffPKfPfLb1ELb0ELb1EEv18rocblas_operation_llT0_T1_lllT2_lllib.uses_vcc, 1
	.set _ZL40rocblas_trsm_block_backward_substitutionIffPKfPfLb1ELb0ELb1EEv18rocblas_operation_llT0_T1_lllT2_lllib.uses_flat_scratch, 0
	.set _ZL40rocblas_trsm_block_backward_substitutionIffPKfPfLb1ELb0ELb1EEv18rocblas_operation_llT0_T1_lllT2_lllib.has_dyn_sized_stack, 0
	.set _ZL40rocblas_trsm_block_backward_substitutionIffPKfPfLb1ELb0ELb1EEv18rocblas_operation_llT0_T1_lllT2_lllib.has_recursion, 0
	.set _ZL40rocblas_trsm_block_backward_substitutionIffPKfPfLb1ELb0ELb1EEv18rocblas_operation_llT0_T1_lllT2_lllib.has_indirect_call, 0
	.section	.AMDGPU.csdata,"",@progbits
; Kernel info:
; codeLenInByte = 768
; TotalNumSgprs: 36
; NumVgprs: 11
; ScratchSize: 0
; MemoryBound: 0
; FloatMode: 240
; IeeeMode: 1
; LDSByteSize: 0 bytes/workgroup (compile time only)
; SGPRBlocks: 4
; VGPRBlocks: 2
; NumSGPRsForWavesPerEU: 36
; NumVGPRsForWavesPerEU: 11
; Occupancy: 10
; WaveLimiterHint : 1
; COMPUTE_PGM_RSRC2:SCRATCH_EN: 0
; COMPUTE_PGM_RSRC2:USER_SGPR: 6
; COMPUTE_PGM_RSRC2:TRAP_HANDLER: 0
; COMPUTE_PGM_RSRC2:TGID_X_EN: 1
; COMPUTE_PGM_RSRC2:TGID_Y_EN: 1
; COMPUTE_PGM_RSRC2:TGID_Z_EN: 1
; COMPUTE_PGM_RSRC2:TIDIG_COMP_CNT: 1
	.section	.text._ZL26setup_batched_array_kernelILi128EfEvPT0_lPS1_,"axG",@progbits,_ZL26setup_batched_array_kernelILi128EfEvPT0_lPS1_,comdat
	.globl	_ZL26setup_batched_array_kernelILi128EfEvPT0_lPS1_ ; -- Begin function _ZL26setup_batched_array_kernelILi128EfEvPT0_lPS1_
	.p2align	8
	.type	_ZL26setup_batched_array_kernelILi128EfEvPT0_lPS1_,@function
_ZL26setup_batched_array_kernelILi128EfEvPT0_lPS1_: ; @_ZL26setup_batched_array_kernelILi128EfEvPT0_lPS1_
; %bb.0:
	s_load_dwordx4 s[0:3], s[4:5], 0x0
	s_mov_b32 s7, 0
	s_load_dwordx2 s[4:5], s[4:5], 0x10
	v_mov_b32_e32 v2, 0
	s_waitcnt lgkmcnt(0)
	s_mul_i32 s3, s3, s6
	s_mul_hi_u32 s8, s2, s6
	s_add_i32 s3, s8, s3
	s_mul_i32 s2, s2, s6
	s_lshl_b64 s[2:3], s[2:3], 2
	s_add_u32 s0, s0, s2
	s_addc_u32 s1, s1, s3
	s_lshl_b64 s[2:3], s[6:7], 3
	s_add_u32 s2, s4, s2
	v_mov_b32_e32 v0, s0
	s_addc_u32 s3, s5, s3
	v_mov_b32_e32 v1, s1
	global_store_dwordx2 v2, v[0:1], s[2:3]
	s_endpgm
	.section	.rodata,"a",@progbits
	.p2align	6, 0x0
	.amdhsa_kernel _ZL26setup_batched_array_kernelILi128EfEvPT0_lPS1_
		.amdhsa_group_segment_fixed_size 0
		.amdhsa_private_segment_fixed_size 0
		.amdhsa_kernarg_size 24
		.amdhsa_user_sgpr_count 6
		.amdhsa_user_sgpr_private_segment_buffer 1
		.amdhsa_user_sgpr_dispatch_ptr 0
		.amdhsa_user_sgpr_queue_ptr 0
		.amdhsa_user_sgpr_kernarg_segment_ptr 1
		.amdhsa_user_sgpr_dispatch_id 0
		.amdhsa_user_sgpr_flat_scratch_init 0
		.amdhsa_user_sgpr_private_segment_size 0
		.amdhsa_uses_dynamic_stack 0
		.amdhsa_system_sgpr_private_segment_wavefront_offset 0
		.amdhsa_system_sgpr_workgroup_id_x 1
		.amdhsa_system_sgpr_workgroup_id_y 0
		.amdhsa_system_sgpr_workgroup_id_z 0
		.amdhsa_system_sgpr_workgroup_info 0
		.amdhsa_system_vgpr_workitem_id 0
		.amdhsa_next_free_vgpr 3
		.amdhsa_next_free_sgpr 9
		.amdhsa_reserve_vcc 0
		.amdhsa_reserve_flat_scratch 0
		.amdhsa_float_round_mode_32 0
		.amdhsa_float_round_mode_16_64 0
		.amdhsa_float_denorm_mode_32 3
		.amdhsa_float_denorm_mode_16_64 3
		.amdhsa_dx10_clamp 1
		.amdhsa_ieee_mode 1
		.amdhsa_fp16_overflow 0
		.amdhsa_exception_fp_ieee_invalid_op 0
		.amdhsa_exception_fp_denorm_src 0
		.amdhsa_exception_fp_ieee_div_zero 0
		.amdhsa_exception_fp_ieee_overflow 0
		.amdhsa_exception_fp_ieee_underflow 0
		.amdhsa_exception_fp_ieee_inexact 0
		.amdhsa_exception_int_div_zero 0
	.end_amdhsa_kernel
	.section	.text._ZL26setup_batched_array_kernelILi128EfEvPT0_lPS1_,"axG",@progbits,_ZL26setup_batched_array_kernelILi128EfEvPT0_lPS1_,comdat
.Lfunc_end62:
	.size	_ZL26setup_batched_array_kernelILi128EfEvPT0_lPS1_, .Lfunc_end62-_ZL26setup_batched_array_kernelILi128EfEvPT0_lPS1_
                                        ; -- End function
	.set _ZL26setup_batched_array_kernelILi128EfEvPT0_lPS1_.num_vgpr, 3
	.set _ZL26setup_batched_array_kernelILi128EfEvPT0_lPS1_.num_agpr, 0
	.set _ZL26setup_batched_array_kernelILi128EfEvPT0_lPS1_.numbered_sgpr, 9
	.set _ZL26setup_batched_array_kernelILi128EfEvPT0_lPS1_.num_named_barrier, 0
	.set _ZL26setup_batched_array_kernelILi128EfEvPT0_lPS1_.private_seg_size, 0
	.set _ZL26setup_batched_array_kernelILi128EfEvPT0_lPS1_.uses_vcc, 0
	.set _ZL26setup_batched_array_kernelILi128EfEvPT0_lPS1_.uses_flat_scratch, 0
	.set _ZL26setup_batched_array_kernelILi128EfEvPT0_lPS1_.has_dyn_sized_stack, 0
	.set _ZL26setup_batched_array_kernelILi128EfEvPT0_lPS1_.has_recursion, 0
	.set _ZL26setup_batched_array_kernelILi128EfEvPT0_lPS1_.has_indirect_call, 0
	.section	.AMDGPU.csdata,"",@progbits
; Kernel info:
; codeLenInByte = 88
; TotalNumSgprs: 13
; NumVgprs: 3
; ScratchSize: 0
; MemoryBound: 0
; FloatMode: 240
; IeeeMode: 1
; LDSByteSize: 0 bytes/workgroup (compile time only)
; SGPRBlocks: 1
; VGPRBlocks: 0
; NumSGPRsForWavesPerEU: 13
; NumVGPRsForWavesPerEU: 3
; Occupancy: 10
; WaveLimiterHint : 0
; COMPUTE_PGM_RSRC2:SCRATCH_EN: 0
; COMPUTE_PGM_RSRC2:USER_SGPR: 6
; COMPUTE_PGM_RSRC2:TRAP_HANDLER: 0
; COMPUTE_PGM_RSRC2:TGID_X_EN: 1
; COMPUTE_PGM_RSRC2:TGID_Y_EN: 0
; COMPUTE_PGM_RSRC2:TGID_Z_EN: 0
; COMPUTE_PGM_RSRC2:TIDIG_COMP_CNT: 0
	.section	.text._ZL25rocblas_trtri_trsm_kernelILi128ELi16ELi8EfPKfPfEv13rocblas_fill_17rocblas_diagonal_T3_lilT4_lli,"axG",@progbits,_ZL25rocblas_trtri_trsm_kernelILi128ELi16ELi8EfPKfPfEv13rocblas_fill_17rocblas_diagonal_T3_lilT4_lli,comdat
	.globl	_ZL25rocblas_trtri_trsm_kernelILi128ELi16ELi8EfPKfPfEv13rocblas_fill_17rocblas_diagonal_T3_lilT4_lli ; -- Begin function _ZL25rocblas_trtri_trsm_kernelILi128ELi16ELi8EfPKfPfEv13rocblas_fill_17rocblas_diagonal_T3_lilT4_lli
	.p2align	8
	.type	_ZL25rocblas_trtri_trsm_kernelILi128ELi16ELi8EfPKfPfEv13rocblas_fill_17rocblas_diagonal_T3_lilT4_lli,@function
_ZL25rocblas_trtri_trsm_kernelILi128ELi16ELi8EfPKfPfEv13rocblas_fill_17rocblas_diagonal_T3_lilT4_lli: ; @_ZL25rocblas_trtri_trsm_kernelILi128ELi16ELi8EfPKfPfEv13rocblas_fill_17rocblas_diagonal_T3_lilT4_lli
; %bb.0:
	v_cmp_gt_u32_e64 s[0:1], 16, v0
	v_cmp_lt_u32_e64 s[8:9], 15, v0
	v_cmp_gt_u32_e64 s[2:3], 32, v0
	v_cmp_lt_u32_e32 vcc, 31, v0
	v_mov_b32_e32 v1, v0
	s_and_saveexec_b64 s[10:11], s[8:9]
	s_cbranch_execz .LBB63_6
; %bb.1:
                                        ; implicit-def: $vgpr1
	s_and_saveexec_b64 s[8:9], vcc
	s_xor_b64 s[8:9], exec, s[8:9]
; %bb.2:
	v_subrev_u32_e32 v1, 32, v0
; %bb.3:
	s_andn2_saveexec_b64 s[8:9], s[8:9]
; %bb.4:
	v_add_u32_e32 v1, -16, v0
; %bb.5:
	s_or_b64 exec, exec, s[8:9]
.LBB63_6:
	s_or_b64 exec, exec, s[10:11]
	s_load_dword s18, s[4:5], 0x18
	s_load_dwordx2 s[16:17], s[4:5], 0x0
	s_load_dwordx4 s[20:23], s[4:5], 0x8
	s_load_dwordx8 s[8:15], s[4:5], 0x20
	s_lshl_b32 s24, s6, 1
	s_waitcnt lgkmcnt(0)
	s_ashr_i32 s19, s18, 31
	s_lshl_b64 s[4:5], s[18:19], 4
	s_add_u32 s27, s4, 16
	s_addc_u32 s28, s5, 0
	s_mul_i32 s25, s28, s24
	s_mul_hi_u32 s26, s27, s24
	s_add_i32 s31, s26, s25
	s_mul_i32 s9, s9, s7
	s_mul_hi_u32 s25, s8, s7
	s_add_i32 s9, s25, s9
	s_mul_i32 s8, s8, s7
	s_lshl_b64 s[8:9], s[8:9], 2
	s_mul_i32 s30, s27, s24
	s_add_u32 s20, s20, s8
	s_addc_u32 s21, s21, s9
	s_lshl_b64 s[8:9], s[30:31], 2
	s_add_u32 s20, s20, s8
	s_addc_u32 s21, s21, s9
	s_lshl_b64 s[8:9], s[22:23], 2
	s_add_u32 s25, s20, s8
	v_mov_b32_e32 v2, 0xc00
	s_addc_u32 s26, s21, s9
	v_cndmask_b32_e64 v4, 0, v2, s[2:3]
	v_mov_b32_e32 v5, 0x800
	s_and_saveexec_b64 s[8:9], vcc
	s_xor_b64 s[8:9], exec, s[8:9]
	s_cbranch_execz .LBB63_13
; %bb.7:
	v_cmp_gt_u32_e32 vcc, 48, v0
	s_and_saveexec_b64 s[20:21], vcc
	s_cbranch_execz .LBB63_12
; %bb.8:
	v_mov_b32_e32 v2, 0
	v_lshlrev_b64 v[2:3], 2, v[1:2]
	s_cmpk_eq_i32 s16, 0x7a
	s_mov_b64 s[22:23], -1
	s_cbranch_scc1 .LBB63_10
; %bb.9:
	s_lshl_b64 s[22:23], s[18:19], 6
	s_add_u32 s22, s25, s22
	s_addc_u32 s23, s26, s23
	v_mov_b32_e32 v7, s23
	v_add_co_u32_e32 v6, vcc, s22, v2
	v_addc_co_u32_e32 v7, vcc, v7, v3, vcc
	v_mad_i64_i32 v[8:9], s[22:23], s18, 60, v[6:7]
	s_lshl_b64 s[22:23], s[18:19], 2
	s_sub_u32 s22, 0, s22
	s_subb_u32 s23, 0, s23
	v_mov_b32_e32 v11, s23
	v_add_co_u32_e32 v10, vcc, s22, v8
	v_addc_co_u32_e32 v11, vcc, v9, v11, vcc
	global_load_dword v14, v[8:9], off
	global_load_dword v15, v[10:11], off
	v_mov_b32_e32 v9, s23
	v_add_co_u32_e32 v8, vcc, s22, v10
	v_addc_co_u32_e32 v9, vcc, v11, v9, vcc
	v_mov_b32_e32 v12, s23
	v_add_co_u32_e32 v10, vcc, s22, v8
	v_addc_co_u32_e32 v11, vcc, v9, v12, vcc
	;; [unrolled: 3-line block ×3, first 2 shown]
	v_mov_b32_e32 v16, s23
	global_load_dword v22, v[8:9], off
	global_load_dword v23, v[10:11], off
	v_add_co_u32_e32 v8, vcc, s22, v12
	v_addc_co_u32_e32 v9, vcc, v13, v16, vcc
	v_mov_b32_e32 v17, s23
	global_load_dword v11, v[12:13], off
	global_load_dword v16, v[6:7], off
	v_add_co_u32_e32 v6, vcc, s22, v8
	v_addc_co_u32_e32 v7, vcc, v9, v17, vcc
	v_mov_b32_e32 v18, s23
	global_load_dword v12, v[8:9], off
	v_add_co_u32_e32 v8, vcc, s22, v6
	v_addc_co_u32_e32 v9, vcc, v7, v18, vcc
	v_mov_b32_e32 v19, s23
	;; [unrolled: 4-line block ×5, first 2 shown]
	global_load_dword v19, v[8:9], off
	v_add_co_u32_e32 v8, vcc, s22, v6
	v_addc_co_u32_e32 v9, vcc, v7, v10, vcc
	global_load_dword v20, v[6:7], off
	v_mov_b32_e32 v7, s23
	v_add_co_u32_e32 v6, vcc, s22, v8
	v_lshlrev_b32_e32 v10, 2, v1
	v_addc_co_u32_e32 v7, vcc, v9, v7, vcc
	s_waitcnt vmcnt(10)
	ds_write2_b32 v10, v15, v14 offset0:224 offset1:240
	v_mov_b32_e32 v14, s23
	global_load_dword v15, v[8:9], off
	v_add_co_u32_e32 v8, vcc, s22, v6
	v_addc_co_u32_e32 v9, vcc, v7, v14, vcc
	global_load_dword v14, v[6:7], off
	v_mov_b32_e32 v7, s23
	v_add_co_u32_e32 v6, vcc, s22, v8
	v_addc_co_u32_e32 v7, vcc, v9, v7, vcc
	global_load_dword v8, v[8:9], off
	s_nop 0
	global_load_dword v6, v[6:7], off
	s_mov_b64 s[22:23], 0
	s_waitcnt vmcnt(12)
	ds_write2_b32 v10, v23, v22 offset0:192 offset1:208
	s_waitcnt vmcnt(9)
	ds_write2_b32 v10, v12, v11 offset0:160 offset1:176
	;; [unrolled: 2-line block ×6, first 2 shown]
	s_waitcnt vmcnt(0)
	ds_write2_b32 v10, v16, v6 offset1:16
.LBB63_10:
	s_andn2_b64 vcc, exec, s[22:23]
	s_cbranch_vccnz .LBB63_12
; %bb.11:
	v_mov_b32_e32 v6, s26
	v_add_co_u32_e32 v2, vcc, s25, v2
	v_addc_co_u32_e32 v3, vcc, v6, v3, vcc
	s_lshl_b64 s[22:23], s[18:19], 2
	v_mov_b32_e32 v16, s23
	v_add_co_u32_e32 v6, vcc, s22, v2
	v_addc_co_u32_e32 v7, vcc, v3, v16, vcc
	v_add_co_u32_e32 v8, vcc, s22, v6
	v_addc_co_u32_e32 v9, vcc, v7, v16, vcc
	;; [unrolled: 2-line block ×5, first 2 shown]
	global_load_dword v17, v[2:3], off offset:64
	global_load_dword v18, v[6:7], off offset:64
	;; [unrolled: 1-line block ×6, first 2 shown]
	v_add_co_u32_e32 v2, vcc, s22, v14
	v_addc_co_u32_e32 v3, vcc, v15, v16, vcc
	global_load_dword v8, v[2:3], off offset:64
	v_add_co_u32_e32 v2, vcc, s22, v2
	v_addc_co_u32_e32 v3, vcc, v3, v16, vcc
	global_load_dword v9, v[2:3], off offset:64
	;; [unrolled: 3-line block ×7, first 2 shown]
	v_add_co_u32_e32 v2, vcc, s22, v2
	v_addc_co_u32_e32 v3, vcc, v3, v16, vcc
	v_add_co_u32_e32 v6, vcc, s22, v2
	v_addc_co_u32_e32 v7, vcc, v3, v16, vcc
	global_load_dword v15, v[2:3], off offset:64
	v_add_co_u32_e32 v2, vcc, s22, v6
	v_addc_co_u32_e32 v3, vcc, v7, v16, vcc
	global_load_dword v16, v[6:7], off offset:64
	global_load_dword v23, v[2:3], off offset:64
	v_lshlrev_b32_e32 v2, 2, v1
	s_waitcnt vmcnt(14)
	ds_write2_b32 v2, v17, v18 offset1:16
	s_waitcnt vmcnt(12)
	ds_write2_b32 v2, v19, v20 offset0:32 offset1:48
	s_waitcnt vmcnt(10)
	ds_write2_b32 v2, v21, v22 offset0:64 offset1:80
	;; [unrolled: 2-line block ×7, first 2 shown]
.LBB63_12:
	s_or_b64 exec, exec, s[20:21]
.LBB63_13:
	s_or_saveexec_b64 s[8:9], s[8:9]
	v_cndmask_b32_e64 v7, v4, v5, s[0:1]
	s_xor_b64 exec, exec, s[8:9]
	s_cbranch_execz .LBB63_80
; %bb.14:
	v_mov_b32_e32 v2, s28
	v_cndmask_b32_e64 v3, v2, 0, s[0:1]
	v_mov_b32_e32 v2, s27
	v_cndmask_b32_e64 v2, v2, 0, s[0:1]
	v_lshlrev_b64 v[3:4], 2, v[2:3]
	s_cmpk_eq_i32 s16, 0x7a
	s_mov_b64 s[20:21], -1
	s_cbranch_scc1 .LBB63_48
; %bb.15:
	v_mov_b32_e32 v2, 0
	v_mov_b32_e32 v5, s26
	v_add_co_u32_e32 v8, vcc, s25, v3
	v_addc_co_u32_e32 v9, vcc, v5, v4, vcc
	v_lshlrev_b64 v[5:6], 2, v[1:2]
	v_add_co_u32_e32 v5, vcc, v8, v5
	v_addc_co_u32_e32 v6, vcc, v9, v6, vcc
	v_cmp_gt_u32_e32 vcc, 16, v1
	v_mov_b32_e32 v8, 0
	s_and_saveexec_b64 s[20:21], vcc
	s_cbranch_execz .LBB63_17
; %bb.16:
	v_mad_i64_i32 v[8:9], s[22:23], s18, 60, v[5:6]
	global_load_dword v8, v[8:9], off
.LBB63_17:
	s_or_b64 exec, exec, s[20:21]
	v_sub_u32_e32 v9, 0xffffff10, v1
	v_lshl_add_u32 v9, v9, 2, v7
	v_cmp_gt_u32_e32 vcc, 15, v1
	s_waitcnt vmcnt(0)
	ds_write_b32 v9, v8 offset:1020
	s_and_saveexec_b64 s[20:21], vcc
	s_cbranch_execz .LBB63_19
; %bb.18:
	v_mad_i64_i32 v[8:9], s[22:23], s18, 56, v[5:6]
	global_load_dword v2, v[8:9], off
.LBB63_19:
	s_or_b64 exec, exec, s[20:21]
	v_sub_u32_e32 v8, 0xffffff20, v1
	v_lshl_add_u32 v8, v8, 2, v7
	s_waitcnt vmcnt(0)
	ds_write_b32 v8, v2 offset:1020
	v_cmp_gt_u32_e32 vcc, 14, v1
	v_mov_b32_e32 v2, 0
	v_mov_b32_e32 v8, 0
	s_and_saveexec_b64 s[20:21], vcc
	s_cbranch_execz .LBB63_21
; %bb.20:
	v_mad_i64_i32 v[8:9], s[22:23], s18, 52, v[5:6]
	global_load_dword v8, v[8:9], off
.LBB63_21:
	s_or_b64 exec, exec, s[20:21]
	v_sub_u32_e32 v9, 0xffffff30, v1
	v_lshl_add_u32 v9, v9, 2, v7
	v_cmp_gt_u32_e32 vcc, 13, v1
	s_waitcnt vmcnt(0)
	ds_write_b32 v9, v8 offset:1020
	s_and_saveexec_b64 s[20:21], vcc
	s_cbranch_execz .LBB63_23
; %bb.22:
	v_mad_i64_i32 v[8:9], s[22:23], s18, 48, v[5:6]
	global_load_dword v2, v[8:9], off
.LBB63_23:
	s_or_b64 exec, exec, s[20:21]
	v_sub_u32_e32 v8, 0xffffff40, v1
	v_lshl_add_u32 v8, v8, 2, v7
	s_waitcnt vmcnt(0)
	ds_write_b32 v8, v2 offset:1020
	v_cmp_gt_u32_e32 vcc, 12, v1
	v_mov_b32_e32 v2, 0
	;; [unrolled: 26-line block ×3, first 2 shown]
	v_mov_b32_e32 v8, 0
	s_and_saveexec_b64 s[20:21], vcc
	s_cbranch_execz .LBB63_29
; %bb.28:
	v_mad_i64_i32 v[8:9], s[22:23], s18, 36, v[5:6]
	global_load_dword v8, v[8:9], off
.LBB63_29:
	s_or_b64 exec, exec, s[20:21]
	v_sub_u32_e32 v9, 0xffffff70, v1
	v_lshl_add_u32 v9, v9, 2, v7
	v_cmp_gt_u32_e32 vcc, 9, v1
	s_waitcnt vmcnt(0)
	ds_write_b32 v9, v8 offset:1020
	s_and_saveexec_b64 s[20:21], vcc
	s_cbranch_execz .LBB63_31
; %bb.30:
	s_lshl_b64 s[22:23], s[18:19], 5
	v_mov_b32_e32 v2, s23
	v_add_co_u32_e32 v8, vcc, s22, v5
	v_addc_co_u32_e32 v9, vcc, v6, v2, vcc
	global_load_dword v2, v[8:9], off
.LBB63_31:
	s_or_b64 exec, exec, s[20:21]
	v_sub_u32_e32 v8, 0xffffff80, v1
	v_lshl_add_u32 v8, v8, 2, v7
	s_waitcnt vmcnt(0)
	ds_write_b32 v8, v2 offset:1020
	v_cmp_gt_u32_e32 vcc, 8, v1
	v_mov_b32_e32 v2, 0
	v_mov_b32_e32 v8, 0
	s_and_saveexec_b64 s[20:21], vcc
	s_cbranch_execz .LBB63_33
; %bb.32:
	v_mad_i64_i32 v[8:9], s[22:23], s18, 28, v[5:6]
	global_load_dword v8, v[8:9], off
.LBB63_33:
	s_or_b64 exec, exec, s[20:21]
	v_sub_u32_e32 v9, 0xffffff90, v1
	v_lshl_add_u32 v9, v9, 2, v7
	v_cmp_gt_u32_e32 vcc, 7, v1
	s_waitcnt vmcnt(0)
	ds_write_b32 v9, v8 offset:1020
	s_and_saveexec_b64 s[20:21], vcc
	s_cbranch_execz .LBB63_35
; %bb.34:
	v_mad_i64_i32 v[8:9], s[22:23], s18, 24, v[5:6]
	global_load_dword v2, v[8:9], off
.LBB63_35:
	s_or_b64 exec, exec, s[20:21]
	v_sub_u32_e32 v8, 0xffffffa0, v1
	v_lshl_add_u32 v8, v8, 2, v7
	s_waitcnt vmcnt(0)
	ds_write_b32 v8, v2 offset:1020
	v_cmp_gt_u32_e32 vcc, 6, v1
	v_mov_b32_e32 v2, 0
	v_mov_b32_e32 v8, 0
	s_and_saveexec_b64 s[20:21], vcc
	s_cbranch_execz .LBB63_37
; %bb.36:
	v_mad_i64_i32 v[8:9], s[22:23], s18, 20, v[5:6]
	global_load_dword v8, v[8:9], off
.LBB63_37:
	s_or_b64 exec, exec, s[20:21]
	v_sub_u32_e32 v9, 0xffffffb0, v1
	v_lshl_add_u32 v9, v9, 2, v7
	v_cmp_gt_u32_e32 vcc, 5, v1
	s_waitcnt vmcnt(0)
	ds_write_b32 v9, v8 offset:1020
	s_and_saveexec_b64 s[20:21], vcc
	s_cbranch_execz .LBB63_39
; %bb.38:
	v_mov_b32_e32 v2, s5
	v_add_co_u32_e32 v8, vcc, s4, v5
	v_addc_co_u32_e32 v9, vcc, v6, v2, vcc
	global_load_dword v2, v[8:9], off
.LBB63_39:
	s_or_b64 exec, exec, s[20:21]
	v_sub_u32_e32 v8, 0xffffffc0, v1
	v_lshl_add_u32 v8, v8, 2, v7
	s_waitcnt vmcnt(0)
	ds_write_b32 v8, v2 offset:1020
	v_cmp_gt_u32_e32 vcc, 4, v1
	v_mov_b32_e32 v2, 0
	v_mov_b32_e32 v8, 0
	s_and_saveexec_b64 s[20:21], vcc
	s_cbranch_execz .LBB63_41
; %bb.40:
	v_mad_i64_i32 v[8:9], s[22:23], s18, 12, v[5:6]
	global_load_dword v8, v[8:9], off
.LBB63_41:
	s_or_b64 exec, exec, s[20:21]
	v_sub_u32_e32 v9, 0xffffffd0, v1
	v_lshl_add_u32 v9, v9, 2, v7
	v_cmp_gt_u32_e32 vcc, 3, v1
	s_waitcnt vmcnt(0)
	ds_write_b32 v9, v8 offset:1020
	s_and_saveexec_b64 s[20:21], vcc
	s_cbranch_execz .LBB63_43
; %bb.42:
	s_lshl_b64 s[22:23], s[18:19], 3
	v_mov_b32_e32 v2, s23
	v_add_co_u32_e32 v8, vcc, s22, v5
	v_addc_co_u32_e32 v9, vcc, v6, v2, vcc
	global_load_dword v2, v[8:9], off
.LBB63_43:
	s_or_b64 exec, exec, s[20:21]
	v_sub_u32_e32 v8, 0xffffffe0, v1
	v_lshl_add_u32 v8, v8, 2, v7
	s_waitcnt vmcnt(0)
	ds_write_b32 v8, v2 offset:1020
	v_cmp_gt_u32_e32 vcc, 2, v1
	v_mov_b32_e32 v2, 0
	v_mov_b32_e32 v8, 0
	s_and_saveexec_b64 s[20:21], vcc
	s_cbranch_execz .LBB63_45
; %bb.44:
	s_lshl_b64 s[22:23], s[18:19], 2
	v_mov_b32_e32 v9, s23
	v_add_co_u32_e32 v8, vcc, s22, v5
	v_addc_co_u32_e32 v9, vcc, v6, v9, vcc
	global_load_dword v8, v[8:9], off
.LBB63_45:
	s_or_b64 exec, exec, s[20:21]
	v_sub_u32_e32 v9, -16, v1
	v_lshl_add_u32 v9, v9, 2, v7
	v_cmp_eq_u32_e32 vcc, 0, v1
	s_waitcnt vmcnt(0)
	ds_write_b32 v9, v8 offset:1020
	s_and_saveexec_b64 s[20:21], vcc
	s_cbranch_execz .LBB63_47
; %bb.46:
	global_load_dword v2, v[5:6], off
.LBB63_47:
	s_or_b64 exec, exec, s[20:21]
	v_lshlrev_b32_e32 v5, 2, v1
	v_sub_u32_e32 v5, v7, v5
	s_mov_b64 s[20:21], 0
	s_waitcnt vmcnt(0)
	ds_write_b32 v5, v2 offset:1020
.LBB63_48:
	s_and_b64 vcc, exec, s[20:21]
	s_cbranch_vccz .LBB63_80
; %bb.49:
	v_mov_b32_e32 v2, 0
	v_mov_b32_e32 v5, s26
	v_add_co_u32_e32 v6, vcc, s25, v3
	v_addc_co_u32_e32 v5, vcc, v5, v4, vcc
	v_lshlrev_b64 v[3:4], 2, v[1:2]
	v_add_co_u32_e32 v3, vcc, v6, v3
	v_addc_co_u32_e32 v4, vcc, v5, v4, vcc
	global_load_dword v6, v[3:4], off
	v_lshl_add_u32 v5, v1, 2, v7
	v_cmp_ne_u32_e32 vcc, 0, v1
	s_waitcnt vmcnt(0)
	ds_write_b32 v5, v6
	v_mov_b32_e32 v6, 0
	s_and_saveexec_b64 s[20:21], vcc
	s_cbranch_execz .LBB63_51
; %bb.50:
	s_lshl_b64 s[22:23], s[18:19], 2
	v_mov_b32_e32 v6, s23
	v_add_co_u32_e32 v8, vcc, s22, v3
	v_addc_co_u32_e32 v9, vcc, v4, v6, vcc
	global_load_dword v6, v[8:9], off
.LBB63_51:
	s_or_b64 exec, exec, s[20:21]
	v_cmp_lt_u32_e32 vcc, 1, v1
	s_waitcnt vmcnt(0)
	ds_write_b32 v5, v6 offset:64
	s_and_saveexec_b64 s[20:21], vcc
	s_cbranch_execz .LBB63_53
; %bb.52:
	s_lshl_b64 s[22:23], s[18:19], 3
	v_mov_b32_e32 v2, s23
	v_add_co_u32_e32 v8, vcc, s22, v3
	v_addc_co_u32_e32 v9, vcc, v4, v2, vcc
	global_load_dword v2, v[8:9], off
.LBB63_53:
	s_or_b64 exec, exec, s[20:21]
	s_waitcnt vmcnt(0)
	ds_write_b32 v5, v2 offset:128
	v_cmp_lt_u32_e32 vcc, 2, v1
	v_mov_b32_e32 v2, 0
	v_mov_b32_e32 v6, 0
	s_and_saveexec_b64 s[20:21], vcc
	s_cbranch_execz .LBB63_55
; %bb.54:
	v_mad_i64_i32 v[8:9], s[22:23], s18, 12, v[3:4]
	global_load_dword v6, v[8:9], off
.LBB63_55:
	s_or_b64 exec, exec, s[20:21]
	v_cmp_lt_u32_e32 vcc, 3, v1
	s_waitcnt vmcnt(0)
	ds_write_b32 v5, v6 offset:192
	s_and_saveexec_b64 s[20:21], vcc
	s_cbranch_execz .LBB63_57
; %bb.56:
	v_mov_b32_e32 v2, s5
	v_add_co_u32_e32 v8, vcc, s4, v3
	v_addc_co_u32_e32 v9, vcc, v4, v2, vcc
	global_load_dword v2, v[8:9], off
.LBB63_57:
	s_or_b64 exec, exec, s[20:21]
	s_waitcnt vmcnt(0)
	ds_write_b32 v5, v2 offset:256
	v_cmp_lt_u32_e32 vcc, 4, v1
	v_mov_b32_e32 v2, 0
	v_mov_b32_e32 v6, 0
	s_and_saveexec_b64 s[4:5], vcc
	s_cbranch_execz .LBB63_59
; %bb.58:
	v_mad_i64_i32 v[8:9], s[20:21], s18, 20, v[3:4]
	global_load_dword v6, v[8:9], off
.LBB63_59:
	s_or_b64 exec, exec, s[4:5]
	v_cmp_lt_u32_e32 vcc, 5, v1
	s_waitcnt vmcnt(0)
	ds_write_b32 v5, v6 offset:320
	s_and_saveexec_b64 s[4:5], vcc
	s_cbranch_execz .LBB63_61
; %bb.60:
	v_mad_i64_i32 v[8:9], s[20:21], s18, 24, v[3:4]
	global_load_dword v2, v[8:9], off
.LBB63_61:
	s_or_b64 exec, exec, s[4:5]
	s_waitcnt vmcnt(0)
	ds_write_b32 v5, v2 offset:384
	v_cmp_lt_u32_e32 vcc, 6, v1
	v_mov_b32_e32 v2, 0
	v_mov_b32_e32 v6, 0
	s_and_saveexec_b64 s[4:5], vcc
	s_cbranch_execz .LBB63_63
; %bb.62:
	v_mad_i64_i32 v[8:9], s[20:21], s18, 28, v[3:4]
	global_load_dword v6, v[8:9], off
.LBB63_63:
	s_or_b64 exec, exec, s[4:5]
	v_cmp_lt_u32_e32 vcc, 7, v1
	s_waitcnt vmcnt(0)
	ds_write_b32 v5, v6 offset:448
	s_and_saveexec_b64 s[4:5], vcc
	s_cbranch_execz .LBB63_65
; %bb.64:
	s_lshl_b64 s[20:21], s[18:19], 5
	v_mov_b32_e32 v2, s21
	v_add_co_u32_e32 v8, vcc, s20, v3
	v_addc_co_u32_e32 v9, vcc, v4, v2, vcc
	global_load_dword v2, v[8:9], off
.LBB63_65:
	s_or_b64 exec, exec, s[4:5]
	s_waitcnt vmcnt(0)
	ds_write_b32 v5, v2 offset:512
	v_cmp_lt_u32_e32 vcc, 8, v1
	v_mov_b32_e32 v2, 0
	v_mov_b32_e32 v6, 0
	s_and_saveexec_b64 s[4:5], vcc
	s_cbranch_execz .LBB63_67
; %bb.66:
	v_mad_i64_i32 v[8:9], s[20:21], s18, 36, v[3:4]
	global_load_dword v6, v[8:9], off
.LBB63_67:
	s_or_b64 exec, exec, s[4:5]
	v_cmp_lt_u32_e32 vcc, 9, v1
	s_waitcnt vmcnt(0)
	ds_write_b32 v5, v6 offset:576
	s_and_saveexec_b64 s[4:5], vcc
	s_cbranch_execz .LBB63_69
; %bb.68:
	v_mad_i64_i32 v[8:9], s[20:21], s18, 40, v[3:4]
	global_load_dword v2, v[8:9], off
.LBB63_69:
	s_or_b64 exec, exec, s[4:5]
	s_waitcnt vmcnt(0)
	ds_write_b32 v5, v2 offset:640
	v_cmp_lt_u32_e32 vcc, 10, v1
	v_mov_b32_e32 v2, 0
	v_mov_b32_e32 v6, 0
	s_and_saveexec_b64 s[4:5], vcc
	s_cbranch_execz .LBB63_71
; %bb.70:
	v_mad_i64_i32 v[8:9], s[20:21], s18, 44, v[3:4]
	global_load_dword v6, v[8:9], off
.LBB63_71:
	s_or_b64 exec, exec, s[4:5]
	v_cmp_lt_u32_e32 vcc, 11, v1
	s_waitcnt vmcnt(0)
	ds_write_b32 v5, v6 offset:704
	s_and_saveexec_b64 s[4:5], vcc
	s_cbranch_execz .LBB63_73
; %bb.72:
	v_mad_i64_i32 v[8:9], s[20:21], s18, 48, v[3:4]
	global_load_dword v2, v[8:9], off
.LBB63_73:
	;; [unrolled: 22-line block ×3, first 2 shown]
	s_or_b64 exec, exec, s[4:5]
	s_waitcnt vmcnt(0)
	ds_write_b32 v5, v2 offset:896
	v_cmp_lt_u32_e32 vcc, 14, v1
	v_mov_b32_e32 v2, 0
	s_and_saveexec_b64 s[4:5], vcc
	s_cbranch_execz .LBB63_79
; %bb.78:
	v_mad_i64_i32 v[2:3], s[18:19], s18, 60, v[3:4]
	global_load_dword v2, v[2:3], off
.LBB63_79:
	s_or_b64 exec, exec, s[4:5]
	s_waitcnt vmcnt(0)
	ds_write_b32 v5, v2 offset:960
.LBB63_80:
	s_or_b64 exec, exec, s[8:9]
	s_waitcnt lgkmcnt(0)
	s_barrier
	s_and_saveexec_b64 s[4:5], s[2:3]
	s_cbranch_execz .LBB63_86
; %bb.81:
	v_mul_i32_i24_e32 v2, 0x44, v1
	s_cmpk_eq_i32 s17, 0x84
	v_mov_b32_e32 v4, 1.0
	v_add_u32_e32 v2, v7, v2
	s_cbranch_scc1 .LBB63_85
; %bb.82:
	ds_read_b32 v3, v2
	v_mov_b32_e32 v4, 1.0
	s_waitcnt lgkmcnt(0)
	v_cmp_neq_f32_e32 vcc, 0, v3
	s_and_saveexec_b64 s[8:9], vcc
	s_cbranch_execz .LBB63_84
; %bb.83:
	v_div_scale_f32 v4, s[18:19], v3, v3, 1.0
	v_div_scale_f32 v5, vcc, 1.0, v3, 1.0
	v_rcp_f32_e32 v6, v4
	v_fma_f32 v8, -v4, v6, 1.0
	v_fmac_f32_e32 v6, v8, v6
	v_mul_f32_e32 v8, v5, v6
	v_fma_f32 v9, -v4, v8, v5
	v_fmac_f32_e32 v8, v9, v6
	v_fma_f32 v4, -v4, v8, v5
	v_div_fmas_f32 v4, v4, v6, v8
	v_div_fixup_f32 v4, v4, v3, 1.0
.LBB63_84:
	s_or_b64 exec, exec, s[8:9]
.LBB63_85:
	ds_write_b32 v2, v4
.LBB63_86:
	s_or_b64 exec, exec, s[4:5]
	s_waitcnt lgkmcnt(0)
	s_barrier
	s_and_saveexec_b64 s[4:5], s[2:3]
	s_cbranch_execz .LBB63_108
; %bb.87:
	v_lshl_add_u32 v2, v1, 2, v7
	v_mul_i32_i24_e32 v8, 0x44, v1
	v_add_u32_e32 v3, 64, v2
	v_add_u32_e32 v4, 4, v7
	v_add_u32_e32 v5, 0x48, v7
	v_add_u32_e32 v6, 0x80, v2
	s_mov_b32 s17, 0
	v_add_u32_e32 v8, v7, v8
	s_branch .LBB63_89
.LBB63_88:                              ;   in Loop: Header=BB63_89 Depth=1
	v_add_u32_e32 v3, 0x80, v3
	v_add_u32_e32 v4, 0x88, v4
	v_add_u32_e32 v5, 0x88, v5
	s_cmp_eq_u32 s17, 16
	v_add_u32_e32 v6, 0x80, v6
	s_cbranch_scc1 .LBB63_108
.LBB63_89:                              ; =>This Loop Header: Depth=1
                                        ;     Child Loop BB63_95 Depth 2
                                        ;     Child Loop BB63_104 Depth 2
	v_cmp_ge_i32_e32 vcc, s17, v1
                                        ; implicit-def: $sgpr18
	s_and_saveexec_b64 s[8:9], vcc
	s_xor_b64 s[8:9], exec, s[8:9]
; %bb.90:                               ;   in Loop: Header=BB63_89 Depth=1
	s_lshl_b32 s18, s17, 6
; %bb.91:                               ;   in Loop: Header=BB63_89 Depth=1
	s_or_saveexec_b64 s[8:9], s[8:9]
	v_mov_b32_e32 v9, 0
	v_mov_b32_e32 v10, s18
	s_xor_b64 exec, exec, s[8:9]
	s_cbranch_execz .LBB63_93
; %bb.92:                               ;   in Loop: Header=BB63_89 Depth=1
	s_mul_i32 s18, s17, 0x44
	v_add_u32_e32 v9, s18, v7
	s_lshl_b32 s18, s17, 6
	v_add_u32_e32 v10, s18, v2
	ds_read_b32 v10, v10
	ds_read_b32 v9, v9
	s_waitcnt lgkmcnt(0)
	v_fma_f32 v9, v10, v9, 0
	v_mov_b32_e32 v10, s18
.LBB63_93:                              ;   in Loop: Header=BB63_89 Depth=1
	s_or_b64 exec, exec, s[8:9]
	s_or_b32 s18, s17, 1
	v_add_u32_e32 v10, v2, v10
	v_mov_b32_e32 v11, v4
	v_mov_b32_e32 v12, v3
	s_mov_b32 s19, s18
	s_branch .LBB63_95
.LBB63_94:                              ;   in Loop: Header=BB63_95 Depth=2
	s_or_b64 exec, exec, s[8:9]
	s_add_i32 s19, s19, 1
	v_add_u32_e32 v12, 64, v12
	s_cmp_eq_u32 s19, 16
	v_add_u32_e32 v11, 4, v11
	s_cbranch_scc1 .LBB63_99
.LBB63_95:                              ;   Parent Loop BB63_89 Depth=1
                                        ; =>  This Inner Loop Header: Depth=2
	v_cmp_eq_u32_e32 vcc, s19, v1
	s_and_saveexec_b64 s[8:9], vcc
	s_cbranch_execz .LBB63_97
; %bb.96:                               ;   in Loop: Header=BB63_95 Depth=2
	ds_read_b32 v13, v8
	s_waitcnt lgkmcnt(0)
	v_mul_f32_e64 v13, -v9, v13
	ds_write_b32 v10, v13
.LBB63_97:                              ;   in Loop: Header=BB63_95 Depth=2
	s_or_b64 exec, exec, s[8:9]
	v_cmp_lt_i32_e32 vcc, s19, v1
	s_and_saveexec_b64 s[8:9], vcc
	s_cbranch_execz .LBB63_94
; %bb.98:                               ;   in Loop: Header=BB63_95 Depth=2
	ds_read_b32 v13, v12
	ds_read_b32 v14, v11
	s_waitcnt lgkmcnt(0)
	v_fmac_f32_e32 v9, v13, v14
	s_branch .LBB63_94
.LBB63_99:                              ;   in Loop: Header=BB63_89 Depth=1
	v_cmp_lt_i32_e32 vcc, s18, v1
	v_mov_b32_e32 v9, 0
	s_and_saveexec_b64 s[8:9], vcc
	s_cbranch_execz .LBB63_101
; %bb.100:                              ;   in Loop: Header=BB63_89 Depth=1
	s_mul_i32 s19, s18, 0x44
	v_add_u32_e32 v9, s19, v7
	v_lshl_add_u32 v10, s18, 6, v2
	ds_read_b32 v10, v10
	ds_read_b32 v9, v9
	s_waitcnt lgkmcnt(0)
	v_fma_f32 v9, v10, v9, 0
.LBB63_101:                             ;   in Loop: Header=BB63_89 Depth=1
	s_or_b64 exec, exec, s[8:9]
	s_add_i32 s17, s17, 2
	s_cmp_gt_u32 s18, 14
	s_cbranch_scc1 .LBB63_88
; %bb.102:                              ;   in Loop: Header=BB63_89 Depth=1
	s_lshl_b32 s8, s18, 6
	v_add_u32_e32 v10, s8, v2
	v_mov_b32_e32 v11, v6
	v_mov_b32_e32 v12, v5
	s_mov_b32 s18, s17
	s_branch .LBB63_104
.LBB63_103:                             ;   in Loop: Header=BB63_104 Depth=2
	s_or_b64 exec, exec, s[8:9]
	s_add_i32 s18, s18, 1
	v_add_u32_e32 v12, 4, v12
	s_cmp_lg_u32 s18, 16
	v_add_u32_e32 v11, 64, v11
	s_cbranch_scc0 .LBB63_88
.LBB63_104:                             ;   Parent Loop BB63_89 Depth=1
                                        ; =>  This Inner Loop Header: Depth=2
	v_cmp_eq_u32_e32 vcc, s18, v1
	s_and_saveexec_b64 s[8:9], vcc
	s_cbranch_execz .LBB63_106
; %bb.105:                              ;   in Loop: Header=BB63_104 Depth=2
	ds_read_b32 v13, v8
	s_waitcnt lgkmcnt(0)
	v_mul_f32_e64 v13, -v9, v13
	ds_write_b32 v10, v13
.LBB63_106:                             ;   in Loop: Header=BB63_104 Depth=2
	s_or_b64 exec, exec, s[8:9]
	v_cmp_lt_i32_e32 vcc, s18, v1
	s_and_saveexec_b64 s[8:9], vcc
	s_cbranch_execz .LBB63_103
; %bb.107:                              ;   in Loop: Header=BB63_104 Depth=2
	ds_read_b32 v13, v11
	ds_read_b32 v14, v12
	s_waitcnt lgkmcnt(0)
	v_fmac_f32_e32 v9, v13, v14
	s_branch .LBB63_103
.LBB63_108:
	s_or_b64 exec, exec, s[4:5]
	s_cmpk_lg_i32 s16, 0x7a
	s_cselect_b64 s[8:9], -1, 0
	s_movk_i32 s4, 0x100
	v_and_b32_e32 v2, 15, v0
	v_lshrrev_b32_e32 v3, 4, v0
	v_cmp_gt_u32_e64 s[4:5], s4, v0
	s_and_b64 vcc, exec, s[8:9]
	s_waitcnt lgkmcnt(0)
	s_barrier
	s_cbranch_vccz .LBB63_113
; %bb.109:
	s_mov_b64 s[18:19], 0
	s_mov_b64 s[16:17], 0
                                        ; implicit-def: $vgpr4
	s_and_saveexec_b64 s[20:21], s[4:5]
	s_cbranch_execz .LBB63_114
; %bb.110:
	s_movk_i32 s16, 0xf0
	v_bfi_b32 v4, v0, 0, s16
	v_mov_b32_e32 v8, 0xc3c
	v_lshlrev_b32_e32 v5, 2, v2
	v_add_u32_e32 v6, 1, v3
	v_lshl_or_b32 v8, v4, 2, v8
	v_mov_b32_e32 v4, 0
	s_mov_b64 s[16:17], 0
.LBB63_111:                             ; =>This Inner Loop Header: Depth=1
	ds_read_b32 v9, v5
	ds_read_b32 v10, v8
	v_add_u32_e32 v6, -1, v6
	v_cmp_eq_u32_e32 vcc, 0, v6
	v_add_u32_e32 v8, -4, v8
	v_add_u32_e32 v5, 64, v5
	s_or_b64 s[16:17], vcc, s[16:17]
	s_waitcnt lgkmcnt(0)
	v_fmac_f32_e32 v4, v9, v10
	s_andn2_b64 exec, exec, s[16:17]
	s_cbranch_execnz .LBB63_111
; %bb.112:
	s_or_b64 exec, exec, s[16:17]
	s_mov_b64 s[16:17], exec
	s_or_b64 exec, exec, s[20:21]
	s_and_b64 vcc, exec, s[18:19]
	s_cbranch_vccnz .LBB63_115
	s_branch .LBB63_120
.LBB63_113:
	s_mov_b64 s[16:17], 0
                                        ; implicit-def: $vgpr4
	s_cbranch_execnz .LBB63_115
	s_branch .LBB63_120
.LBB63_114:
	s_or_b64 exec, exec, s[20:21]
	s_and_b64 vcc, exec, s[18:19]
	s_cbranch_vccz .LBB63_120
.LBB63_115:
                                        ; implicit-def: $vgpr4
	s_and_saveexec_b64 s[18:19], s[4:5]
	s_cbranch_execz .LBB63_119
; %bb.116:
	v_lshlrev_b32_e32 v4, 2, v0
	v_and_b32_e32 v4, 0x3c0, v4
	v_lshlrev_b32_e32 v6, 2, v3
	s_movk_i32 s20, 0x800
	v_or3_b32 v6, v4, v6, s20
	v_lshlrev_b32_e32 v4, 2, v2
	v_add_u32_e32 v5, -1, v3
	v_lshl_or_b32 v8, v3, 6, v4
	v_mov_b32_e32 v4, 0
	s_mov_b64 s[20:21], 0
.LBB63_117:                             ; =>This Inner Loop Header: Depth=1
	ds_read_b32 v9, v8
	ds_read_b32 v10, v6
	v_add_u32_e32 v5, 1, v5
	v_cmp_lt_u32_e32 vcc, 14, v5
	v_add_u32_e32 v6, 4, v6
	v_add_u32_e32 v8, 64, v8
	s_or_b64 s[20:21], vcc, s[20:21]
	s_waitcnt lgkmcnt(0)
	v_fmac_f32_e32 v4, v9, v10
	s_andn2_b64 exec, exec, s[20:21]
	s_cbranch_execnz .LBB63_117
; %bb.118:
	s_or_b64 exec, exec, s[20:21]
	s_or_b64 s[16:17], s[16:17], exec
.LBB63_119:
	s_or_b64 exec, exec, s[18:19]
.LBB63_120:
	s_and_saveexec_b64 s[18:19], s[16:17]
; %bb.121:
	v_lshlrev_b32_e32 v5, 2, v0
	ds_write_b32 v5, v4 offset:1024
; %bb.122:
	s_or_b64 exec, exec, s[18:19]
	s_bfe_u32 s16, s6, 0x1d0002
	s_mul_i32 s6, s15, s7
	s_mul_hi_u32 s15, s14, s7
	s_add_i32 s15, s15, s6
	s_mul_i32 s14, s14, s7
	s_and_b32 s18, s24, 6
	s_lshl_b64 s[6:7], s[14:15], 2
	s_mov_b32 s17, 0
	s_add_u32 s10, s10, s6
	s_addc_u32 s11, s11, s7
	s_lshl_b64 s[6:7], s[16:17], 16
	s_add_u32 s6, s10, s6
	s_addc_u32 s7, s11, s7
	s_mulk_i32 s18, 0x2040
	s_add_u32 s10, s6, s18
	s_addc_u32 s11, s7, 0
	s_lshl_b64 s[6:7], s[12:13], 2
	s_add_u32 s14, s10, s6
	s_addc_u32 s15, s11, s7
	s_and_b64 vcc, exec, s[8:9]
	s_waitcnt lgkmcnt(0)
	s_barrier
	s_cbranch_vccz .LBB63_128
; %bb.123:
	s_mov_b64 s[10:11], 0
	s_mov_b64 s[6:7], 0
                                        ; implicit-def: $vgpr4
	s_and_saveexec_b64 s[12:13], s[4:5]
	s_cbranch_execz .LBB63_127
; %bb.124:
	v_lshlrev_b32_e32 v6, 2, v0
	v_xor_b32_e32 v4, 15, v2
	v_and_b32_e32 v6, 0x3c0, v6
	v_lshlrev_b32_e32 v8, 2, v2
	s_movk_i32 s6, 0x400
	v_or3_b32 v6, v6, v8, s6
	v_lshlrev_b32_e32 v4, 2, v4
	v_lshlrev_b32_e32 v8, 6, v2
	v_sub_u32_e32 v4, v4, v8
	v_add_u32_e32 v5, -1, v2
	v_add_u32_e32 v8, 0xbc0, v4
	v_mov_b32_e32 v4, 0
	s_mov_b64 s[6:7], 0
.LBB63_125:                             ; =>This Inner Loop Header: Depth=1
	ds_read_b32 v9, v8
	ds_read_b32 v10, v6
	v_add_u32_e32 v5, 1, v5
	v_cmp_lt_u32_e32 vcc, 14, v5
	v_add_u32_e32 v6, 4, v6
	v_subrev_u32_e32 v8, 64, v8
	s_or_b64 s[6:7], vcc, s[6:7]
	s_waitcnt lgkmcnt(0)
	v_fma_f32 v4, -v9, v10, v4
	s_andn2_b64 exec, exec, s[6:7]
	s_cbranch_execnz .LBB63_125
; %bb.126:
	s_or_b64 exec, exec, s[6:7]
	s_mov_b64 s[6:7], exec
.LBB63_127:
	s_or_b64 exec, exec, s[12:13]
	s_mov_b64 s[12:13], 0x2000
	s_and_b64 vcc, exec, s[10:11]
	s_cbranch_vccnz .LBB63_129
	s_branch .LBB63_134
.LBB63_128:
	s_mov_b64 s[6:7], 0
                                        ; implicit-def: $vgpr4
	s_mov_b64 s[12:13], 0x2000
	s_cbranch_execz .LBB63_134
.LBB63_129:
                                        ; implicit-def: $vgpr4
	s_and_saveexec_b64 s[10:11], s[4:5]
	s_cbranch_execz .LBB63_133
; %bb.130:
	v_mov_b32_e32 v4, 0xc00
	v_lshl_or_b32 v5, v2, 2, v4
	v_and_b32_e32 v0, 0xf0, v0
	v_mov_b32_e32 v4, 0x400
	v_lshl_or_b32 v0, v0, 2, v4
	v_add_u32_e32 v6, 1, v2
	v_mov_b32_e32 v4, 0
	s_mov_b64 s[4:5], 0
.LBB63_131:                             ; =>This Inner Loop Header: Depth=1
	ds_read_b32 v8, v5
	ds_read_b32 v9, v0
	v_add_u32_e32 v6, -1, v6
	v_cmp_eq_u32_e32 vcc, 0, v6
	v_add_u32_e32 v0, 4, v0
	v_add_u32_e32 v5, 64, v5
	s_or_b64 s[4:5], vcc, s[4:5]
	s_waitcnt lgkmcnt(0)
	v_fma_f32 v4, -v8, v9, v4
	s_andn2_b64 exec, exec, s[4:5]
	s_cbranch_execnz .LBB63_131
; %bb.132:
	s_or_b64 exec, exec, s[4:5]
	s_or_b64 s[6:7], s[6:7], exec
.LBB63_133:
	s_or_b64 exec, exec, s[10:11]
	s_mov_b64 s[12:13], 64
.LBB63_134:
	s_and_saveexec_b64 s[4:5], s[6:7]
	s_cbranch_execnz .LBB63_136
; %bb.135:
	s_or_b64 exec, exec, s[4:5]
	s_and_saveexec_b64 s[4:5], s[2:3]
	s_cbranch_execnz .LBB63_137
	s_branch .LBB63_146
.LBB63_136:
	v_lshlrev_b32_e32 v0, 2, v2
	v_lshl_or_b32 v0, v3, 9, v0
	v_mov_b32_e32 v2, s15
	v_add_co_u32_e32 v0, vcc, s14, v0
	v_addc_co_u32_e32 v3, vcc, 0, v2, vcc
	v_mov_b32_e32 v5, s13
	v_add_co_u32_e32 v2, vcc, s12, v0
	v_addc_co_u32_e32 v3, vcc, v3, v5, vcc
	global_store_dword v[2:3], v4, off
	s_or_b64 exec, exec, s[4:5]
	s_and_saveexec_b64 s[4:5], s[2:3]
	s_cbranch_execz .LBB63_146
.LBB63_137:
	v_mov_b32_e32 v0, 0x810
	v_cndmask_b32_e64 v0, v0, 0, s[0:1]
	s_andn2_b64 vcc, exec, s[8:9]
	s_mov_b64 s[0:1], -1
	s_cbranch_vccnz .LBB63_142
; %bb.138:
	s_mov_b32 s0, 16
	v_cmp_gt_i32_e32 vcc, 16, v1
	s_and_saveexec_b64 s[2:3], vcc
	s_cbranch_execz .LBB63_141
; %bb.139:
	v_mov_b32_e32 v2, 0
	v_lshlrev_b32_e32 v3, 2, v0
	v_mov_b32_e32 v4, s15
	v_add_co_u32_e32 v5, vcc, s14, v3
	v_lshlrev_b64 v[2:3], 2, v[1:2]
	v_addc_co_u32_e32 v4, vcc, 0, v4, vcc
	v_add_co_u32_e32 v2, vcc, v5, v2
	v_addc_co_u32_e32 v3, vcc, v4, v3, vcc
	v_lshlrev_b32_e32 v4, 2, v1
	v_sub_u32_e32 v4, v7, v4
	v_add_u32_e32 v4, 60, v4
	s_mov_b64 s[4:5], 0
	s_mov_b32 s1, 0
.LBB63_140:                             ; =>This Inner Loop Header: Depth=1
	ds_read_b32 v8, v4
	s_add_i32 s0, s0, -1
	s_lshl_b64 s[6:7], s[0:1], 9
	v_cmp_le_i32_e32 vcc, s0, v1
	v_mov_b32_e32 v6, s7
	s_or_b64 s[4:5], vcc, s[4:5]
	v_add_co_u32_e32 v5, vcc, s6, v2
	v_add_u32_e32 v4, 64, v4
	v_addc_co_u32_e32 v6, vcc, v3, v6, vcc
	s_waitcnt lgkmcnt(0)
	global_store_dword v[5:6], v8, off
	s_andn2_b64 exec, exec, s[4:5]
	s_cbranch_execnz .LBB63_140
.LBB63_141:
	s_or_b64 exec, exec, s[2:3]
	s_mov_b64 s[0:1], 0
.LBB63_142:
	s_andn2_b64 vcc, exec, s[0:1]
	s_cbranch_vccnz .LBB63_146
; %bb.143:
	v_cmp_lt_i32_e32 vcc, -1, v1
	s_and_b64 exec, exec, vcc
	s_cbranch_execz .LBB63_146
; %bb.144:
	v_lshlrev_b32_e32 v0, 2, v0
	v_mov_b32_e32 v2, 0
	v_mov_b32_e32 v3, s15
	v_add_co_u32_e32 v0, vcc, s14, v0
	v_addc_co_u32_e32 v5, vcc, 0, v3, vcc
	v_lshlrev_b64 v[2:3], 2, v[1:2]
	v_lshl_add_u32 v4, v1, 2, v7
	v_add_co_u32_e32 v2, vcc, v0, v2
	v_addc_co_u32_e32 v3, vcc, v5, v3, vcc
	v_add_u32_e32 v0, 1, v1
	s_mov_b64 s[0:1], 0
.LBB63_145:                             ; =>This Inner Loop Header: Depth=1
	ds_read_b32 v1, v4
	v_add_u32_e32 v0, -1, v0
	v_cmp_eq_u32_e32 vcc, 0, v0
	s_or_b64 s[0:1], vcc, s[0:1]
	v_add_u32_e32 v4, 64, v4
	s_waitcnt lgkmcnt(0)
	global_store_dword v[2:3], v1, off
	v_add_co_u32_e32 v2, vcc, 0x200, v2
	v_addc_co_u32_e32 v3, vcc, 0, v3, vcc
	s_andn2_b64 exec, exec, s[0:1]
	s_cbranch_execnz .LBB63_145
.LBB63_146:
	s_endpgm
	.section	.rodata,"a",@progbits
	.p2align	6, 0x0
	.amdhsa_kernel _ZL25rocblas_trtri_trsm_kernelILi128ELi16ELi8EfPKfPfEv13rocblas_fill_17rocblas_diagonal_T3_lilT4_lli
		.amdhsa_group_segment_fixed_size 4096
		.amdhsa_private_segment_fixed_size 0
		.amdhsa_kernarg_size 68
		.amdhsa_user_sgpr_count 6
		.amdhsa_user_sgpr_private_segment_buffer 1
		.amdhsa_user_sgpr_dispatch_ptr 0
		.amdhsa_user_sgpr_queue_ptr 0
		.amdhsa_user_sgpr_kernarg_segment_ptr 1
		.amdhsa_user_sgpr_dispatch_id 0
		.amdhsa_user_sgpr_flat_scratch_init 0
		.amdhsa_user_sgpr_private_segment_size 0
		.amdhsa_uses_dynamic_stack 0
		.amdhsa_system_sgpr_private_segment_wavefront_offset 0
		.amdhsa_system_sgpr_workgroup_id_x 1
		.amdhsa_system_sgpr_workgroup_id_y 0
		.amdhsa_system_sgpr_workgroup_id_z 1
		.amdhsa_system_sgpr_workgroup_info 0
		.amdhsa_system_vgpr_workitem_id 0
		.amdhsa_next_free_vgpr 24
		.amdhsa_next_free_sgpr 32
		.amdhsa_reserve_vcc 1
		.amdhsa_reserve_flat_scratch 0
		.amdhsa_float_round_mode_32 0
		.amdhsa_float_round_mode_16_64 0
		.amdhsa_float_denorm_mode_32 3
		.amdhsa_float_denorm_mode_16_64 3
		.amdhsa_dx10_clamp 1
		.amdhsa_ieee_mode 1
		.amdhsa_fp16_overflow 0
		.amdhsa_exception_fp_ieee_invalid_op 0
		.amdhsa_exception_fp_denorm_src 0
		.amdhsa_exception_fp_ieee_div_zero 0
		.amdhsa_exception_fp_ieee_overflow 0
		.amdhsa_exception_fp_ieee_underflow 0
		.amdhsa_exception_fp_ieee_inexact 0
		.amdhsa_exception_int_div_zero 0
	.end_amdhsa_kernel
	.section	.text._ZL25rocblas_trtri_trsm_kernelILi128ELi16ELi8EfPKfPfEv13rocblas_fill_17rocblas_diagonal_T3_lilT4_lli,"axG",@progbits,_ZL25rocblas_trtri_trsm_kernelILi128ELi16ELi8EfPKfPfEv13rocblas_fill_17rocblas_diagonal_T3_lilT4_lli,comdat
.Lfunc_end63:
	.size	_ZL25rocblas_trtri_trsm_kernelILi128ELi16ELi8EfPKfPfEv13rocblas_fill_17rocblas_diagonal_T3_lilT4_lli, .Lfunc_end63-_ZL25rocblas_trtri_trsm_kernelILi128ELi16ELi8EfPKfPfEv13rocblas_fill_17rocblas_diagonal_T3_lilT4_lli
                                        ; -- End function
	.set _ZL25rocblas_trtri_trsm_kernelILi128ELi16ELi8EfPKfPfEv13rocblas_fill_17rocblas_diagonal_T3_lilT4_lli.num_vgpr, 24
	.set _ZL25rocblas_trtri_trsm_kernelILi128ELi16ELi8EfPKfPfEv13rocblas_fill_17rocblas_diagonal_T3_lilT4_lli.num_agpr, 0
	.set _ZL25rocblas_trtri_trsm_kernelILi128ELi16ELi8EfPKfPfEv13rocblas_fill_17rocblas_diagonal_T3_lilT4_lli.numbered_sgpr, 32
	.set _ZL25rocblas_trtri_trsm_kernelILi128ELi16ELi8EfPKfPfEv13rocblas_fill_17rocblas_diagonal_T3_lilT4_lli.num_named_barrier, 0
	.set _ZL25rocblas_trtri_trsm_kernelILi128ELi16ELi8EfPKfPfEv13rocblas_fill_17rocblas_diagonal_T3_lilT4_lli.private_seg_size, 0
	.set _ZL25rocblas_trtri_trsm_kernelILi128ELi16ELi8EfPKfPfEv13rocblas_fill_17rocblas_diagonal_T3_lilT4_lli.uses_vcc, 1
	.set _ZL25rocblas_trtri_trsm_kernelILi128ELi16ELi8EfPKfPfEv13rocblas_fill_17rocblas_diagonal_T3_lilT4_lli.uses_flat_scratch, 0
	.set _ZL25rocblas_trtri_trsm_kernelILi128ELi16ELi8EfPKfPfEv13rocblas_fill_17rocblas_diagonal_T3_lilT4_lli.has_dyn_sized_stack, 0
	.set _ZL25rocblas_trtri_trsm_kernelILi128ELi16ELi8EfPKfPfEv13rocblas_fill_17rocblas_diagonal_T3_lilT4_lli.has_recursion, 0
	.set _ZL25rocblas_trtri_trsm_kernelILi128ELi16ELi8EfPKfPfEv13rocblas_fill_17rocblas_diagonal_T3_lilT4_lli.has_indirect_call, 0
	.section	.AMDGPU.csdata,"",@progbits
; Kernel info:
; codeLenInByte = 4880
; TotalNumSgprs: 36
; NumVgprs: 24
; ScratchSize: 0
; MemoryBound: 0
; FloatMode: 240
; IeeeMode: 1
; LDSByteSize: 4096 bytes/workgroup (compile time only)
; SGPRBlocks: 4
; VGPRBlocks: 5
; NumSGPRsForWavesPerEU: 36
; NumVGPRsForWavesPerEU: 24
; Occupancy: 10
; WaveLimiterHint : 0
; COMPUTE_PGM_RSRC2:SCRATCH_EN: 0
; COMPUTE_PGM_RSRC2:USER_SGPR: 6
; COMPUTE_PGM_RSRC2:TRAP_HANDLER: 0
; COMPUTE_PGM_RSRC2:TGID_X_EN: 1
; COMPUTE_PGM_RSRC2:TGID_Y_EN: 0
; COMPUTE_PGM_RSRC2:TGID_Z_EN: 1
; COMPUTE_PGM_RSRC2:TIDIG_COMP_CNT: 0
	.section	.text._ZL18rocblas_trtri_fillILi128EfPfEvP15_rocblas_handle13rocblas_fill_ililT1_llii,"axG",@progbits,_ZL18rocblas_trtri_fillILi128EfPfEvP15_rocblas_handle13rocblas_fill_ililT1_llii,comdat
	.globl	_ZL18rocblas_trtri_fillILi128EfPfEvP15_rocblas_handle13rocblas_fill_ililT1_llii ; -- Begin function _ZL18rocblas_trtri_fillILi128EfPfEvP15_rocblas_handle13rocblas_fill_ililT1_llii
	.p2align	8
	.type	_ZL18rocblas_trtri_fillILi128EfPfEvP15_rocblas_handle13rocblas_fill_ililT1_llii,@function
_ZL18rocblas_trtri_fillILi128EfPfEvP15_rocblas_handle13rocblas_fill_ililT1_llii: ; @_ZL18rocblas_trtri_fillILi128EfPfEvP15_rocblas_handle13rocblas_fill_ililT1_llii
; %bb.0:
	s_load_dword s1, s[4:5], 0x40
	s_load_dwordx2 s[2:3], s[4:5], 0x10
	s_mov_b32 s0, s6
	s_waitcnt lgkmcnt(0)
	s_ashr_i32 s6, s1, 31
	s_mul_hi_u32 s8, s2, s1
	s_mul_i32 s6, s2, s6
	s_add_i32 s6, s8, s6
	s_mul_i32 s8, s3, s1
	s_mul_i32 s16, s2, s1
	s_mov_b32 s1, 0
	s_lshl_b64 s[0:1], s[0:1], 7
	s_add_i32 s17, s6, s8
	v_or_b32_e32 v0, s0, v0
	v_mov_b32_e32 v1, s1
	v_cmp_gt_u64_e32 vcc, s[16:17], v[0:1]
	s_and_saveexec_b64 s[0:1], vcc
	s_cbranch_execz .LBB64_14
; %bb.1:
	s_load_dword s18, s[4:5], 0x18
	s_load_dwordx8 s[8:15], s[4:5], 0x20
	s_load_dwordx2 s[20:21], s[4:5], 0x8
	v_cvt_f32_u32_e32 v5, s2
	v_cvt_f32_u32_e32 v6, s3
	s_waitcnt lgkmcnt(0)
	s_ashr_i32 s19, s18, 31
	s_mul_i32 s0, s15, s7
	s_mul_hi_u32 s1, s14, s7
	v_mac_f32_e32 v5, 0x4f800000, v6
	s_add_i32 s1, s1, s0
	s_mul_i32 s0, s14, s7
	v_rcp_f32_e32 v5, v5
	s_lshl_b64 s[0:1], s[0:1], 2
	s_add_u32 s6, s10, s0
	s_addc_u32 s7, s11, s1
	s_lshl_b64 s[0:1], s[12:13], 2
	s_add_u32 s22, s6, s0
	v_mul_f32_e32 v5, 0x5f7ffffc, v5
	s_addc_u32 s23, s7, s1
	s_add_i32 s0, s21, -2
	s_load_dword s6, s[4:5], 0x48
	s_load_dword s7, s[4:5], 0x54
	v_mul_f32_e32 v6, 0x2f800000, v5
	v_cvt_f64_i32_e32 v[2:3], s0
	s_add_i32 s0, s21, -1
	v_trunc_f32_e32 v6, v6
	s_mul_hi_i32 s1, s0, s21
	s_mul_i32 s0, s0, s21
	v_mac_f32_e32 v5, 0xcf800000, v6
	s_ashr_i32 s24, s21, 31
	s_lshl_b64 s[4:5], s[0:1], 2
	v_cvt_u32_f32_e32 v10, v5
	v_cvt_u32_f32_e32 v11, v6
	s_mov_b32 s25, s21
	s_add_u32 s21, s4, -7
	s_addc_u32 s26, s5, -1
	s_lshr_b64 s[4:5], s[0:1], 1
	s_waitcnt lgkmcnt(0)
	s_and_b32 s0, s7, 0xffff
	s_mov_b32 s10, 0
	s_mov_b32 s12, 0
	s_mul_hi_u32 s27, s0, s6
	s_mul_i32 s28, s0, s6
	s_mov_b64 s[6:7], 0
	v_mov_b32_e32 v4, 0
	s_brev_b32 s11, 8
	v_mov_b32_e32 v9, 0x260
	s_movk_i32 s29, 0xffe0
	s_mov_b32 s13, 0xc1f00000
	v_mov_b32_e32 v12, 0x100
	v_mov_b32_e32 v13, 0xffffff80
	s_branch .LBB64_3
.LBB64_2:                               ;   in Loop: Header=BB64_3 Depth=1
	v_mov_b32_e32 v5, s27
	v_add_co_u32_e32 v0, vcc, s28, v0
	v_addc_co_u32_e32 v1, vcc, v1, v5, vcc
	v_cmp_le_u64_e32 vcc, s[16:17], v[0:1]
	s_or_b64 s[6:7], vcc, s[6:7]
	s_andn2_b64 exec, exec, s[6:7]
	s_cbranch_execz .LBB64_14
.LBB64_3:                               ; =>This Inner Loop Header: Depth=1
	v_or_b32_e32 v5, s3, v1
	v_cmp_ne_u64_e32 vcc, 0, v[4:5]
                                        ; implicit-def: $vgpr5_vgpr6
	s_and_saveexec_b64 s[0:1], vcc
	s_xor_b64 s[14:15], exec, s[0:1]
	s_cbranch_execz .LBB64_5
; %bb.4:                                ;   in Loop: Header=BB64_3 Depth=1
	s_sub_u32 s30, 0, s2
	v_readfirstlane_b32 s0, v10
	v_readfirstlane_b32 s34, v11
	s_subb_u32 s31, 0, s3
	s_mul_hi_u32 s33, s30, s0
	s_mul_i32 s35, s30, s34
	s_mul_i32 s1, s31, s0
	s_add_i32 s33, s33, s35
	s_add_i32 s33, s33, s1
	s_mul_i32 s36, s30, s0
	s_mul_i32 s35, s0, s33
	s_mul_hi_u32 s37, s0, s36
	s_mul_hi_u32 s1, s0, s33
	s_add_u32 s35, s37, s35
	s_addc_u32 s1, 0, s1
	s_mul_hi_u32 s38, s34, s36
	s_mul_i32 s36, s34, s36
	s_add_u32 s35, s35, s36
	s_mul_hi_u32 s37, s34, s33
	s_addc_u32 s1, s1, s38
	s_addc_u32 s35, s37, 0
	s_mul_i32 s33, s34, s33
	s_add_u32 s1, s1, s33
	s_addc_u32 s33, 0, s35
	s_add_u32 s35, s0, s1
	s_cselect_b64 s[0:1], -1, 0
	s_cmp_lg_u64 s[0:1], 0
	s_addc_u32 s33, s34, s33
	s_mul_i32 s0, s30, s33
	s_mul_hi_u32 s1, s30, s35
	s_add_i32 s0, s1, s0
	s_mul_i32 s31, s31, s35
	s_add_i32 s0, s0, s31
	s_mul_i32 s30, s30, s35
	s_mul_hi_u32 s31, s33, s30
	s_mul_i32 s34, s33, s30
	s_mul_i32 s37, s35, s0
	s_mul_hi_u32 s30, s35, s30
	s_mul_hi_u32 s36, s35, s0
	s_add_u32 s30, s30, s37
	s_addc_u32 s36, 0, s36
	s_add_u32 s30, s30, s34
	s_mul_hi_u32 s1, s33, s0
	s_addc_u32 s30, s36, s31
	s_addc_u32 s1, s1, 0
	s_mul_i32 s0, s33, s0
	s_add_u32 s0, s30, s0
	s_addc_u32 s30, 0, s1
	s_add_u32 s31, s35, s0
	s_cselect_b64 s[0:1], -1, 0
	s_cmp_lg_u64 s[0:1], 0
	s_addc_u32 s30, s33, s30
	v_mad_u64_u32 v[5:6], s[0:1], v0, s30, 0
	v_mul_hi_u32 v7, v0, s31
	v_add_co_u32_e32 v14, vcc, v7, v5
	v_addc_co_u32_e32 v15, vcc, 0, v6, vcc
	v_mad_u64_u32 v[5:6], s[0:1], v1, s31, 0
	v_mad_u64_u32 v[7:8], s[0:1], v1, s30, 0
	v_add_co_u32_e32 v5, vcc, v14, v5
	v_addc_co_u32_e32 v5, vcc, v15, v6, vcc
	v_addc_co_u32_e32 v6, vcc, 0, v8, vcc
	v_add_co_u32_e32 v7, vcc, v5, v7
	v_addc_co_u32_e32 v8, vcc, 0, v6, vcc
	v_mul_lo_u32 v14, s3, v7
	v_mul_lo_u32 v15, s2, v8
	v_mad_u64_u32 v[5:6], s[0:1], s2, v7, 0
	v_add3_u32 v6, v6, v15, v14
	v_sub_u32_e32 v14, v1, v6
	v_mov_b32_e32 v15, s3
	v_sub_co_u32_e32 v5, vcc, v0, v5
	v_subb_co_u32_e64 v14, s[0:1], v14, v15, vcc
	v_subrev_co_u32_e64 v15, s[0:1], s2, v5
	v_subbrev_co_u32_e64 v14, s[0:1], 0, v14, s[0:1]
	v_cmp_le_u32_e64 s[0:1], s3, v14
	v_cndmask_b32_e64 v16, 0, -1, s[0:1]
	v_cmp_le_u32_e64 s[0:1], s2, v15
	v_cndmask_b32_e64 v15, 0, -1, s[0:1]
	v_cmp_eq_u32_e64 s[0:1], s3, v14
	v_cndmask_b32_e64 v14, v16, v15, s[0:1]
	v_add_co_u32_e64 v15, s[0:1], 2, v7
	v_addc_co_u32_e64 v16, s[0:1], 0, v8, s[0:1]
	v_add_co_u32_e64 v17, s[0:1], 1, v7
	v_addc_co_u32_e64 v18, s[0:1], 0, v8, s[0:1]
	v_subb_co_u32_e32 v6, vcc, v1, v6, vcc
	v_cmp_ne_u32_e64 s[0:1], 0, v14
	v_cmp_le_u32_e32 vcc, s3, v6
	v_cndmask_b32_e64 v14, v18, v16, s[0:1]
	v_cndmask_b32_e64 v16, 0, -1, vcc
	v_cmp_le_u32_e32 vcc, s2, v5
	v_cndmask_b32_e64 v5, 0, -1, vcc
	v_cmp_eq_u32_e32 vcc, s3, v6
	v_cndmask_b32_e32 v5, v16, v5, vcc
	v_cmp_ne_u32_e32 vcc, 0, v5
	v_cndmask_b32_e64 v5, v17, v15, s[0:1]
	v_cndmask_b32_e32 v6, v8, v14, vcc
	v_cndmask_b32_e32 v5, v7, v5, vcc
.LBB64_5:                               ;   in Loop: Header=BB64_3 Depth=1
	s_andn2_saveexec_b64 s[0:1], s[14:15]
	s_cbranch_execz .LBB64_7
; %bb.6:                                ;   in Loop: Header=BB64_3 Depth=1
	v_cvt_f32_u32_e32 v5, s2
	s_sub_i32 s14, 0, s2
	v_rcp_iflag_f32_e32 v5, v5
	v_mul_f32_e32 v5, 0x4f7ffffe, v5
	v_cvt_u32_f32_e32 v5, v5
	v_mul_lo_u32 v6, s14, v5
	v_mul_hi_u32 v6, v5, v6
	v_add_u32_e32 v5, v5, v6
	v_mul_hi_u32 v5, v0, v5
	v_mul_lo_u32 v6, v5, s2
	v_add_u32_e32 v7, 1, v5
	v_sub_u32_e32 v6, v0, v6
	v_subrev_u32_e32 v8, s2, v6
	v_cmp_le_u32_e32 vcc, s2, v6
	v_cndmask_b32_e32 v6, v6, v8, vcc
	v_cndmask_b32_e32 v5, v5, v7, vcc
	v_add_u32_e32 v7, 1, v5
	v_cmp_le_u32_e32 vcc, s2, v6
	v_cndmask_b32_e32 v5, v5, v7, vcc
	v_mov_b32_e32 v6, v4
.LBB64_7:                               ;   in Loop: Header=BB64_3 Depth=1
	s_or_b64 exec, exec, s[0:1]
	v_mul_lo_u32 v14, v6, s2
	v_mul_lo_u32 v15, v5, s3
	v_mad_u64_u32 v[7:8], s[0:1], v5, s2, 0
	s_cmpk_lt_i32 s20, 0x7a
	s_mov_b64 s[0:1], -1
	v_add3_u32 v8, v8, v15, v14
	v_sub_co_u32_e32 v7, vcc, v0, v7
	v_subb_co_u32_e32 v8, vcc, v1, v8, vcc
	s_cbranch_scc1 .LBB64_11
; %bb.8:                                ;   in Loop: Header=BB64_3 Depth=1
	s_cmpk_eq_i32 s20, 0x7a
	s_cbranch_scc0 .LBB64_10
; %bb.9:                                ;   in Loop: Header=BB64_3 Depth=1
	v_lshlrev_b64 v[14:15], 3, v[7:8]
	v_mov_b32_e32 v16, s26
	v_sub_co_u32_e32 v17, vcc, s21, v14
	v_subb_co_u32_e32 v14, vcc, v16, v15, vcc
	v_cvt_f64_u32_e32 v[14:15], v14
	v_cvt_f64_u32_e32 v[16:17], v17
	v_mul_lo_u32 v22, v6, s8
	v_mul_lo_u32 v23, v5, s9
	v_ldexp_f64 v[14:15], v[14:15], 32
	v_mov_b32_e32 v24, s23
	v_mov_b32_e32 v25, s24
	v_add_f64 v[14:15], v[14:15], v[16:17]
	v_cmp_gt_f64_e32 vcc, s[10:11], v[14:15]
	v_cndmask_b32_e32 v16, 0, v12, vcc
	v_ldexp_f64 v[14:15], v[14:15], v16
	v_rsq_f64_e32 v[16:17], v[14:15]
	v_mul_f64 v[18:19], v[14:15], v[16:17]
	v_mul_f64 v[16:17], v[16:17], 0.5
	v_fma_f64 v[20:21], -v[16:17], v[18:19], 0.5
	v_fma_f64 v[18:19], v[18:19], v[20:21], v[18:19]
	v_fma_f64 v[16:17], v[16:17], v[20:21], v[16:17]
	v_fma_f64 v[20:21], -v[18:19], v[18:19], v[14:15]
	v_fma_f64 v[18:19], v[20:21], v[16:17], v[18:19]
	v_fma_f64 v[20:21], -v[18:19], v[18:19], v[14:15]
	v_fma_f64 v[16:17], v[20:21], v[16:17], v[18:19]
	v_cndmask_b32_e32 v18, 0, v13, vcc
	v_cmp_class_f64_e32 vcc, v[14:15], v9
	v_mov_b32_e32 v21, s5
	v_ldexp_f64 v[16:17], v[16:17], v18
	v_mad_u64_u32 v[18:19], s[0:1], v5, s8, 0
	v_add3_u32 v19, v19, v23, v22
	v_lshlrev_b64 v[18:19], 2, v[18:19]
	v_cndmask_b32_e32 v15, v17, v15, vcc
	v_cndmask_b32_e32 v14, v16, v14, vcc
	v_fma_f64 v[14:15], v[14:15], 0.5, -0.5
	v_subrev_co_u32_e32 v20, vcc, s4, v7
	v_subb_co_u32_e32 v21, vcc, v8, v21, vcc
	v_add_co_u32_e32 v26, vcc, s22, v18
	v_addc_co_u32_e32 v24, vcc, v24, v19, vcc
	v_floor_f64_e32 v[14:15], v[14:15]
	v_add_f64 v[14:15], v[2:3], -v[14:15]
	v_trunc_f64_e32 v[14:15], v[14:15]
	v_ldexp_f64 v[16:17], v[14:15], s29
	v_floor_f64_e32 v[16:17], v[16:17]
	v_fma_f64 v[14:15], v[16:17], s[12:13], v[14:15]
	v_cvt_u32_f64_e32 v16, v[16:17]
	v_cvt_u32_f64_e32 v15, v[14:15]
	v_mul_lo_u32 v14, v16, s18
	v_mul_lo_u32 v19, v15, s19
	v_mad_u64_u32 v[17:18], s[0:1], v15, s18, 0
	v_sub_co_u32_e32 v22, vcc, s25, v15
	v_subb_co_u32_e32 v23, vcc, v25, v16, vcc
	v_add3_u32 v18, v18, v19, v14
	v_add_co_u32_e32 v14, vcc, -1, v22
	v_addc_co_u32_e32 v19, vcc, -1, v23, vcc
	v_mul_lo_u32 v25, v14, v23
	v_mul_lo_u32 v27, v19, v22
	v_mad_u64_u32 v[22:23], s[0:1], v14, v22, 0
	v_lshlrev_b64 v[14:15], 2, v[15:16]
	v_lshlrev_b64 v[16:17], 2, v[17:18]
	;; [unrolled: 1-line block ×3, first 2 shown]
	v_add_co_u32_e32 v18, vcc, v26, v16
	v_addc_co_u32_e32 v21, vcc, v24, v17, vcc
	v_add3_u32 v23, v23, v25, v27
	v_add_co_u32_e32 v18, vcc, v18, v19
	v_lshlrev_b64 v[16:17], 1, v[22:23]
	v_addc_co_u32_e32 v19, vcc, v21, v20, vcc
	v_add_co_u32_e32 v14, vcc, v18, v14
	v_addc_co_u32_e32 v15, vcc, v19, v15, vcc
	v_and_b32_e32 v16, -4, v16
	v_add_co_u32_e32 v14, vcc, v14, v16
	v_addc_co_u32_e32 v15, vcc, v15, v17, vcc
	global_store_dword v[14:15], v4, off offset:4
.LBB64_10:                              ;   in Loop: Header=BB64_3 Depth=1
	s_mov_b64 s[0:1], 0
.LBB64_11:                              ;   in Loop: Header=BB64_3 Depth=1
	s_andn2_b64 vcc, exec, s[0:1]
	s_cbranch_vccnz .LBB64_2
; %bb.12:                               ;   in Loop: Header=BB64_3 Depth=1
	s_cmpk_lg_i32 s20, 0x79
	s_cbranch_scc1 .LBB64_2
; %bb.13:                               ;   in Loop: Header=BB64_3 Depth=1
	v_lshlrev_b64 v[14:15], 3, v[7:8]
	v_mov_b32_e32 v22, s23
	v_cvt_f64_u32_e32 v[15:16], v15
	v_or_b32_e32 v14, 1, v14
	v_cvt_f64_u32_e32 v[17:18], v14
	v_ldexp_f64 v[15:16], v[15:16], 32
	v_add_f64 v[14:15], v[15:16], v[17:18]
	v_cmp_gt_f64_e32 vcc, s[10:11], v[14:15]
	v_cndmask_b32_e32 v16, 0, v12, vcc
	v_ldexp_f64 v[14:15], v[14:15], v16
	v_rsq_f64_e32 v[16:17], v[14:15]
	v_mul_f64 v[18:19], v[14:15], v[16:17]
	v_mul_f64 v[16:17], v[16:17], 0.5
	v_fma_f64 v[20:21], -v[16:17], v[18:19], 0.5
	v_fma_f64 v[18:19], v[18:19], v[20:21], v[18:19]
	v_fma_f64 v[16:17], v[16:17], v[20:21], v[16:17]
	v_fma_f64 v[20:21], -v[18:19], v[18:19], v[14:15]
	v_fma_f64 v[18:19], v[20:21], v[16:17], v[18:19]
	v_fma_f64 v[20:21], -v[18:19], v[18:19], v[14:15]
	v_fma_f64 v[16:17], v[20:21], v[16:17], v[18:19]
	v_cndmask_b32_e32 v18, 0, v13, vcc
	v_cmp_class_f64_e32 vcc, v[14:15], v9
	v_mul_lo_u32 v20, v6, s8
	v_mul_lo_u32 v21, v5, s9
	v_mad_u64_u32 v[5:6], s[0:1], v5, s8, 0
	v_ldexp_f64 v[16:17], v[16:17], v18
	v_mov_b32_e32 v18, s18
	v_add3_u32 v6, v6, v21, v20
	v_mov_b32_e32 v19, s19
	v_lshlrev_b64 v[5:6], 2, v[5:6]
	v_cndmask_b32_e32 v15, v17, v15, vcc
	v_cndmask_b32_e32 v14, v16, v14, vcc
	v_add_f64 v[14:15], v[14:15], -1.0
	v_mul_f64 v[14:15], v[14:15], 0.5
	v_trunc_f64_e32 v[14:15], v[14:15]
	v_ldexp_f64 v[16:17], v[14:15], s29
	v_floor_f64_e32 v[16:17], v[16:17]
	v_fma_f64 v[14:15], v[16:17], s[12:13], v[14:15]
	v_cvt_u32_f64_e32 v16, v[16:17]
	v_cvt_u32_f64_e32 v15, v[14:15]
	v_mul_lo_u32 v14, s18, v16
	v_mad_u64_u32 v[20:21], s[0:1], v15, v15, v[15:16]
	v_mul_lo_u32 v23, v15, v16
	v_mad_u64_u32 v[16:17], s[0:1], s18, v15, v[18:19]
	v_mul_lo_u32 v15, s19, v15
	v_add_co_u32_e32 v18, vcc, s22, v5
	v_add3_u32 v21, v23, v21, v23
	v_addc_co_u32_e32 v19, vcc, v22, v6, vcc
	v_lshrrev_b64 v[5:6], 1, v[20:21]
	v_add3_u32 v17, v15, v17, v14
	v_lshlrev_b64 v[14:15], 2, v[16:17]
	v_sub_co_u32_e32 v5, vcc, v7, v5
	v_subb_co_u32_e32 v6, vcc, v8, v6, vcc
	v_add_co_u32_e32 v7, vcc, v18, v14
	v_lshlrev_b64 v[5:6], 2, v[5:6]
	v_addc_co_u32_e32 v8, vcc, v19, v15, vcc
	v_add_co_u32_e32 v5, vcc, v7, v5
	v_addc_co_u32_e32 v6, vcc, v8, v6, vcc
	global_store_dword v[5:6], v4, off
	s_branch .LBB64_2
.LBB64_14:
	s_endpgm
	.section	.rodata,"a",@progbits
	.p2align	6, 0x0
	.amdhsa_kernel _ZL18rocblas_trtri_fillILi128EfPfEvP15_rocblas_handle13rocblas_fill_ililT1_llii
		.amdhsa_group_segment_fixed_size 0
		.amdhsa_private_segment_fixed_size 0
		.amdhsa_kernarg_size 328
		.amdhsa_user_sgpr_count 6
		.amdhsa_user_sgpr_private_segment_buffer 1
		.amdhsa_user_sgpr_dispatch_ptr 0
		.amdhsa_user_sgpr_queue_ptr 0
		.amdhsa_user_sgpr_kernarg_segment_ptr 1
		.amdhsa_user_sgpr_dispatch_id 0
		.amdhsa_user_sgpr_flat_scratch_init 0
		.amdhsa_user_sgpr_private_segment_size 0
		.amdhsa_uses_dynamic_stack 0
		.amdhsa_system_sgpr_private_segment_wavefront_offset 0
		.amdhsa_system_sgpr_workgroup_id_x 1
		.amdhsa_system_sgpr_workgroup_id_y 0
		.amdhsa_system_sgpr_workgroup_id_z 1
		.amdhsa_system_sgpr_workgroup_info 0
		.amdhsa_system_vgpr_workitem_id 0
		.amdhsa_next_free_vgpr 28
		.amdhsa_next_free_sgpr 39
		.amdhsa_reserve_vcc 1
		.amdhsa_reserve_flat_scratch 0
		.amdhsa_float_round_mode_32 0
		.amdhsa_float_round_mode_16_64 0
		.amdhsa_float_denorm_mode_32 3
		.amdhsa_float_denorm_mode_16_64 3
		.amdhsa_dx10_clamp 1
		.amdhsa_ieee_mode 1
		.amdhsa_fp16_overflow 0
		.amdhsa_exception_fp_ieee_invalid_op 0
		.amdhsa_exception_fp_denorm_src 0
		.amdhsa_exception_fp_ieee_div_zero 0
		.amdhsa_exception_fp_ieee_overflow 0
		.amdhsa_exception_fp_ieee_underflow 0
		.amdhsa_exception_fp_ieee_inexact 0
		.amdhsa_exception_int_div_zero 0
	.end_amdhsa_kernel
	.section	.text._ZL18rocblas_trtri_fillILi128EfPfEvP15_rocblas_handle13rocblas_fill_ililT1_llii,"axG",@progbits,_ZL18rocblas_trtri_fillILi128EfPfEvP15_rocblas_handle13rocblas_fill_ililT1_llii,comdat
.Lfunc_end64:
	.size	_ZL18rocblas_trtri_fillILi128EfPfEvP15_rocblas_handle13rocblas_fill_ililT1_llii, .Lfunc_end64-_ZL18rocblas_trtri_fillILi128EfPfEvP15_rocblas_handle13rocblas_fill_ililT1_llii
                                        ; -- End function
	.set _ZL18rocblas_trtri_fillILi128EfPfEvP15_rocblas_handle13rocblas_fill_ililT1_llii.num_vgpr, 28
	.set _ZL18rocblas_trtri_fillILi128EfPfEvP15_rocblas_handle13rocblas_fill_ililT1_llii.num_agpr, 0
	.set _ZL18rocblas_trtri_fillILi128EfPfEvP15_rocblas_handle13rocblas_fill_ililT1_llii.numbered_sgpr, 39
	.set _ZL18rocblas_trtri_fillILi128EfPfEvP15_rocblas_handle13rocblas_fill_ililT1_llii.num_named_barrier, 0
	.set _ZL18rocblas_trtri_fillILi128EfPfEvP15_rocblas_handle13rocblas_fill_ililT1_llii.private_seg_size, 0
	.set _ZL18rocblas_trtri_fillILi128EfPfEvP15_rocblas_handle13rocblas_fill_ililT1_llii.uses_vcc, 1
	.set _ZL18rocblas_trtri_fillILi128EfPfEvP15_rocblas_handle13rocblas_fill_ililT1_llii.uses_flat_scratch, 0
	.set _ZL18rocblas_trtri_fillILi128EfPfEvP15_rocblas_handle13rocblas_fill_ililT1_llii.has_dyn_sized_stack, 0
	.set _ZL18rocblas_trtri_fillILi128EfPfEvP15_rocblas_handle13rocblas_fill_ililT1_llii.has_recursion, 0
	.set _ZL18rocblas_trtri_fillILi128EfPfEvP15_rocblas_handle13rocblas_fill_ililT1_llii.has_indirect_call, 0
	.section	.AMDGPU.csdata,"",@progbits
; Kernel info:
; codeLenInByte = 1892
; TotalNumSgprs: 43
; NumVgprs: 28
; ScratchSize: 0
; MemoryBound: 0
; FloatMode: 240
; IeeeMode: 1
; LDSByteSize: 0 bytes/workgroup (compile time only)
; SGPRBlocks: 5
; VGPRBlocks: 6
; NumSGPRsForWavesPerEU: 43
; NumVGPRsForWavesPerEU: 28
; Occupancy: 9
; WaveLimiterHint : 0
; COMPUTE_PGM_RSRC2:SCRATCH_EN: 0
; COMPUTE_PGM_RSRC2:USER_SGPR: 6
; COMPUTE_PGM_RSRC2:TRAP_HANDLER: 0
; COMPUTE_PGM_RSRC2:TGID_X_EN: 1
; COMPUTE_PGM_RSRC2:TGID_Y_EN: 0
; COMPUTE_PGM_RSRC2:TGID_Z_EN: 1
; COMPUTE_PGM_RSRC2:TIDIG_COMP_CNT: 0
	.section	.text._ZL24rocblas_copy_matrix_trsmILi128ELi8EfPKfPfEviiiT2_ilT3_illli,"axG",@progbits,_ZL24rocblas_copy_matrix_trsmILi128ELi8EfPKfPfEviiiT2_ilT3_illli,comdat
	.globl	_ZL24rocblas_copy_matrix_trsmILi128ELi8EfPKfPfEviiiT2_ilT3_illli ; -- Begin function _ZL24rocblas_copy_matrix_trsmILi128ELi8EfPKfPfEviiiT2_ilT3_illli
	.p2align	8
	.type	_ZL24rocblas_copy_matrix_trsmILi128ELi8EfPKfPfEviiiT2_ilT3_illli,@function
_ZL24rocblas_copy_matrix_trsmILi128ELi8EfPKfPfEviiiT2_ilT3_illli: ; @_ZL24rocblas_copy_matrix_trsmILi128ELi8EfPKfPfEviiiT2_ilT3_illli
; %bb.0:
	s_load_dwordx2 s[0:1], s[4:5], 0x0
	v_mov_b32_e32 v3, 0
	v_lshl_add_u32 v2, s6, 7, v0
	v_lshl_add_u32 v0, s7, 3, v1
	v_mov_b32_e32 v1, v3
	s_waitcnt lgkmcnt(0)
	s_ashr_i32 s7, s1, 31
	s_mov_b32 s6, s1
	s_ashr_i32 s1, s0, 31
	v_cmp_gt_u64_e32 vcc, s[0:1], v[2:3]
	v_cmp_gt_u64_e64 s[0:1], s[6:7], v[0:1]
	s_and_b64 s[0:1], vcc, s[0:1]
	s_and_saveexec_b64 s[2:3], s[0:1]
	s_cbranch_execz .LBB65_3
; %bb.1:
	s_load_dwordx2 s[10:11], s[4:5], 0x10
	s_load_dword s18, s[4:5], 0x18
	s_load_dwordx4 s[12:15], s[4:5], 0x20
	s_load_dword s19, s[4:5], 0x30
	s_load_dwordx4 s[0:3], s[4:5], 0x38
	s_load_dwordx2 s[16:17], s[4:5], 0x48
	s_load_dword s9, s[4:5], 0x5c
	s_waitcnt lgkmcnt(0)
	s_ashr_i32 s20, s18, 31
	v_mad_u64_u32 v[4:5], s[4:5], s19, v0, 0
	s_ashr_i32 s21, s19, 31
	s_mul_i32 s1, s1, s8
	v_mad_u64_u32 v[5:6], s[4:5], s21, v0, v[5:6]
	s_mul_hi_u32 s22, s0, s8
	s_add_i32 s1, s22, s1
	s_mul_i32 s0, s0, s8
	s_lshl_b32 s9, s9, 3
	s_lshl_b64 s[0:1], s[0:1], 2
	s_lshl_b64 s[4:5], s[16:17], 2
	v_lshlrev_b64 v[4:5], 2, v[4:5]
	s_add_u32 s0, s4, s0
	s_addc_u32 s1, s5, s1
	v_mov_b32_e32 v6, s1
	v_add_co_u32_e32 v7, vcc, s0, v4
	v_addc_co_u32_e32 v6, vcc, v6, v5, vcc
	v_lshlrev_b64 v[4:5], 2, v[2:3]
	s_mul_i32 s21, s21, s9
	v_add_co_u32_e32 v2, vcc, v7, v4
	v_addc_co_u32_e32 v3, vcc, v6, v5, vcc
	v_mov_b32_e32 v6, s15
	v_add_co_u32_e32 v2, vcc, s14, v2
	v_addc_co_u32_e32 v3, vcc, v6, v3, vcc
	v_mad_u64_u32 v[6:7], s[4:5], s18, v0, 0
	s_mul_hi_u32 s0, s19, s9
	s_mul_i32 s13, s13, s8
	v_mad_u64_u32 v[7:8], s[4:5], s20, v0, v[7:8]
	s_mul_hi_u32 s14, s12, s8
	s_add_i32 s1, s0, s21
	s_mul_i32 s0, s19, s9
	s_add_i32 s5, s14, s13
	s_mul_i32 s4, s12, s8
	s_lshl_b64 s[0:1], s[0:1], 2
	s_lshl_b64 s[4:5], s[4:5], 2
	;; [unrolled: 1-line block ×3, first 2 shown]
	v_lshlrev_b64 v[6:7], 2, v[6:7]
	s_add_u32 s2, s2, s4
	s_addc_u32 s3, s3, s5
	v_mov_b32_e32 v8, s3
	v_add_co_u32_e32 v6, vcc, s2, v6
	v_addc_co_u32_e32 v7, vcc, v8, v7, vcc
	v_add_co_u32_e32 v4, vcc, v6, v4
	s_mul_i32 s20, s20, s9
	s_mul_hi_u32 s2, s18, s9
	v_addc_co_u32_e32 v5, vcc, v7, v5, vcc
	s_add_i32 s3, s2, s20
	s_mul_i32 s2, s18, s9
	v_mov_b32_e32 v6, s11
	v_add_co_u32_e32 v4, vcc, s10, v4
	s_lshl_b64 s[2:3], s[2:3], 2
	v_addc_co_u32_e32 v5, vcc, v6, v5, vcc
	s_mov_b64 s[4:5], 0
	v_mov_b32_e32 v6, s1
	v_mov_b32_e32 v7, s3
.LBB65_2:                               ; =>This Inner Loop Header: Depth=1
	global_load_dword v8, v[4:5], off
	v_add_co_u32_e32 v0, vcc, s9, v0
	v_addc_co_u32_e32 v1, vcc, 0, v1, vcc
	v_add_co_u32_e32 v4, vcc, s2, v4
	v_addc_co_u32_e32 v5, vcc, v5, v7, vcc
	v_cmp_le_u64_e32 vcc, s[6:7], v[0:1]
	s_or_b64 s[4:5], vcc, s[4:5]
	s_waitcnt vmcnt(0)
	global_store_dword v[2:3], v8, off
	v_add_co_u32_e32 v2, vcc, s0, v2
	v_addc_co_u32_e32 v3, vcc, v3, v6, vcc
	s_andn2_b64 exec, exec, s[4:5]
	s_cbranch_execnz .LBB65_2
.LBB65_3:
	s_endpgm
	.section	.rodata,"a",@progbits
	.p2align	6, 0x0
	.amdhsa_kernel _ZL24rocblas_copy_matrix_trsmILi128ELi8EfPKfPfEviiiT2_ilT3_illli
		.amdhsa_group_segment_fixed_size 0
		.amdhsa_private_segment_fixed_size 0
		.amdhsa_kernarg_size 344
		.amdhsa_user_sgpr_count 6
		.amdhsa_user_sgpr_private_segment_buffer 1
		.amdhsa_user_sgpr_dispatch_ptr 0
		.amdhsa_user_sgpr_queue_ptr 0
		.amdhsa_user_sgpr_kernarg_segment_ptr 1
		.amdhsa_user_sgpr_dispatch_id 0
		.amdhsa_user_sgpr_flat_scratch_init 0
		.amdhsa_user_sgpr_private_segment_size 0
		.amdhsa_uses_dynamic_stack 0
		.amdhsa_system_sgpr_private_segment_wavefront_offset 0
		.amdhsa_system_sgpr_workgroup_id_x 1
		.amdhsa_system_sgpr_workgroup_id_y 1
		.amdhsa_system_sgpr_workgroup_id_z 1
		.amdhsa_system_sgpr_workgroup_info 0
		.amdhsa_system_vgpr_workitem_id 1
		.amdhsa_next_free_vgpr 9
		.amdhsa_next_free_sgpr 23
		.amdhsa_reserve_vcc 1
		.amdhsa_reserve_flat_scratch 0
		.amdhsa_float_round_mode_32 0
		.amdhsa_float_round_mode_16_64 0
		.amdhsa_float_denorm_mode_32 3
		.amdhsa_float_denorm_mode_16_64 3
		.amdhsa_dx10_clamp 1
		.amdhsa_ieee_mode 1
		.amdhsa_fp16_overflow 0
		.amdhsa_exception_fp_ieee_invalid_op 0
		.amdhsa_exception_fp_denorm_src 0
		.amdhsa_exception_fp_ieee_div_zero 0
		.amdhsa_exception_fp_ieee_overflow 0
		.amdhsa_exception_fp_ieee_underflow 0
		.amdhsa_exception_fp_ieee_inexact 0
		.amdhsa_exception_int_div_zero 0
	.end_amdhsa_kernel
	.section	.text._ZL24rocblas_copy_matrix_trsmILi128ELi8EfPKfPfEviiiT2_ilT3_illli,"axG",@progbits,_ZL24rocblas_copy_matrix_trsmILi128ELi8EfPKfPfEviiiT2_ilT3_illli,comdat
.Lfunc_end65:
	.size	_ZL24rocblas_copy_matrix_trsmILi128ELi8EfPKfPfEviiiT2_ilT3_illli, .Lfunc_end65-_ZL24rocblas_copy_matrix_trsmILi128ELi8EfPKfPfEviiiT2_ilT3_illli
                                        ; -- End function
	.set _ZL24rocblas_copy_matrix_trsmILi128ELi8EfPKfPfEviiiT2_ilT3_illli.num_vgpr, 9
	.set _ZL24rocblas_copy_matrix_trsmILi128ELi8EfPKfPfEviiiT2_ilT3_illli.num_agpr, 0
	.set _ZL24rocblas_copy_matrix_trsmILi128ELi8EfPKfPfEviiiT2_ilT3_illli.numbered_sgpr, 23
	.set _ZL24rocblas_copy_matrix_trsmILi128ELi8EfPKfPfEviiiT2_ilT3_illli.num_named_barrier, 0
	.set _ZL24rocblas_copy_matrix_trsmILi128ELi8EfPKfPfEviiiT2_ilT3_illli.private_seg_size, 0
	.set _ZL24rocblas_copy_matrix_trsmILi128ELi8EfPKfPfEviiiT2_ilT3_illli.uses_vcc, 1
	.set _ZL24rocblas_copy_matrix_trsmILi128ELi8EfPKfPfEviiiT2_ilT3_illli.uses_flat_scratch, 0
	.set _ZL24rocblas_copy_matrix_trsmILi128ELi8EfPKfPfEviiiT2_ilT3_illli.has_dyn_sized_stack, 0
	.set _ZL24rocblas_copy_matrix_trsmILi128ELi8EfPKfPfEviiiT2_ilT3_illli.has_recursion, 0
	.set _ZL24rocblas_copy_matrix_trsmILi128ELi8EfPKfPfEviiiT2_ilT3_illli.has_indirect_call, 0
	.section	.AMDGPU.csdata,"",@progbits
; Kernel info:
; codeLenInByte = 444
; TotalNumSgprs: 27
; NumVgprs: 9
; ScratchSize: 0
; MemoryBound: 0
; FloatMode: 240
; IeeeMode: 1
; LDSByteSize: 0 bytes/workgroup (compile time only)
; SGPRBlocks: 3
; VGPRBlocks: 2
; NumSGPRsForWavesPerEU: 27
; NumVGPRsForWavesPerEU: 9
; Occupancy: 10
; WaveLimiterHint : 0
; COMPUTE_PGM_RSRC2:SCRATCH_EN: 0
; COMPUTE_PGM_RSRC2:USER_SGPR: 6
; COMPUTE_PGM_RSRC2:TRAP_HANDLER: 0
; COMPUTE_PGM_RSRC2:TGID_X_EN: 1
; COMPUTE_PGM_RSRC2:TGID_Y_EN: 1
; COMPUTE_PGM_RSRC2:TGID_Z_EN: 1
; COMPUTE_PGM_RSRC2:TIDIG_COMP_CNT: 1
	.section	.text._ZL23rocblas_set_matrix_trsmILi128ELi8EdPdEvlliT2_llT1_li,"axG",@progbits,_ZL23rocblas_set_matrix_trsmILi128ELi8EdPdEvlliT2_llT1_li,comdat
	.globl	_ZL23rocblas_set_matrix_trsmILi128ELi8EdPdEvlliT2_llT1_li ; -- Begin function _ZL23rocblas_set_matrix_trsmILi128ELi8EdPdEvlliT2_llT1_li
	.p2align	8
	.type	_ZL23rocblas_set_matrix_trsmILi128ELi8EdPdEvlliT2_llT1_li,@function
_ZL23rocblas_set_matrix_trsmILi128ELi8EdPdEvlliT2_llT1_li: ; @_ZL23rocblas_set_matrix_trsmILi128ELi8EdPdEvlliT2_llT1_li
; %bb.0:
	s_load_dwordx4 s[0:3], s[4:5], 0x0
	v_mov_b32_e32 v3, 0
	v_lshl_add_u32 v2, s6, 7, v0
	v_lshl_add_u32 v0, s7, 3, v1
	v_mov_b32_e32 v1, v3
	s_waitcnt lgkmcnt(0)
	v_cmp_gt_u64_e32 vcc, s[0:1], v[2:3]
	v_cmp_gt_u64_e64 s[0:1], s[2:3], v[0:1]
	s_and_b64 s[0:1], vcc, s[0:1]
	s_and_saveexec_b64 s[2:3], s[0:1]
	s_cbranch_execz .LBB66_2
; %bb.1:
	s_load_dwordx2 s[6:7], s[4:5], 0x28
	s_load_dwordx4 s[0:3], s[4:5], 0x18
	s_load_dwordx2 s[10:11], s[4:5], 0x38
	s_waitcnt lgkmcnt(0)
	s_mul_i32 s5, s7, s8
	s_mul_hi_u32 s7, s6, s8
	s_mul_i32 s4, s6, s8
	s_add_i32 s5, s7, s5
	v_mad_u64_u32 v[4:5], s[6:7], s2, v0, 0
	s_lshl_b64 s[4:5], s[4:5], 3
	s_add_u32 s2, s0, s4
	v_mov_b32_e32 v1, v5
	s_addc_u32 s4, s1, s5
	v_mad_u64_u32 v[0:1], s[0:1], s3, v0, v[1:2]
	s_lshl_b64 s[0:1], s[10:11], 3
	s_add_u32 s0, s2, s0
	v_mov_b32_e32 v5, v0
	v_lshlrev_b64 v[0:1], 3, v[4:5]
	s_addc_u32 s1, s4, s1
	v_mov_b32_e32 v4, s1
	v_add_co_u32_e32 v5, vcc, s0, v0
	v_addc_co_u32_e32 v4, vcc, v4, v1, vcc
	v_lshlrev_b64 v[0:1], 3, v[2:3]
	v_mov_b32_e32 v2, v3
	v_add_co_u32_e32 v0, vcc, v5, v0
	v_addc_co_u32_e32 v1, vcc, v4, v1, vcc
	global_store_dwordx2 v[0:1], v[2:3], off
.LBB66_2:
	s_endpgm
	.section	.rodata,"a",@progbits
	.p2align	6, 0x0
	.amdhsa_kernel _ZL23rocblas_set_matrix_trsmILi128ELi8EdPdEvlliT2_llT1_li
		.amdhsa_group_segment_fixed_size 0
		.amdhsa_private_segment_fixed_size 0
		.amdhsa_kernarg_size 68
		.amdhsa_user_sgpr_count 6
		.amdhsa_user_sgpr_private_segment_buffer 1
		.amdhsa_user_sgpr_dispatch_ptr 0
		.amdhsa_user_sgpr_queue_ptr 0
		.amdhsa_user_sgpr_kernarg_segment_ptr 1
		.amdhsa_user_sgpr_dispatch_id 0
		.amdhsa_user_sgpr_flat_scratch_init 0
		.amdhsa_user_sgpr_private_segment_size 0
		.amdhsa_uses_dynamic_stack 0
		.amdhsa_system_sgpr_private_segment_wavefront_offset 0
		.amdhsa_system_sgpr_workgroup_id_x 1
		.amdhsa_system_sgpr_workgroup_id_y 1
		.amdhsa_system_sgpr_workgroup_id_z 1
		.amdhsa_system_sgpr_workgroup_info 0
		.amdhsa_system_vgpr_workitem_id 1
		.amdhsa_next_free_vgpr 6
		.amdhsa_next_free_sgpr 12
		.amdhsa_reserve_vcc 1
		.amdhsa_reserve_flat_scratch 0
		.amdhsa_float_round_mode_32 0
		.amdhsa_float_round_mode_16_64 0
		.amdhsa_float_denorm_mode_32 3
		.amdhsa_float_denorm_mode_16_64 3
		.amdhsa_dx10_clamp 1
		.amdhsa_ieee_mode 1
		.amdhsa_fp16_overflow 0
		.amdhsa_exception_fp_ieee_invalid_op 0
		.amdhsa_exception_fp_denorm_src 0
		.amdhsa_exception_fp_ieee_div_zero 0
		.amdhsa_exception_fp_ieee_overflow 0
		.amdhsa_exception_fp_ieee_underflow 0
		.amdhsa_exception_fp_ieee_inexact 0
		.amdhsa_exception_int_div_zero 0
	.end_amdhsa_kernel
	.section	.text._ZL23rocblas_set_matrix_trsmILi128ELi8EdPdEvlliT2_llT1_li,"axG",@progbits,_ZL23rocblas_set_matrix_trsmILi128ELi8EdPdEvlliT2_llT1_li,comdat
.Lfunc_end66:
	.size	_ZL23rocblas_set_matrix_trsmILi128ELi8EdPdEvlliT2_llT1_li, .Lfunc_end66-_ZL23rocblas_set_matrix_trsmILi128ELi8EdPdEvlliT2_llT1_li
                                        ; -- End function
	.set _ZL23rocblas_set_matrix_trsmILi128ELi8EdPdEvlliT2_llT1_li.num_vgpr, 6
	.set _ZL23rocblas_set_matrix_trsmILi128ELi8EdPdEvlliT2_llT1_li.num_agpr, 0
	.set _ZL23rocblas_set_matrix_trsmILi128ELi8EdPdEvlliT2_llT1_li.numbered_sgpr, 12
	.set _ZL23rocblas_set_matrix_trsmILi128ELi8EdPdEvlliT2_llT1_li.num_named_barrier, 0
	.set _ZL23rocblas_set_matrix_trsmILi128ELi8EdPdEvlliT2_llT1_li.private_seg_size, 0
	.set _ZL23rocblas_set_matrix_trsmILi128ELi8EdPdEvlliT2_llT1_li.uses_vcc, 1
	.set _ZL23rocblas_set_matrix_trsmILi128ELi8EdPdEvlliT2_llT1_li.uses_flat_scratch, 0
	.set _ZL23rocblas_set_matrix_trsmILi128ELi8EdPdEvlliT2_llT1_li.has_dyn_sized_stack, 0
	.set _ZL23rocblas_set_matrix_trsmILi128ELi8EdPdEvlliT2_llT1_li.has_recursion, 0
	.set _ZL23rocblas_set_matrix_trsmILi128ELi8EdPdEvlliT2_llT1_li.has_indirect_call, 0
	.section	.AMDGPU.csdata,"",@progbits
; Kernel info:
; codeLenInByte = 204
; TotalNumSgprs: 16
; NumVgprs: 6
; ScratchSize: 0
; MemoryBound: 0
; FloatMode: 240
; IeeeMode: 1
; LDSByteSize: 0 bytes/workgroup (compile time only)
; SGPRBlocks: 1
; VGPRBlocks: 1
; NumSGPRsForWavesPerEU: 16
; NumVGPRsForWavesPerEU: 6
; Occupancy: 10
; WaveLimiterHint : 0
; COMPUTE_PGM_RSRC2:SCRATCH_EN: 0
; COMPUTE_PGM_RSRC2:USER_SGPR: 6
; COMPUTE_PGM_RSRC2:TRAP_HANDLER: 0
; COMPUTE_PGM_RSRC2:TGID_X_EN: 1
; COMPUTE_PGM_RSRC2:TGID_Y_EN: 1
; COMPUTE_PGM_RSRC2:TGID_Z_EN: 1
; COMPUTE_PGM_RSRC2:TIDIG_COMP_CNT: 1
	.section	.text._ZL38rocblas_trsm_small_left_device_sharedBILi4ELi4ELb0EddPKdPdEv13rocblas_fill_18rocblas_operation_17rocblas_diagonal_iiT3_T4_lilT5_lili,"axG",@progbits,_ZL38rocblas_trsm_small_left_device_sharedBILi4ELi4ELb0EddPKdPdEv13rocblas_fill_18rocblas_operation_17rocblas_diagonal_iiT3_T4_lilT5_lili,comdat
	.globl	_ZL38rocblas_trsm_small_left_device_sharedBILi4ELi4ELb0EddPKdPdEv13rocblas_fill_18rocblas_operation_17rocblas_diagonal_iiT3_T4_lilT5_lili ; -- Begin function _ZL38rocblas_trsm_small_left_device_sharedBILi4ELi4ELb0EddPKdPdEv13rocblas_fill_18rocblas_operation_17rocblas_diagonal_iiT3_T4_lilT5_lili
	.p2align	8
	.type	_ZL38rocblas_trsm_small_left_device_sharedBILi4ELi4ELb0EddPKdPdEv13rocblas_fill_18rocblas_operation_17rocblas_diagonal_iiT3_T4_lilT5_lili,@function
_ZL38rocblas_trsm_small_left_device_sharedBILi4ELi4ELb0EddPKdPdEv13rocblas_fill_18rocblas_operation_17rocblas_diagonal_iiT3_T4_lilT5_lili: ; @_ZL38rocblas_trsm_small_left_device_sharedBILi4ELi4ELb0EddPKdPdEv13rocblas_fill_18rocblas_operation_17rocblas_diagonal_iiT3_T4_lilT5_lili
; %bb.0:
	s_load_dwordx4 s[8:11], s[4:5], 0x4
	s_load_dwordx4 s[12:15], s[4:5], 0x18
	s_load_dwordx2 s[20:21], s[4:5], 0x28
	s_load_dwordx4 s[0:3], s[4:5], 0x38
	s_load_dwordx2 s[16:17], s[4:5], 0x48
	s_waitcnt lgkmcnt(0)
	s_min_i32 s22, s10, 4
	v_cmp_gt_i32_e32 vcc, s22, v0
	s_and_saveexec_b64 s[18:19], vcc
	s_cbranch_execz .LBB67_6
; %bb.1:
	s_load_dword s24, s[4:5], 0x30
	s_mul_i32 s1, s1, s7
	s_mul_hi_u32 s23, s0, s7
	s_mul_i32 s0, s0, s7
	s_add_i32 s1, s23, s1
	s_waitcnt lgkmcnt(0)
	s_ashr_i32 s25, s24, 31
	s_lshl_b64 s[0:1], s[0:1], 3
	s_add_u32 s14, s14, s0
	s_addc_u32 s15, s15, s1
	s_lshl_b64 s[0:1], s[20:21], 3
	s_add_u32 s0, s14, s0
	s_addc_u32 s1, s15, s1
	v_lshlrev_b32_e32 v3, 3, v0
	v_mov_b32_e32 v2, s1
	v_add_co_u32_e32 v1, vcc, s0, v3
	s_lshl_b64 s[0:1], s[24:25], 3
	v_addc_co_u32_e32 v2, vcc, 0, v2, vcc
	v_mov_b32_e32 v4, s1
	v_mov_b32_e32 v5, v3
	s_mov_b32 s1, s22
.LBB67_2:                               ; =>This Inner Loop Header: Depth=1
	global_load_dwordx2 v[6:7], v[1:2], off
	v_add_co_u32_e32 v1, vcc, s0, v1
	s_add_i32 s1, s1, -1
	v_addc_co_u32_e32 v2, vcc, v2, v4, vcc
	s_cmp_eq_u32 s1, 0
	s_waitcnt vmcnt(0)
	ds_write_b64 v5, v[6:7]
	v_add_u32_e32 v5, 32, v5
	s_cbranch_scc0 .LBB67_2
; %bb.3:
	v_lshlrev_b32_e32 v4, 5, v0
	v_mov_b32_e32 v1, 0
	s_cmpk_lg_i32 s9, 0x84
	v_mov_b32_e32 v2, 0x3ff00000
	v_add_u32_e32 v3, v3, v4
	s_cbranch_scc0 .LBB67_5
; %bb.4:
	ds_read_b64 v[1:2], v3
	s_waitcnt lgkmcnt(0)
	v_div_scale_f64 v[4:5], s[0:1], v[1:2], v[1:2], 1.0
	v_div_scale_f64 v[10:11], vcc, 1.0, v[1:2], 1.0
	v_rcp_f64_e32 v[6:7], v[4:5]
	v_fma_f64 v[8:9], -v[4:5], v[6:7], 1.0
	v_fma_f64 v[6:7], v[6:7], v[8:9], v[6:7]
	v_fma_f64 v[8:9], -v[4:5], v[6:7], 1.0
	v_fma_f64 v[6:7], v[6:7], v[8:9], v[6:7]
	v_mul_f64 v[8:9], v[10:11], v[6:7]
	v_fma_f64 v[4:5], -v[4:5], v[8:9], v[10:11]
	v_div_fmas_f64 v[4:5], v[4:5], v[6:7], v[8:9]
	v_div_fixup_f64 v[1:2], v[4:5], v[1:2], 1.0
.LBB67_5:
	ds_write_b64 v3, v[1:2]
.LBB67_6:
	s_or_b64 exec, exec, s[18:19]
	s_load_dword s0, s[4:5], 0x68
	s_load_dwordx2 s[14:15], s[4:5], 0x58
	s_load_dword s9, s[4:5], 0x50
	s_waitcnt lgkmcnt(0)
	s_mul_i32 s1, s15, s7
	s_mul_hi_u32 s5, s14, s7
	s_mul_i32 s4, s14, s7
	s_add_i32 s5, s5, s1
	s_lshl_b64 s[4:5], s[4:5], 3
	s_add_u32 s1, s2, s4
	s_addc_u32 s4, s3, s5
	s_lshl_b64 s[2:3], s[16:17], 3
	s_add_u32 s2, s1, s2
	s_addc_u32 s3, s4, s3
	s_lshl_b32 s4, s6, 2
	s_add_i32 s0, s0, -1
	s_sub_i32 s1, s11, s4
	s_cmp_ge_u32 s6, s0
	s_cselect_b32 s5, s1, 4
	s_mul_hi_i32 s1, s9, s4
	s_mul_i32 s0, s9, s4
	s_lshl_b64 s[0:1], s[0:1], 3
	s_add_u32 s6, s2, s0
	s_addc_u32 s7, s3, s1
	s_cmp_gt_i32 s10, 0
	v_cmp_gt_i32_e64 s[0:1], s5, v0
	s_cselect_b64 s[2:3], -1, 0
	s_and_b64 s[14:15], s[0:1], s[2:3]
	s_and_saveexec_b64 s[4:5], s[14:15]
	s_cbranch_execz .LBB67_9
; %bb.7:
	v_mad_i64_i32 v[1:2], s[14:15], s9, v0, 0
	v_mov_b32_e32 v3, s7
	s_mov_b32 s11, s22
	v_lshlrev_b64 v[1:2], 3, v[1:2]
	v_add_co_u32_e32 v1, vcc, s6, v1
	v_addc_co_u32_e32 v2, vcc, v3, v2, vcc
	v_mov_b32_e32 v3, 0x80
	v_lshl_or_b32 v3, v0, 3, v3
.LBB67_8:                               ; =>This Inner Loop Header: Depth=1
	global_load_dwordx2 v[4:5], v[1:2], off
	s_add_i32 s11, s11, -1
	v_add_co_u32_e32 v1, vcc, 8, v1
	v_addc_co_u32_e32 v2, vcc, 0, v2, vcc
	s_cmp_lg_u32 s11, 0
	s_waitcnt vmcnt(0)
	v_mul_f64 v[4:5], s[12:13], v[4:5]
	ds_write_b64 v3, v[4:5]
	v_add_u32_e32 v3, 32, v3
	s_cbranch_scc1 .LBB67_8
.LBB67_9:
	s_or_b64 exec, exec, s[4:5]
	v_mov_b32_e32 v1, 0x80
	s_cmpk_eq_i32 s8, 0x6f
	v_lshl_or_b32 v5, v0, 3, v1
	s_mov_b64 s[4:5], -1
	s_waitcnt lgkmcnt(0)
	; wave barrier
	s_cbranch_scc1 .LBB67_18
; %bb.10:
	s_cmp_gt_i32 s10, 3
	s_cbranch_scc0 .LBB67_12
; %bb.11:
	v_mov_b32_e32 v20, 0
	ds_read2_b64 v[1:4], v5 offset1:4
	ds_read2_b64 v[6:9], v20 offset1:10
	ds_read_b128 v[10:13], v20 offset:32
	ds_read_b128 v[14:17], v20 offset:64
	s_mov_b32 s4, 4
	s_waitcnt lgkmcnt(2)
	v_mul_f64 v[6:7], v[1:2], v[6:7]
	s_waitcnt lgkmcnt(1)
	v_fma_f64 v[1:2], -v[6:7], v[10:11], v[3:4]
	v_mul_f64 v[18:19], v[1:2], v[12:13]
	ds_read2_b64 v[1:4], v5 offset0:8 offset1:12
	s_waitcnt lgkmcnt(0)
	v_fma_f64 v[1:2], -v[6:7], v[14:15], v[1:2]
	v_fma_f64 v[1:2], -v[18:19], v[16:17], v[1:2]
	ds_read_b128 v[10:13], v20 offset:96
	ds_read_b128 v[14:17], v20 offset:112
	s_waitcnt lgkmcnt(1)
	v_fma_f64 v[3:4], -v[6:7], v[10:11], v[3:4]
	v_mul_f64 v[1:2], v[1:2], v[8:9]
	v_fma_f64 v[3:4], -v[18:19], v[12:13], v[3:4]
	s_waitcnt lgkmcnt(0)
	v_fma_f64 v[3:4], -v[1:2], v[14:15], v[3:4]
	v_mul_f64 v[3:4], v[3:4], v[16:17]
	ds_write2_b64 v5, v[6:7], v[18:19] offset1:4
	ds_write2_b64 v5, v[1:2], v[3:4] offset0:8 offset1:12
	s_cmp_ge_i32 s4, s22
	s_cbranch_scc0 .LBB67_13
	s_branch .LBB67_17
.LBB67_12:
	s_mov_b32 s4, 0
	s_cmp_ge_i32 s4, s22
	s_cbranch_scc1 .LBB67_17
.LBB67_13:
	v_mov_b32_e32 v1, 0x80
	s_lshl_b32 s5, s4, 5
	v_lshl_or_b32 v3, v0, 3, v1
	s_branch .LBB67_15
.LBB67_14:                              ;   in Loop: Header=BB67_15 Depth=1
	s_mul_i32 s8, s4, 40
	v_mov_b32_e32 v6, s8
	ds_read_b64 v[6:7], v6
	s_add_i32 s4, s4, 1
	s_add_i32 s5, s5, 32
	s_cmp_ge_i32 s4, s22
	s_waitcnt lgkmcnt(0)
	v_mul_f64 v[1:2], v[1:2], v[6:7]
	ds_write_b64 v4, v[1:2]
	s_cbranch_scc1 .LBB67_17
.LBB67_15:                              ; =>This Loop Header: Depth=1
                                        ;     Child Loop BB67_16 Depth 2
	s_lshl_b32 s8, s4, 5
	v_add_u32_e32 v4, s8, v5
	ds_read_b64 v[1:2], v4
	s_cmp_eq_u32 s4, 0
	v_mov_b32_e32 v6, v3
	s_mov_b32 s8, s4
	s_mov_b32 s11, s5
	s_cbranch_scc1 .LBB67_14
.LBB67_16:                              ;   Parent Loop BB67_15 Depth=1
                                        ; =>  This Inner Loop Header: Depth=2
	v_mov_b32_e32 v9, s11
	ds_read_b64 v[7:8], v6
	ds_read_b64 v[9:10], v9
	s_add_i32 s11, s11, 8
	s_add_i32 s8, s8, -1
	s_cmp_lg_u32 s8, 0
	v_add_u32_e32 v6, 32, v6
	s_waitcnt lgkmcnt(0)
	v_fma_f64 v[1:2], -v[7:8], v[9:10], v[1:2]
	s_cbranch_scc1 .LBB67_16
	s_branch .LBB67_14
.LBB67_17:
	s_mov_b64 s[4:5], 0
.LBB67_18:
	s_and_b64 vcc, exec, s[4:5]
	s_cbranch_vccz .LBB67_38
; %bb.19:
	s_add_i32 s4, s22, -1
	s_cmp_gt_i32 s10, 3
	s_mov_b32 s8, -1
	s_cbranch_scc0 .LBB67_21
; %bb.20:
	ds_read2_b64 v[1:4], v5 offset0:8 offset1:12
	v_mov_b32_e32 v20, 0
	ds_read_b128 v[6:9], v20 offset:112
	ds_read_b128 v[10:13], v20 offset:96
	s_waitcnt lgkmcnt(1)
	v_mul_f64 v[14:15], v[3:4], v[8:9]
	v_fma_f64 v[16:17], -v[14:15], v[6:7], v[1:2]
	ds_read2_b64 v[1:4], v20 offset1:10
	ds_read2_b64 v[6:9], v5 offset1:4
	s_waitcnt lgkmcnt(0)
	v_fma_f64 v[18:19], -v[14:15], v[10:11], v[6:7]
	v_mul_f64 v[3:4], v[16:17], v[3:4]
	v_fma_f64 v[16:17], -v[14:15], v[12:13], v[8:9]
	ds_read_b128 v[6:9], v20 offset:64
	ds_read_b128 v[10:13], v20 offset:32
	s_waitcnt lgkmcnt(1)
	v_fma_f64 v[6:7], -v[3:4], v[6:7], v[18:19]
	v_fma_f64 v[8:9], -v[3:4], v[8:9], v[16:17]
	s_waitcnt lgkmcnt(0)
	v_mul_f64 v[8:9], v[8:9], v[12:13]
	v_fma_f64 v[6:7], -v[8:9], v[10:11], v[6:7]
	v_mul_f64 v[1:2], v[6:7], v[1:2]
	ds_write2_b64 v5, v[3:4], v[14:15] offset0:8 offset1:12
	ds_write2_b64 v5, v[1:2], v[8:9] offset1:4
	s_cmp_lt_i32 s8, 0
	s_cbranch_scc0 .LBB67_22
	s_branch .LBB67_38
.LBB67_21:
	s_mov_b32 s8, s4
	s_cmp_lt_i32 s8, 0
	s_cbranch_scc1 .LBB67_38
.LBB67_22:
	s_and_b32 s5, s8, 3
	s_cmp_eq_u32 s5, 3
	s_mov_b32 s5, s8
	s_cbranch_scc1 .LBB67_27
; %bb.23:
	s_add_i32 s5, s8, 1
	s_and_b32 s10, s5, 3
	s_lshl_b32 s5, s22, 5
	s_lshl_b32 s11, s8, 3
	s_add_i32 s11, s5, s11
	v_lshl_or_b32 v1, v0, 3, s5
	s_sub_i32 s11, s11, 32
	v_add_u32_e32 v3, 0x60, v1
	s_mov_b32 s12, 0
	s_mov_b32 s5, s8
	s_branch .LBB67_25
.LBB67_24:                              ;   in Loop: Header=BB67_25 Depth=1
	s_mul_i32 s13, s5, 40
	v_mov_b32_e32 v6, s13
	ds_read_b64 v[6:7], v6
	s_add_i32 s5, s5, -1
	s_add_i32 s12, s12, 1
	s_add_i32 s11, s11, -8
	s_cmp_lg_u32 s12, s10
	s_waitcnt lgkmcnt(0)
	v_mul_f64 v[1:2], v[1:2], v[6:7]
	ds_write_b64 v4, v[1:2]
	s_cbranch_scc0 .LBB67_27
.LBB67_25:                              ; =>This Loop Header: Depth=1
                                        ;     Child Loop BB67_26 Depth 2
	s_lshl_b32 s13, s5, 5
	v_add_u32_e32 v4, s13, v5
	ds_read_b64 v[1:2], v4
	s_cmp_le_i32 s4, s5
	v_mov_b32_e32 v6, v3
	s_mov_b32 s13, s11
	s_mov_b32 s14, s4
	s_cbranch_scc1 .LBB67_24
.LBB67_26:                              ;   Parent Loop BB67_25 Depth=1
                                        ; =>  This Inner Loop Header: Depth=2
	v_mov_b32_e32 v9, s13
	ds_read_b64 v[7:8], v6
	ds_read_b64 v[9:10], v9
	s_add_i32 s14, s14, -1
	s_sub_i32 s13, s13, 32
	s_cmp_gt_i32 s14, s5
	v_subrev_u32_e32 v6, 32, v6
	s_waitcnt lgkmcnt(0)
	v_fma_f64 v[1:2], -v[7:8], v[9:10], v[1:2]
	s_cbranch_scc1 .LBB67_26
	s_branch .LBB67_24
.LBB67_27:
	s_cmp_lt_u32 s8, 3
	s_cbranch_scc1 .LBB67_38
; %bb.28:
	s_lshl_b32 s10, s22, 5
	s_lshl_b32 s8, s5, 3
	s_add_i32 s12, s10, s8
	v_lshl_or_b32 v1, v0, 3, s10
	s_sub_i32 s8, s12, 32
	v_add_u32_e32 v6, 0x60, v1
	s_sub_i32 s10, s12, 40
	s_sub_i32 s11, s12, 48
	;; [unrolled: 1-line block ×3, first 2 shown]
	s_branch .LBB67_30
.LBB67_29:                              ;   in Loop: Header=BB67_30 Depth=1
	s_sub_i32 s13, s13, 40
	v_mov_b32_e32 v3, s13
	ds_read_b64 v[3:4], v3
	s_add_i32 s13, s5, -4
	s_sub_i32 s8, s8, 32
	s_sub_i32 s10, s10, 32
	;; [unrolled: 1-line block ×3, first 2 shown]
	s_waitcnt lgkmcnt(0)
	v_mul_f64 v[1:2], v[1:2], v[3:4]
	s_sub_i32 s12, s12, 32
	s_cmp_lt_i32 s5, 4
	s_mov_b32 s5, s13
	ds_write_b64 v7, v[1:2]
	s_cbranch_scc1 .LBB67_38
.LBB67_30:                              ; =>This Loop Header: Depth=1
                                        ;     Child Loop BB67_31 Depth 2
                                        ;     Child Loop BB67_33 Depth 2
	;; [unrolled: 1-line block ×4, first 2 shown]
	s_lshl_b32 s14, s5, 5
	v_add_u32_e32 v8, s14, v5
	ds_read_b64 v[3:4], v8
	s_cmp_le_i32 s4, s5
	v_mov_b32_e32 v1, v6
	s_mov_b32 s13, s8
	s_mov_b32 s15, s4
	s_cbranch_scc1 .LBB67_32
.LBB67_31:                              ;   Parent Loop BB67_30 Depth=1
                                        ; =>  This Inner Loop Header: Depth=2
	v_mov_b32_e32 v2, s13
	ds_read_b64 v[9:10], v1
	ds_read_b64 v[11:12], v2
	s_add_i32 s15, s15, -1
	s_sub_i32 s13, s13, 32
	s_cmp_gt_i32 s15, s5
	v_subrev_u32_e32 v1, 32, v1
	s_waitcnt lgkmcnt(0)
	v_fma_f64 v[3:4], -v[9:10], v[11:12], v[3:4]
	s_cbranch_scc1 .LBB67_31
.LBB67_32:                              ;   in Loop: Header=BB67_30 Depth=1
	s_mul_i32 s13, s5, 40
	v_mov_b32_e32 v1, s13
	ds_read_b64 v[9:10], v1
	s_sub_i32 s14, s14, 32
	v_add_u32_e32 v7, s14, v5
	ds_read_b64 v[1:2], v7
	s_mov_b32 s14, s10
	s_waitcnt lgkmcnt(1)
	v_mul_f64 v[9:10], v[3:4], v[9:10]
	v_mov_b32_e32 v3, v6
	s_cmp_le_i32 s22, s5
	s_mov_b32 s15, s22
	ds_write_b64 v8, v[9:10]
	s_cbranch_scc1 .LBB67_34
.LBB67_33:                              ;   Parent Loop BB67_30 Depth=1
                                        ; =>  This Inner Loop Header: Depth=2
	v_mov_b32_e32 v4, s14
	ds_read_b64 v[8:9], v3
	ds_read_b64 v[10:11], v4
	s_add_i32 s15, s15, -1
	s_sub_i32 s14, s14, 32
	s_cmp_gt_i32 s15, s5
	v_subrev_u32_e32 v3, 32, v3
	s_waitcnt lgkmcnt(0)
	v_fma_f64 v[1:2], -v[8:9], v[10:11], v[1:2]
	s_cbranch_scc1 .LBB67_33
.LBB67_34:                              ;   in Loop: Header=BB67_30 Depth=1
	s_sub_i32 s13, s13, 40
	v_mov_b32_e32 v3, s13
	ds_read_b64 v[9:10], v3
	s_add_i32 s14, s5, -2
	s_lshl_b32 s15, s14, 5
	v_add_u32_e32 v8, s15, v5
	ds_read_b64 v[3:4], v8
	s_waitcnt lgkmcnt(1)
	v_mul_f64 v[9:10], v[1:2], v[9:10]
	v_mov_b32_e32 v1, v6
	s_mov_b32 s15, s11
	s_cmp_le_i32 s4, s14
	s_mov_b32 s16, s4
	ds_write_b64 v7, v[9:10]
	s_cbranch_scc1 .LBB67_36
.LBB67_35:                              ;   Parent Loop BB67_30 Depth=1
                                        ; =>  This Inner Loop Header: Depth=2
	v_mov_b32_e32 v2, s15
	ds_read_b64 v[9:10], v1
	ds_read_b64 v[11:12], v2
	s_add_i32 s16, s16, -1
	s_sub_i32 s15, s15, 32
	s_cmp_gt_i32 s16, s14
	v_subrev_u32_e32 v1, 32, v1
	s_waitcnt lgkmcnt(0)
	v_fma_f64 v[3:4], -v[9:10], v[11:12], v[3:4]
	s_cbranch_scc1 .LBB67_35
.LBB67_36:                              ;   in Loop: Header=BB67_30 Depth=1
	s_sub_i32 s13, s13, 40
	v_mov_b32_e32 v1, s13
	ds_read_b64 v[9:10], v1
	s_add_i32 s14, s5, -3
	s_lshl_b32 s15, s14, 5
	v_add_u32_e32 v7, s15, v5
	ds_read_b64 v[1:2], v7
	s_waitcnt lgkmcnt(1)
	v_mul_f64 v[9:10], v[3:4], v[9:10]
	v_mov_b32_e32 v3, v6
	s_mov_b32 s15, s12
	s_cmp_le_i32 s4, s14
	s_mov_b32 s16, s4
	ds_write_b64 v8, v[9:10]
	s_cbranch_scc1 .LBB67_29
.LBB67_37:                              ;   Parent Loop BB67_30 Depth=1
                                        ; =>  This Inner Loop Header: Depth=2
	v_mov_b32_e32 v4, s15
	ds_read_b64 v[8:9], v3
	ds_read_b64 v[10:11], v4
	s_add_i32 s16, s16, -1
	s_sub_i32 s15, s15, 32
	s_cmp_gt_i32 s16, s14
	v_subrev_u32_e32 v3, 32, v3
	s_waitcnt lgkmcnt(0)
	v_fma_f64 v[1:2], -v[8:9], v[10:11], v[1:2]
	s_cbranch_scc1 .LBB67_37
	s_branch .LBB67_29
.LBB67_38:
	s_waitcnt lgkmcnt(0)
	; wave barrier
	s_and_saveexec_b64 s[4:5], s[0:1]
	s_cbranch_execz .LBB67_42
; %bb.39:
	s_andn2_b64 vcc, exec, s[2:3]
	s_cbranch_vccnz .LBB67_42
; %bb.40:
	v_mad_i64_i32 v[1:2], s[0:1], s9, v0, 0
	v_mov_b32_e32 v3, s7
	v_lshlrev_b64 v[1:2], 3, v[1:2]
	v_add_co_u32_e32 v1, vcc, s6, v1
	v_addc_co_u32_e32 v2, vcc, v3, v2, vcc
	v_mov_b32_e32 v3, 0x80
	v_lshl_or_b32 v0, v0, 3, v3
.LBB67_41:                              ; =>This Inner Loop Header: Depth=1
	ds_read_b64 v[3:4], v0
	s_add_i32 s22, s22, -1
	v_add_u32_e32 v0, 32, v0
	s_cmp_lg_u32 s22, 0
	s_waitcnt lgkmcnt(0)
	global_store_dwordx2 v[1:2], v[3:4], off
	v_add_co_u32_e32 v1, vcc, 8, v1
	v_addc_co_u32_e32 v2, vcc, 0, v2, vcc
	s_cbranch_scc1 .LBB67_41
.LBB67_42:
	s_endpgm
	.section	.rodata,"a",@progbits
	.p2align	6, 0x0
	.amdhsa_kernel _ZL38rocblas_trsm_small_left_device_sharedBILi4ELi4ELb0EddPKdPdEv13rocblas_fill_18rocblas_operation_17rocblas_diagonal_iiT3_T4_lilT5_lili
		.amdhsa_group_segment_fixed_size 256
		.amdhsa_private_segment_fixed_size 0
		.amdhsa_kernarg_size 360
		.amdhsa_user_sgpr_count 6
		.amdhsa_user_sgpr_private_segment_buffer 1
		.amdhsa_user_sgpr_dispatch_ptr 0
		.amdhsa_user_sgpr_queue_ptr 0
		.amdhsa_user_sgpr_kernarg_segment_ptr 1
		.amdhsa_user_sgpr_dispatch_id 0
		.amdhsa_user_sgpr_flat_scratch_init 0
		.amdhsa_user_sgpr_private_segment_size 0
		.amdhsa_uses_dynamic_stack 0
		.amdhsa_system_sgpr_private_segment_wavefront_offset 0
		.amdhsa_system_sgpr_workgroup_id_x 1
		.amdhsa_system_sgpr_workgroup_id_y 0
		.amdhsa_system_sgpr_workgroup_id_z 1
		.amdhsa_system_sgpr_workgroup_info 0
		.amdhsa_system_vgpr_workitem_id 0
		.amdhsa_next_free_vgpr 21
		.amdhsa_next_free_sgpr 26
		.amdhsa_reserve_vcc 1
		.amdhsa_reserve_flat_scratch 0
		.amdhsa_float_round_mode_32 0
		.amdhsa_float_round_mode_16_64 0
		.amdhsa_float_denorm_mode_32 3
		.amdhsa_float_denorm_mode_16_64 3
		.amdhsa_dx10_clamp 1
		.amdhsa_ieee_mode 1
		.amdhsa_fp16_overflow 0
		.amdhsa_exception_fp_ieee_invalid_op 0
		.amdhsa_exception_fp_denorm_src 0
		.amdhsa_exception_fp_ieee_div_zero 0
		.amdhsa_exception_fp_ieee_overflow 0
		.amdhsa_exception_fp_ieee_underflow 0
		.amdhsa_exception_fp_ieee_inexact 0
		.amdhsa_exception_int_div_zero 0
	.end_amdhsa_kernel
	.section	.text._ZL38rocblas_trsm_small_left_device_sharedBILi4ELi4ELb0EddPKdPdEv13rocblas_fill_18rocblas_operation_17rocblas_diagonal_iiT3_T4_lilT5_lili,"axG",@progbits,_ZL38rocblas_trsm_small_left_device_sharedBILi4ELi4ELb0EddPKdPdEv13rocblas_fill_18rocblas_operation_17rocblas_diagonal_iiT3_T4_lilT5_lili,comdat
.Lfunc_end67:
	.size	_ZL38rocblas_trsm_small_left_device_sharedBILi4ELi4ELb0EddPKdPdEv13rocblas_fill_18rocblas_operation_17rocblas_diagonal_iiT3_T4_lilT5_lili, .Lfunc_end67-_ZL38rocblas_trsm_small_left_device_sharedBILi4ELi4ELb0EddPKdPdEv13rocblas_fill_18rocblas_operation_17rocblas_diagonal_iiT3_T4_lilT5_lili
                                        ; -- End function
	.set _ZL38rocblas_trsm_small_left_device_sharedBILi4ELi4ELb0EddPKdPdEv13rocblas_fill_18rocblas_operation_17rocblas_diagonal_iiT3_T4_lilT5_lili.num_vgpr, 21
	.set _ZL38rocblas_trsm_small_left_device_sharedBILi4ELi4ELb0EddPKdPdEv13rocblas_fill_18rocblas_operation_17rocblas_diagonal_iiT3_T4_lilT5_lili.num_agpr, 0
	.set _ZL38rocblas_trsm_small_left_device_sharedBILi4ELi4ELb0EddPKdPdEv13rocblas_fill_18rocblas_operation_17rocblas_diagonal_iiT3_T4_lilT5_lili.numbered_sgpr, 26
	.set _ZL38rocblas_trsm_small_left_device_sharedBILi4ELi4ELb0EddPKdPdEv13rocblas_fill_18rocblas_operation_17rocblas_diagonal_iiT3_T4_lilT5_lili.num_named_barrier, 0
	.set _ZL38rocblas_trsm_small_left_device_sharedBILi4ELi4ELb0EddPKdPdEv13rocblas_fill_18rocblas_operation_17rocblas_diagonal_iiT3_T4_lilT5_lili.private_seg_size, 0
	.set _ZL38rocblas_trsm_small_left_device_sharedBILi4ELi4ELb0EddPKdPdEv13rocblas_fill_18rocblas_operation_17rocblas_diagonal_iiT3_T4_lilT5_lili.uses_vcc, 1
	.set _ZL38rocblas_trsm_small_left_device_sharedBILi4ELi4ELb0EddPKdPdEv13rocblas_fill_18rocblas_operation_17rocblas_diagonal_iiT3_T4_lilT5_lili.uses_flat_scratch, 0
	.set _ZL38rocblas_trsm_small_left_device_sharedBILi4ELi4ELb0EddPKdPdEv13rocblas_fill_18rocblas_operation_17rocblas_diagonal_iiT3_T4_lilT5_lili.has_dyn_sized_stack, 0
	.set _ZL38rocblas_trsm_small_left_device_sharedBILi4ELi4ELb0EddPKdPdEv13rocblas_fill_18rocblas_operation_17rocblas_diagonal_iiT3_T4_lilT5_lili.has_recursion, 0
	.set _ZL38rocblas_trsm_small_left_device_sharedBILi4ELi4ELb0EddPKdPdEv13rocblas_fill_18rocblas_operation_17rocblas_diagonal_iiT3_T4_lilT5_lili.has_indirect_call, 0
	.section	.AMDGPU.csdata,"",@progbits
; Kernel info:
; codeLenInByte = 2128
; TotalNumSgprs: 30
; NumVgprs: 21
; ScratchSize: 0
; MemoryBound: 0
; FloatMode: 240
; IeeeMode: 1
; LDSByteSize: 256 bytes/workgroup (compile time only)
; SGPRBlocks: 3
; VGPRBlocks: 5
; NumSGPRsForWavesPerEU: 30
; NumVGPRsForWavesPerEU: 21
; Occupancy: 10
; WaveLimiterHint : 0
; COMPUTE_PGM_RSRC2:SCRATCH_EN: 0
; COMPUTE_PGM_RSRC2:USER_SGPR: 6
; COMPUTE_PGM_RSRC2:TRAP_HANDLER: 0
; COMPUTE_PGM_RSRC2:TGID_X_EN: 1
; COMPUTE_PGM_RSRC2:TGID_Y_EN: 0
; COMPUTE_PGM_RSRC2:TGID_Z_EN: 1
; COMPUTE_PGM_RSRC2:TIDIG_COMP_CNT: 0
	.section	.text._ZL30rocblas_trsm_small_left_deviceILi4ELi4ELb0EddPKdPdEv13rocblas_fill_18rocblas_operation_17rocblas_diagonal_iiT3_T4_lilT5_lili,"axG",@progbits,_ZL30rocblas_trsm_small_left_deviceILi4ELi4ELb0EddPKdPdEv13rocblas_fill_18rocblas_operation_17rocblas_diagonal_iiT3_T4_lilT5_lili,comdat
	.globl	_ZL30rocblas_trsm_small_left_deviceILi4ELi4ELb0EddPKdPdEv13rocblas_fill_18rocblas_operation_17rocblas_diagonal_iiT3_T4_lilT5_lili ; -- Begin function _ZL30rocblas_trsm_small_left_deviceILi4ELi4ELb0EddPKdPdEv13rocblas_fill_18rocblas_operation_17rocblas_diagonal_iiT3_T4_lilT5_lili
	.p2align	8
	.type	_ZL30rocblas_trsm_small_left_deviceILi4ELi4ELb0EddPKdPdEv13rocblas_fill_18rocblas_operation_17rocblas_diagonal_iiT3_T4_lilT5_lili,@function
_ZL30rocblas_trsm_small_left_deviceILi4ELi4ELb0EddPKdPdEv13rocblas_fill_18rocblas_operation_17rocblas_diagonal_iiT3_T4_lilT5_lili: ; @_ZL30rocblas_trsm_small_left_deviceILi4ELi4ELb0EddPKdPdEv13rocblas_fill_18rocblas_operation_17rocblas_diagonal_iiT3_T4_lilT5_lili
; %bb.0:
	s_load_dwordx4 s[8:11], s[4:5], 0x4
	s_load_dwordx4 s[0:3], s[4:5], 0x18
	s_load_dwordx2 s[20:21], s[4:5], 0x28
	s_load_dwordx4 s[12:15], s[4:5], 0x38
	s_load_dwordx2 s[16:17], s[4:5], 0x48
	s_waitcnt lgkmcnt(0)
	s_min_i32 s22, s10, 4
	v_cmp_gt_i32_e32 vcc, s22, v0
	s_and_saveexec_b64 s[18:19], vcc
	s_cbranch_execz .LBB68_6
; %bb.1:
	s_load_dword s24, s[4:5], 0x30
	s_mul_i32 s13, s13, s7
	s_mul_hi_u32 s23, s12, s7
	s_mul_i32 s12, s12, s7
	s_add_i32 s13, s23, s13
	s_waitcnt lgkmcnt(0)
	s_ashr_i32 s25, s24, 31
	s_lshl_b64 s[12:13], s[12:13], 3
	s_add_u32 s12, s2, s12
	s_addc_u32 s13, s3, s13
	s_lshl_b64 s[2:3], s[20:21], 3
	s_add_u32 s2, s12, s2
	s_addc_u32 s3, s13, s3
	v_lshlrev_b32_e32 v3, 3, v0
	v_mov_b32_e32 v2, s3
	v_add_co_u32_e32 v1, vcc, s2, v3
	s_lshl_b64 s[2:3], s[24:25], 3
	v_addc_co_u32_e32 v2, vcc, 0, v2, vcc
	v_mov_b32_e32 v4, s3
	v_mov_b32_e32 v5, v3
	s_mov_b32 s3, s22
.LBB68_2:                               ; =>This Inner Loop Header: Depth=1
	global_load_dwordx2 v[6:7], v[1:2], off
	v_add_co_u32_e32 v1, vcc, s2, v1
	s_add_i32 s3, s3, -1
	v_addc_co_u32_e32 v2, vcc, v2, v4, vcc
	s_cmp_eq_u32 s3, 0
	s_waitcnt vmcnt(0)
	ds_write_b64 v5, v[6:7]
	v_add_u32_e32 v5, 32, v5
	s_cbranch_scc0 .LBB68_2
; %bb.3:
	v_lshlrev_b32_e32 v4, 5, v0
	v_mov_b32_e32 v1, 0
	s_cmpk_lg_i32 s9, 0x84
	v_mov_b32_e32 v2, 0x3ff00000
	v_add_u32_e32 v3, v3, v4
	s_cbranch_scc0 .LBB68_5
; %bb.4:
	ds_read_b64 v[1:2], v3
	s_waitcnt lgkmcnt(0)
	v_div_scale_f64 v[4:5], s[2:3], v[1:2], v[1:2], 1.0
	v_div_scale_f64 v[10:11], vcc, 1.0, v[1:2], 1.0
	v_rcp_f64_e32 v[6:7], v[4:5]
	v_fma_f64 v[8:9], -v[4:5], v[6:7], 1.0
	v_fma_f64 v[6:7], v[6:7], v[8:9], v[6:7]
	v_fma_f64 v[8:9], -v[4:5], v[6:7], 1.0
	v_fma_f64 v[6:7], v[6:7], v[8:9], v[6:7]
	v_mul_f64 v[8:9], v[10:11], v[6:7]
	v_fma_f64 v[4:5], -v[4:5], v[8:9], v[10:11]
	v_div_fmas_f64 v[4:5], v[4:5], v[6:7], v[8:9]
	v_div_fixup_f64 v[1:2], v[4:5], v[1:2], 1.0
.LBB68_5:
	ds_write_b64 v3, v[1:2]
.LBB68_6:
	s_or_b64 exec, exec, s[18:19]
	s_load_dword s2, s[4:5], 0x68
	s_waitcnt lgkmcnt(0)
	; wave barrier
	s_add_i32 s3, s2, -1
	s_lshl_b32 s2, s6, 2
	s_sub_i32 s9, s11, s2
	s_cmp_ge_u32 s6, s3
	s_cselect_b32 s3, s9, 4
	v_cmp_gt_i32_e32 vcc, s3, v0
	s_and_saveexec_b64 s[12:13], vcc
	s_cbranch_execz .LBB68_36
; %bb.7:
	s_load_dwordx2 s[12:13], s[4:5], 0x58
	s_load_dword s6, s[4:5], 0x50
	v_add_u32_e32 v0, s2, v0
	s_waitcnt lgkmcnt(0)
	s_mul_i32 s3, s13, s7
	s_mul_hi_u32 s4, s12, s7
	s_mul_i32 s2, s12, s7
	s_add_i32 s3, s4, s3
	s_lshl_b64 s[2:3], s[2:3], 3
	s_add_u32 s4, s14, s2
	s_addc_u32 s5, s15, s3
	v_mad_i64_i32 v[0:1], s[2:3], s6, v0, 0
	s_lshl_b64 s[2:3], s[16:17], 3
	s_add_u32 s2, s4, s2
	v_lshlrev_b64 v[0:1], 3, v[0:1]
	s_addc_u32 s3, s5, s3
	v_mov_b32_e32 v2, s3
	v_add_co_u32_e32 v0, vcc, s2, v0
	v_addc_co_u32_e32 v1, vcc, v2, v1, vcc
	s_cmpk_eq_i32 s8, 0x6f
	s_mov_b64 s[2:3], -1
	s_cbranch_scc1 .LBB68_16
; %bb.8:
	s_cmp_gt_i32 s10, 3
	s_cbranch_scc0 .LBB68_10
; %bb.9:
	global_load_dwordx4 v[2:5], v[0:1], off
	v_mov_b32_e32 v22, 0
	ds_read2_b64 v[6:9], v22 offset1:10
	ds_read_b128 v[10:13], v22 offset:32
	ds_read_b128 v[14:17], v22 offset:64
	s_mov_b32 s2, 4
	s_waitcnt vmcnt(0)
	v_mul_f64 v[2:3], s[0:1], v[2:3]
	s_waitcnt lgkmcnt(2)
	v_mul_f64 v[2:3], v[2:3], v[6:7]
	s_waitcnt lgkmcnt(1)
	v_mul_f64 v[6:7], v[2:3], v[10:11]
	v_fma_f64 v[4:5], s[0:1], v[4:5], -v[6:7]
	s_waitcnt lgkmcnt(0)
	v_mul_f64 v[6:7], v[2:3], v[14:15]
	v_mul_f64 v[4:5], v[4:5], v[12:13]
	global_load_dwordx4 v[10:13], v[0:1], off offset:16
	ds_read_b128 v[18:21], v22 offset:96
	ds_read_b128 v[22:25], v22 offset:112
	s_waitcnt vmcnt(0)
	v_fma_f64 v[6:7], s[0:1], v[10:11], -v[6:7]
	s_waitcnt lgkmcnt(1)
	v_mul_f64 v[10:11], v[2:3], v[18:19]
	v_fma_f64 v[6:7], -v[4:5], v[16:17], v[6:7]
	v_fma_f64 v[10:11], s[0:1], v[12:13], -v[10:11]
	v_mul_f64 v[6:7], v[6:7], v[8:9]
	v_fma_f64 v[10:11], -v[4:5], v[20:21], v[10:11]
	s_waitcnt lgkmcnt(0)
	v_fma_f64 v[8:9], -v[6:7], v[22:23], v[10:11]
	v_mul_f64 v[8:9], v[8:9], v[24:25]
	global_store_dwordx4 v[0:1], v[2:5], off
	global_store_dwordx4 v[0:1], v[6:9], off offset:16
	s_cmp_ge_i32 s2, s22
	s_cbranch_scc0 .LBB68_11
	s_branch .LBB68_15
.LBB68_10:
	s_mov_b32 s2, 0
	s_cmp_ge_i32 s2, s22
	s_cbranch_scc1 .LBB68_15
.LBB68_11:
	s_lshl_b32 s4, s2, 5
	s_mov_b32 s3, 0
	s_branch .LBB68_13
.LBB68_12:                              ;   in Loop: Header=BB68_13 Depth=1
	s_mul_i32 s5, s2, 40
	v_mov_b32_e32 v6, s5
	ds_read_b64 v[6:7], v6
	s_add_i32 s2, s2, 1
	s_add_i32 s4, s4, 32
	s_cmp_ge_i32 s2, s22
	s_waitcnt lgkmcnt(0)
	v_mul_f64 v[4:5], v[4:5], v[6:7]
	global_store_dwordx2 v[2:3], v[4:5], off
	s_cbranch_scc1 .LBB68_15
.LBB68_13:                              ; =>This Loop Header: Depth=1
                                        ;     Child Loop BB68_14 Depth 2
	s_lshl_b64 s[6:7], s[2:3], 3
	v_mov_b32_e32 v3, s7
	v_add_co_u32_e32 v2, vcc, s6, v0
	v_addc_co_u32_e32 v3, vcc, v1, v3, vcc
	global_load_dwordx2 v[4:5], v[2:3], off
	v_mov_b32_e32 v7, v1
	s_cmp_eq_u32 s2, 0
	v_mov_b32_e32 v6, v0
	s_mov_b32 s5, s2
	s_mov_b32 s6, s4
	s_waitcnt vmcnt(0)
	v_mul_f64 v[4:5], s[0:1], v[4:5]
	s_cbranch_scc1 .LBB68_12
.LBB68_14:                              ;   Parent Loop BB68_13 Depth=1
                                        ; =>  This Inner Loop Header: Depth=2
	global_load_dwordx2 v[8:9], v[6:7], off
	v_mov_b32_e32 v10, s6
	ds_read_b64 v[10:11], v10
	s_add_i32 s6, s6, 8
	s_add_i32 s5, s5, -1
	v_add_co_u32_e32 v6, vcc, 8, v6
	s_cmp_lg_u32 s5, 0
	v_addc_co_u32_e32 v7, vcc, 0, v7, vcc
	s_waitcnt vmcnt(0) lgkmcnt(0)
	v_fma_f64 v[4:5], -v[8:9], v[10:11], v[4:5]
	s_cbranch_scc1 .LBB68_14
	s_branch .LBB68_12
.LBB68_15:
	s_mov_b64 s[2:3], 0
.LBB68_16:
	s_and_b64 vcc, exec, s[2:3]
	s_cbranch_vccz .LBB68_36
; %bb.17:
	s_add_i32 s8, s22, -1
	s_cmp_gt_i32 s10, 3
	s_mov_b32 s6, -1
	s_cbranch_scc0 .LBB68_19
; %bb.18:
	global_load_dwordx4 v[2:5], v[0:1], off offset:16
	global_load_dwordx4 v[6:9], v[0:1], off
	v_mov_b32_e32 v20, 0
	ds_read_b128 v[10:13], v20 offset:112
	ds_read_b128 v[14:17], v20 offset:96
	s_waitcnt vmcnt(1)
	v_mul_f64 v[4:5], s[0:1], v[4:5]
	s_waitcnt lgkmcnt(1)
	v_mul_f64 v[4:5], v[4:5], v[12:13]
	v_mul_f64 v[10:11], v[4:5], v[10:11]
	s_waitcnt lgkmcnt(0)
	v_mul_f64 v[16:17], v[4:5], v[16:17]
	v_mul_f64 v[14:15], v[4:5], v[14:15]
	v_fma_f64 v[2:3], s[0:1], v[2:3], -v[10:11]
	ds_read2_b64 v[10:13], v20 offset1:10
	s_waitcnt vmcnt(0)
	v_fma_f64 v[16:17], s[0:1], v[8:9], -v[16:17]
	v_fma_f64 v[18:19], s[0:1], v[6:7], -v[14:15]
	s_waitcnt lgkmcnt(0)
	v_mul_f64 v[2:3], v[2:3], v[12:13]
	ds_read_b128 v[6:9], v20 offset:64
	ds_read_b128 v[12:15], v20 offset:32
	s_waitcnt lgkmcnt(1)
	v_fma_f64 v[8:9], -v[2:3], v[8:9], v[16:17]
	v_fma_f64 v[6:7], -v[2:3], v[6:7], v[18:19]
	s_waitcnt lgkmcnt(0)
	v_mul_f64 v[8:9], v[8:9], v[14:15]
	v_fma_f64 v[6:7], -v[8:9], v[12:13], v[6:7]
	v_mul_f64 v[6:7], v[6:7], v[10:11]
	global_store_dwordx4 v[0:1], v[2:5], off offset:16
	global_store_dwordx4 v[0:1], v[6:9], off
	s_cmp_lt_i32 s6, 0
	s_cbranch_scc0 .LBB68_20
	s_branch .LBB68_36
.LBB68_19:
	s_mov_b32 s6, s8
	s_cmp_lt_i32 s6, 0
	s_cbranch_scc1 .LBB68_36
.LBB68_20:
	s_and_b32 s2, s6, 3
	s_cmp_eq_u32 s2, 3
	s_mov_b32 s2, s6
	s_cbranch_scc1 .LBB68_25
; %bb.21:
	s_add_i32 s2, s6, 1
	s_and_b32 s7, s2, 3
	s_lshl_b32 s2, s22, 5
	s_lshl_b32 s3, s6, 3
	s_add_i32 s2, s2, s3
	s_sub_i32 s9, s2, 32
	s_mov_b32 s5, 0
	s_mov_b32 s2, s6
	;; [unrolled: 1-line block ×3, first 2 shown]
	s_branch .LBB68_23
.LBB68_22:                              ;   in Loop: Header=BB68_23 Depth=1
	s_mul_i32 s3, s2, 40
	v_mov_b32_e32 v6, s3
	ds_read_b64 v[6:7], v6
	s_add_i32 s2, s2, -1
	s_add_i32 s10, s10, 1
	s_add_i32 s9, s9, -8
	s_cmp_lg_u32 s10, s7
	s_waitcnt lgkmcnt(0)
	v_mul_f64 v[4:5], v[4:5], v[6:7]
	global_store_dwordx2 v[2:3], v[4:5], off
	s_cbranch_scc0 .LBB68_25
.LBB68_23:                              ; =>This Loop Header: Depth=1
                                        ;     Child Loop BB68_24 Depth 2
	s_mov_b32 s3, s5
	s_lshl_b64 s[12:13], s[2:3], 3
	v_mov_b32_e32 v3, s13
	v_add_co_u32_e32 v2, vcc, s12, v0
	v_addc_co_u32_e32 v3, vcc, v1, v3, vcc
	global_load_dwordx2 v[4:5], v[2:3], off
	s_cmp_le_i32 s8, s2
	s_mov_b32 s3, s9
	s_mov_b32 s4, s8
	s_waitcnt vmcnt(0)
	v_mul_f64 v[4:5], s[0:1], v[4:5]
	s_cbranch_scc1 .LBB68_22
.LBB68_24:                              ;   Parent Loop BB68_23 Depth=1
                                        ; =>  This Inner Loop Header: Depth=2
	s_lshl_b64 s[12:13], s[4:5], 3
	v_mov_b32_e32 v7, s13
	v_add_co_u32_e32 v6, vcc, s12, v0
	v_addc_co_u32_e32 v7, vcc, v1, v7, vcc
	global_load_dwordx2 v[6:7], v[6:7], off
	v_mov_b32_e32 v8, s3
	ds_read_b64 v[8:9], v8
	s_add_i32 s4, s4, -1
	s_sub_i32 s3, s3, 32
	s_cmp_gt_i32 s4, s2
	s_waitcnt vmcnt(0) lgkmcnt(0)
	v_fma_f64 v[4:5], -v[6:7], v[8:9], v[4:5]
	s_cbranch_scc1 .LBB68_24
	s_branch .LBB68_22
.LBB68_25:
	s_cmp_lt_u32 s6, 3
	s_cbranch_scc1 .LBB68_36
; %bb.26:
	s_lshl_b32 s3, s22, 5
	s_lshl_b32 s4, s2, 3
	s_add_i32 s3, s3, s4
	s_sub_i32 s9, s3, 32
	s_sub_i32 s10, s3, 40
	;; [unrolled: 1-line block ×4, first 2 shown]
	s_mov_b32 s5, 0
	s_branch .LBB68_28
.LBB68_27:                              ;   in Loop: Header=BB68_28 Depth=1
	s_sub_i32 s3, s3, 40
	v_mov_b32_e32 v4, s3
	ds_read_b64 v[4:5], v4
	s_add_i32 s3, s2, -4
	s_sub_i32 s9, s9, 32
	s_sub_i32 s10, s10, 32
	;; [unrolled: 1-line block ×3, first 2 shown]
	s_waitcnt lgkmcnt(0)
	v_mul_f64 v[4:5], v[6:7], v[4:5]
	s_sub_i32 s12, s12, 32
	s_cmp_lt_i32 s2, 4
	s_mov_b32 s2, s3
	global_store_dwordx2 v[2:3], v[4:5], off
	s_cbranch_scc1 .LBB68_36
.LBB68_28:                              ; =>This Loop Header: Depth=1
                                        ;     Child Loop BB68_29 Depth 2
                                        ;     Child Loop BB68_31 Depth 2
                                        ;     Child Loop BB68_33 Depth 2
                                        ;     Child Loop BB68_35 Depth 2
	s_mov_b32 s3, s5
	s_lshl_b64 s[6:7], s[2:3], 3
	v_mov_b32_e32 v2, s7
	v_add_co_u32_e32 v4, vcc, s6, v0
	v_addc_co_u32_e32 v5, vcc, v1, v2, vcc
	global_load_dwordx2 v[2:3], v[4:5], off
	s_cmp_le_i32 s8, s2
	s_mov_b32 s3, s9
	s_mov_b32 s4, s8
	s_waitcnt vmcnt(0)
	v_mul_f64 v[6:7], s[0:1], v[2:3]
	s_cbranch_scc1 .LBB68_30
.LBB68_29:                              ;   Parent Loop BB68_28 Depth=1
                                        ; =>  This Inner Loop Header: Depth=2
	s_lshl_b64 s[6:7], s[4:5], 3
	v_mov_b32_e32 v3, s7
	v_add_co_u32_e32 v2, vcc, s6, v0
	v_addc_co_u32_e32 v3, vcc, v1, v3, vcc
	global_load_dwordx2 v[2:3], v[2:3], off
	v_mov_b32_e32 v8, s3
	ds_read_b64 v[8:9], v8
	s_add_i32 s4, s4, -1
	s_sub_i32 s3, s3, 32
	s_cmp_gt_i32 s4, s2
	s_waitcnt vmcnt(0) lgkmcnt(0)
	v_fma_f64 v[6:7], -v[2:3], v[8:9], v[6:7]
	s_cbranch_scc1 .LBB68_29
.LBB68_30:                              ;   in Loop: Header=BB68_28 Depth=1
	s_add_i32 s4, s2, -1
	s_lshl_b64 s[6:7], s[4:5], 3
	v_mov_b32_e32 v3, s7
	v_add_co_u32_e32 v2, vcc, s6, v0
	v_addc_co_u32_e32 v3, vcc, v1, v3, vcc
	global_load_dwordx2 v[8:9], v[2:3], off
	s_mul_i32 s3, s2, 40
	v_mov_b32_e32 v10, s3
	ds_read_b64 v[10:11], v10
	s_cmp_le_i32 s22, s2
	s_mov_b32 s6, s10
	s_mov_b32 s4, s22
	s_waitcnt lgkmcnt(0)
	v_mul_f64 v[10:11], v[6:7], v[10:11]
	global_store_dwordx2 v[4:5], v[10:11], off
	s_waitcnt vmcnt(1)
	v_mul_f64 v[6:7], s[0:1], v[8:9]
	s_cbranch_scc1 .LBB68_32
.LBB68_31:                              ;   Parent Loop BB68_28 Depth=1
                                        ; =>  This Inner Loop Header: Depth=2
	s_add_i32 s4, s4, -1
	s_lshl_b64 s[14:15], s[4:5], 3
	v_mov_b32_e32 v5, s15
	v_add_co_u32_e32 v4, vcc, s14, v0
	v_addc_co_u32_e32 v5, vcc, v1, v5, vcc
	global_load_dwordx2 v[4:5], v[4:5], off
	v_mov_b32_e32 v8, s6
	ds_read_b64 v[8:9], v8
	s_sub_i32 s6, s6, 32
	s_cmp_gt_i32 s4, s2
	s_waitcnt vmcnt(0) lgkmcnt(0)
	v_fma_f64 v[6:7], -v[4:5], v[8:9], v[6:7]
	s_cbranch_scc1 .LBB68_31
.LBB68_32:                              ;   in Loop: Header=BB68_28 Depth=1
	s_add_i32 s6, s2, -2
	s_mov_b32 s7, s5
	s_lshl_b64 s[14:15], s[6:7], 3
	v_mov_b32_e32 v5, s15
	v_add_co_u32_e32 v4, vcc, s14, v0
	v_addc_co_u32_e32 v5, vcc, v1, v5, vcc
	global_load_dwordx2 v[8:9], v[4:5], off
	s_sub_i32 s3, s3, 40
	v_mov_b32_e32 v10, s3
	ds_read_b64 v[10:11], v10
	s_cmp_le_i32 s8, s6
	s_mov_b32 s7, s11
	s_mov_b32 s4, s8
	s_waitcnt lgkmcnt(0)
	v_mul_f64 v[10:11], v[6:7], v[10:11]
	global_store_dwordx2 v[2:3], v[10:11], off
	s_waitcnt vmcnt(1)
	v_mul_f64 v[6:7], s[0:1], v[8:9]
	s_cbranch_scc1 .LBB68_34
.LBB68_33:                              ;   Parent Loop BB68_28 Depth=1
                                        ; =>  This Inner Loop Header: Depth=2
	s_lshl_b64 s[14:15], s[4:5], 3
	v_mov_b32_e32 v3, s15
	v_add_co_u32_e32 v2, vcc, s14, v0
	v_addc_co_u32_e32 v3, vcc, v1, v3, vcc
	global_load_dwordx2 v[2:3], v[2:3], off
	v_mov_b32_e32 v8, s7
	ds_read_b64 v[8:9], v8
	s_add_i32 s4, s4, -1
	s_sub_i32 s7, s7, 32
	s_cmp_gt_i32 s4, s6
	s_waitcnt vmcnt(0) lgkmcnt(0)
	v_fma_f64 v[6:7], -v[2:3], v[8:9], v[6:7]
	s_cbranch_scc1 .LBB68_33
.LBB68_34:                              ;   in Loop: Header=BB68_28 Depth=1
	s_add_i32 s6, s2, -3
	s_mov_b32 s7, s5
	s_lshl_b64 s[14:15], s[6:7], 3
	v_mov_b32_e32 v3, s15
	v_add_co_u32_e32 v2, vcc, s14, v0
	v_addc_co_u32_e32 v3, vcc, v1, v3, vcc
	global_load_dwordx2 v[8:9], v[2:3], off
	s_sub_i32 s3, s3, 40
	v_mov_b32_e32 v10, s3
	ds_read_b64 v[10:11], v10
	s_cmp_le_i32 s8, s6
	s_mov_b32 s7, s12
	s_mov_b32 s4, s8
	s_waitcnt lgkmcnt(0)
	v_mul_f64 v[10:11], v[6:7], v[10:11]
	global_store_dwordx2 v[4:5], v[10:11], off
	s_waitcnt vmcnt(1)
	v_mul_f64 v[6:7], s[0:1], v[8:9]
	s_cbranch_scc1 .LBB68_27
.LBB68_35:                              ;   Parent Loop BB68_28 Depth=1
                                        ; =>  This Inner Loop Header: Depth=2
	s_lshl_b64 s[14:15], s[4:5], 3
	v_mov_b32_e32 v5, s15
	v_add_co_u32_e32 v4, vcc, s14, v0
	v_addc_co_u32_e32 v5, vcc, v1, v5, vcc
	global_load_dwordx2 v[4:5], v[4:5], off
	v_mov_b32_e32 v8, s7
	ds_read_b64 v[8:9], v8
	s_add_i32 s4, s4, -1
	s_sub_i32 s7, s7, 32
	s_cmp_gt_i32 s4, s6
	s_waitcnt vmcnt(0) lgkmcnt(0)
	v_fma_f64 v[6:7], -v[4:5], v[8:9], v[6:7]
	s_cbranch_scc1 .LBB68_35
	s_branch .LBB68_27
.LBB68_36:
	s_endpgm
	.section	.rodata,"a",@progbits
	.p2align	6, 0x0
	.amdhsa_kernel _ZL30rocblas_trsm_small_left_deviceILi4ELi4ELb0EddPKdPdEv13rocblas_fill_18rocblas_operation_17rocblas_diagonal_iiT3_T4_lilT5_lili
		.amdhsa_group_segment_fixed_size 128
		.amdhsa_private_segment_fixed_size 0
		.amdhsa_kernarg_size 360
		.amdhsa_user_sgpr_count 6
		.amdhsa_user_sgpr_private_segment_buffer 1
		.amdhsa_user_sgpr_dispatch_ptr 0
		.amdhsa_user_sgpr_queue_ptr 0
		.amdhsa_user_sgpr_kernarg_segment_ptr 1
		.amdhsa_user_sgpr_dispatch_id 0
		.amdhsa_user_sgpr_flat_scratch_init 0
		.amdhsa_user_sgpr_private_segment_size 0
		.amdhsa_uses_dynamic_stack 0
		.amdhsa_system_sgpr_private_segment_wavefront_offset 0
		.amdhsa_system_sgpr_workgroup_id_x 1
		.amdhsa_system_sgpr_workgroup_id_y 0
		.amdhsa_system_sgpr_workgroup_id_z 1
		.amdhsa_system_sgpr_workgroup_info 0
		.amdhsa_system_vgpr_workitem_id 0
		.amdhsa_next_free_vgpr 26
		.amdhsa_next_free_sgpr 26
		.amdhsa_reserve_vcc 1
		.amdhsa_reserve_flat_scratch 0
		.amdhsa_float_round_mode_32 0
		.amdhsa_float_round_mode_16_64 0
		.amdhsa_float_denorm_mode_32 3
		.amdhsa_float_denorm_mode_16_64 3
		.amdhsa_dx10_clamp 1
		.amdhsa_ieee_mode 1
		.amdhsa_fp16_overflow 0
		.amdhsa_exception_fp_ieee_invalid_op 0
		.amdhsa_exception_fp_denorm_src 0
		.amdhsa_exception_fp_ieee_div_zero 0
		.amdhsa_exception_fp_ieee_overflow 0
		.amdhsa_exception_fp_ieee_underflow 0
		.amdhsa_exception_fp_ieee_inexact 0
		.amdhsa_exception_int_div_zero 0
	.end_amdhsa_kernel
	.section	.text._ZL30rocblas_trsm_small_left_deviceILi4ELi4ELb0EddPKdPdEv13rocblas_fill_18rocblas_operation_17rocblas_diagonal_iiT3_T4_lilT5_lili,"axG",@progbits,_ZL30rocblas_trsm_small_left_deviceILi4ELi4ELb0EddPKdPdEv13rocblas_fill_18rocblas_operation_17rocblas_diagonal_iiT3_T4_lilT5_lili,comdat
.Lfunc_end68:
	.size	_ZL30rocblas_trsm_small_left_deviceILi4ELi4ELb0EddPKdPdEv13rocblas_fill_18rocblas_operation_17rocblas_diagonal_iiT3_T4_lilT5_lili, .Lfunc_end68-_ZL30rocblas_trsm_small_left_deviceILi4ELi4ELb0EddPKdPdEv13rocblas_fill_18rocblas_operation_17rocblas_diagonal_iiT3_T4_lilT5_lili
                                        ; -- End function
	.set _ZL30rocblas_trsm_small_left_deviceILi4ELi4ELb0EddPKdPdEv13rocblas_fill_18rocblas_operation_17rocblas_diagonal_iiT3_T4_lilT5_lili.num_vgpr, 26
	.set _ZL30rocblas_trsm_small_left_deviceILi4ELi4ELb0EddPKdPdEv13rocblas_fill_18rocblas_operation_17rocblas_diagonal_iiT3_T4_lilT5_lili.num_agpr, 0
	.set _ZL30rocblas_trsm_small_left_deviceILi4ELi4ELb0EddPKdPdEv13rocblas_fill_18rocblas_operation_17rocblas_diagonal_iiT3_T4_lilT5_lili.numbered_sgpr, 26
	.set _ZL30rocblas_trsm_small_left_deviceILi4ELi4ELb0EddPKdPdEv13rocblas_fill_18rocblas_operation_17rocblas_diagonal_iiT3_T4_lilT5_lili.num_named_barrier, 0
	.set _ZL30rocblas_trsm_small_left_deviceILi4ELi4ELb0EddPKdPdEv13rocblas_fill_18rocblas_operation_17rocblas_diagonal_iiT3_T4_lilT5_lili.private_seg_size, 0
	.set _ZL30rocblas_trsm_small_left_deviceILi4ELi4ELb0EddPKdPdEv13rocblas_fill_18rocblas_operation_17rocblas_diagonal_iiT3_T4_lilT5_lili.uses_vcc, 1
	.set _ZL30rocblas_trsm_small_left_deviceILi4ELi4ELb0EddPKdPdEv13rocblas_fill_18rocblas_operation_17rocblas_diagonal_iiT3_T4_lilT5_lili.uses_flat_scratch, 0
	.set _ZL30rocblas_trsm_small_left_deviceILi4ELi4ELb0EddPKdPdEv13rocblas_fill_18rocblas_operation_17rocblas_diagonal_iiT3_T4_lilT5_lili.has_dyn_sized_stack, 0
	.set _ZL30rocblas_trsm_small_left_deviceILi4ELi4ELb0EddPKdPdEv13rocblas_fill_18rocblas_operation_17rocblas_diagonal_iiT3_T4_lilT5_lili.has_recursion, 0
	.set _ZL30rocblas_trsm_small_left_deviceILi4ELi4ELb0EddPKdPdEv13rocblas_fill_18rocblas_operation_17rocblas_diagonal_iiT3_T4_lilT5_lili.has_indirect_call, 0
	.section	.AMDGPU.csdata,"",@progbits
; Kernel info:
; codeLenInByte = 2132
; TotalNumSgprs: 30
; NumVgprs: 26
; ScratchSize: 0
; MemoryBound: 0
; FloatMode: 240
; IeeeMode: 1
; LDSByteSize: 128 bytes/workgroup (compile time only)
; SGPRBlocks: 3
; VGPRBlocks: 6
; NumSGPRsForWavesPerEU: 30
; NumVGPRsForWavesPerEU: 26
; Occupancy: 9
; WaveLimiterHint : 0
; COMPUTE_PGM_RSRC2:SCRATCH_EN: 0
; COMPUTE_PGM_RSRC2:USER_SGPR: 6
; COMPUTE_PGM_RSRC2:TRAP_HANDLER: 0
; COMPUTE_PGM_RSRC2:TGID_X_EN: 1
; COMPUTE_PGM_RSRC2:TGID_Y_EN: 0
; COMPUTE_PGM_RSRC2:TGID_Z_EN: 1
; COMPUTE_PGM_RSRC2:TIDIG_COMP_CNT: 0
	.section	.text._ZL38rocblas_trsm_small_left_device_sharedBILi4ELi4ELb1EddPKdPdEv13rocblas_fill_18rocblas_operation_17rocblas_diagonal_iiT3_T4_lilT5_lili,"axG",@progbits,_ZL38rocblas_trsm_small_left_device_sharedBILi4ELi4ELb1EddPKdPdEv13rocblas_fill_18rocblas_operation_17rocblas_diagonal_iiT3_T4_lilT5_lili,comdat
	.globl	_ZL38rocblas_trsm_small_left_device_sharedBILi4ELi4ELb1EddPKdPdEv13rocblas_fill_18rocblas_operation_17rocblas_diagonal_iiT3_T4_lilT5_lili ; -- Begin function _ZL38rocblas_trsm_small_left_device_sharedBILi4ELi4ELb1EddPKdPdEv13rocblas_fill_18rocblas_operation_17rocblas_diagonal_iiT3_T4_lilT5_lili
	.p2align	8
	.type	_ZL38rocblas_trsm_small_left_device_sharedBILi4ELi4ELb1EddPKdPdEv13rocblas_fill_18rocblas_operation_17rocblas_diagonal_iiT3_T4_lilT5_lili,@function
_ZL38rocblas_trsm_small_left_device_sharedBILi4ELi4ELb1EddPKdPdEv13rocblas_fill_18rocblas_operation_17rocblas_diagonal_iiT3_T4_lilT5_lili: ; @_ZL38rocblas_trsm_small_left_device_sharedBILi4ELi4ELb1EddPKdPdEv13rocblas_fill_18rocblas_operation_17rocblas_diagonal_iiT3_T4_lilT5_lili
; %bb.0:
	s_load_dwordx4 s[8:11], s[4:5], 0x4
	s_load_dwordx4 s[12:15], s[4:5], 0x18
	s_load_dwordx2 s[20:21], s[4:5], 0x28
	s_load_dwordx4 s[0:3], s[4:5], 0x38
	s_load_dwordx2 s[16:17], s[4:5], 0x48
	s_waitcnt lgkmcnt(0)
	s_min_i32 s22, s10, 4
	v_cmp_gt_i32_e32 vcc, s22, v0
	s_and_saveexec_b64 s[18:19], vcc
	s_cbranch_execz .LBB69_6
; %bb.1:
	s_load_dword s24, s[4:5], 0x30
	s_mul_i32 s1, s1, s7
	s_mul_hi_u32 s23, s0, s7
	s_mul_i32 s0, s0, s7
	s_add_i32 s1, s23, s1
	s_waitcnt lgkmcnt(0)
	s_ashr_i32 s25, s24, 31
	s_lshl_b64 s[0:1], s[0:1], 3
	s_add_u32 s14, s14, s0
	s_addc_u32 s15, s15, s1
	s_lshl_b64 s[0:1], s[20:21], 3
	s_add_u32 s0, s14, s0
	s_addc_u32 s1, s15, s1
	v_lshlrev_b32_e32 v3, 3, v0
	v_mov_b32_e32 v2, s1
	v_add_co_u32_e32 v1, vcc, s0, v3
	s_lshl_b64 s[0:1], s[24:25], 3
	v_addc_co_u32_e32 v2, vcc, 0, v2, vcc
	v_mov_b32_e32 v4, s1
	v_mov_b32_e32 v5, v3
	s_mov_b32 s1, s22
.LBB69_2:                               ; =>This Inner Loop Header: Depth=1
	global_load_dwordx2 v[6:7], v[1:2], off
	v_add_co_u32_e32 v1, vcc, s0, v1
	s_add_i32 s1, s1, -1
	v_addc_co_u32_e32 v2, vcc, v2, v4, vcc
	s_cmp_eq_u32 s1, 0
	s_waitcnt vmcnt(0)
	ds_write_b64 v5, v[6:7]
	v_add_u32_e32 v5, 32, v5
	s_cbranch_scc0 .LBB69_2
; %bb.3:
	v_lshlrev_b32_e32 v4, 5, v0
	v_mov_b32_e32 v1, 0
	s_cmpk_lg_i32 s9, 0x84
	v_mov_b32_e32 v2, 0x3ff00000
	v_add_u32_e32 v3, v3, v4
	s_cbranch_scc0 .LBB69_5
; %bb.4:
	ds_read_b64 v[1:2], v3
	s_waitcnt lgkmcnt(0)
	v_div_scale_f64 v[4:5], s[0:1], v[1:2], v[1:2], 1.0
	v_div_scale_f64 v[10:11], vcc, 1.0, v[1:2], 1.0
	v_rcp_f64_e32 v[6:7], v[4:5]
	v_fma_f64 v[8:9], -v[4:5], v[6:7], 1.0
	v_fma_f64 v[6:7], v[6:7], v[8:9], v[6:7]
	v_fma_f64 v[8:9], -v[4:5], v[6:7], 1.0
	v_fma_f64 v[6:7], v[6:7], v[8:9], v[6:7]
	v_mul_f64 v[8:9], v[10:11], v[6:7]
	v_fma_f64 v[4:5], -v[4:5], v[8:9], v[10:11]
	v_div_fmas_f64 v[4:5], v[4:5], v[6:7], v[8:9]
	v_div_fixup_f64 v[1:2], v[4:5], v[1:2], 1.0
.LBB69_5:
	ds_write_b64 v3, v[1:2]
.LBB69_6:
	s_or_b64 exec, exec, s[18:19]
	s_load_dword s0, s[4:5], 0x68
	s_load_dwordx2 s[14:15], s[4:5], 0x58
	s_load_dword s9, s[4:5], 0x50
	s_waitcnt lgkmcnt(0)
	s_mul_i32 s1, s15, s7
	s_mul_hi_u32 s5, s14, s7
	s_mul_i32 s4, s14, s7
	s_add_i32 s5, s5, s1
	s_lshl_b64 s[4:5], s[4:5], 3
	s_add_u32 s1, s2, s4
	s_addc_u32 s4, s3, s5
	s_lshl_b64 s[2:3], s[16:17], 3
	s_add_u32 s2, s1, s2
	s_addc_u32 s3, s4, s3
	s_lshl_b32 s4, s6, 2
	s_add_i32 s0, s0, -1
	s_sub_i32 s1, s11, s4
	s_cmp_ge_u32 s6, s0
	s_cselect_b32 s5, s1, 4
	s_mul_hi_i32 s1, s9, s4
	s_mul_i32 s0, s9, s4
	s_lshl_b64 s[0:1], s[0:1], 3
	s_add_u32 s6, s2, s0
	s_addc_u32 s7, s3, s1
	s_cmp_gt_i32 s10, 0
	v_cmp_gt_i32_e64 s[0:1], s5, v0
	s_cselect_b64 s[2:3], -1, 0
	s_and_b64 s[14:15], s[0:1], s[2:3]
	s_and_saveexec_b64 s[4:5], s[14:15]
	s_cbranch_execz .LBB69_9
; %bb.7:
	v_mad_i64_i32 v[1:2], s[14:15], s9, v0, 0
	v_mov_b32_e32 v3, s7
	s_mov_b32 s11, s22
	v_lshlrev_b64 v[1:2], 3, v[1:2]
	v_add_co_u32_e32 v1, vcc, s6, v1
	v_addc_co_u32_e32 v2, vcc, v3, v2, vcc
	v_mov_b32_e32 v3, 0x80
	v_lshl_or_b32 v3, v0, 3, v3
.LBB69_8:                               ; =>This Inner Loop Header: Depth=1
	global_load_dwordx2 v[4:5], v[1:2], off
	s_add_i32 s11, s11, -1
	v_add_co_u32_e32 v1, vcc, 8, v1
	v_addc_co_u32_e32 v2, vcc, 0, v2, vcc
	s_cmp_lg_u32 s11, 0
	s_waitcnt vmcnt(0)
	v_mul_f64 v[4:5], s[12:13], v[4:5]
	ds_write_b64 v3, v[4:5]
	v_add_u32_e32 v3, 32, v3
	s_cbranch_scc1 .LBB69_8
.LBB69_9:
	s_or_b64 exec, exec, s[4:5]
	v_mov_b32_e32 v1, 0x80
	s_cmpk_eq_i32 s8, 0x6f
	v_lshl_or_b32 v5, v0, 3, v1
	s_mov_b64 s[4:5], -1
	s_waitcnt lgkmcnt(0)
	; wave barrier
	s_cbranch_scc1 .LBB69_30
; %bb.10:
	s_add_i32 s4, s22, -1
	s_cmp_gt_i32 s10, 3
	s_mov_b32 s8, -1
	s_cbranch_scc0 .LBB69_12
; %bb.11:
	v_mov_b32_e32 v18, 0
	ds_read2_b64 v[1:4], v5 offset0:8 offset1:12
	ds_read2_b64 v[6:9], v18 offset0:7 offset1:15
	s_waitcnt lgkmcnt(0)
	v_mul_f64 v[16:17], v[3:4], v[8:9]
	ds_read_b128 v[8:11], v18 offset:80
	ds_read2_b64 v[12:15], v18 offset0:5 offset1:6
	s_waitcnt lgkmcnt(1)
	v_fma_f64 v[10:11], -v[16:17], v[10:11], v[1:2]
	ds_read2_b64 v[1:4], v5 offset1:4
	s_waitcnt lgkmcnt(0)
	v_fma_f64 v[3:4], -v[16:17], v[6:7], v[3:4]
	v_mul_f64 v[10:11], v[10:11], v[8:9]
	ds_read_b128 v[6:9], v18 offset:16
	s_waitcnt lgkmcnt(0)
	v_fma_f64 v[1:2], -v[16:17], v[8:9], v[1:2]
	v_fma_f64 v[3:4], -v[10:11], v[14:15], v[3:4]
	;; [unrolled: 1-line block ×3, first 2 shown]
	v_mul_f64 v[8:9], v[3:4], v[12:13]
	ds_read_b128 v[1:4], v18
	s_waitcnt lgkmcnt(0)
	v_fma_f64 v[3:4], -v[8:9], v[3:4], v[6:7]
	v_mul_f64 v[1:2], v[3:4], v[1:2]
	ds_write2_b64 v5, v[10:11], v[16:17] offset0:8 offset1:12
	ds_write2_b64 v5, v[1:2], v[8:9] offset1:4
	s_cmp_lt_i32 s8, 0
	s_cbranch_scc0 .LBB69_13
	s_branch .LBB69_29
.LBB69_12:
	s_mov_b32 s8, s4
	s_cmp_lt_i32 s8, 0
	s_cbranch_scc1 .LBB69_29
.LBB69_13:
	s_and_b32 s5, s8, 3
	s_cmp_eq_u32 s5, 3
	v_lshlrev_b32_e32 v3, 3, v0
	s_mov_b32 s5, s8
	s_cbranch_scc1 .LBB69_18
; %bb.14:
	s_add_i32 s5, s8, 1
	s_and_b32 s11, s5, 3
	s_lshl_b32 s5, s8, 5
	s_lshl_b32 s12, s22, 3
	s_add_i32 s5, s5, s12
	v_lshl_or_b32 v1, s22, 5, v3
	s_add_i32 s12, s5, -8
	v_add_u32_e32 v4, 0x60, v1
	s_mov_b32 s13, 0
	s_mov_b32 s5, s8
	s_branch .LBB69_16
.LBB69_15:                              ;   in Loop: Header=BB69_16 Depth=1
	s_mul_i32 s14, s5, 40
	v_mov_b32_e32 v7, s14
	ds_read_b64 v[7:8], v7
	s_add_i32 s5, s5, -1
	s_add_i32 s13, s13, 1
	s_sub_i32 s12, s12, 32
	s_cmp_lg_u32 s13, s11
	s_waitcnt lgkmcnt(0)
	v_mul_f64 v[1:2], v[1:2], v[7:8]
	ds_write_b64 v6, v[1:2]
	s_cbranch_scc0 .LBB69_18
.LBB69_16:                              ; =>This Loop Header: Depth=1
                                        ;     Child Loop BB69_17 Depth 2
	s_lshl_b32 s14, s5, 5
	v_add_u32_e32 v6, s14, v5
	ds_read_b64 v[1:2], v6
	s_cmp_le_i32 s4, s5
	v_mov_b32_e32 v7, v4
	s_mov_b32 s14, s12
	s_mov_b32 s15, s4
	s_cbranch_scc1 .LBB69_15
.LBB69_17:                              ;   Parent Loop BB69_16 Depth=1
                                        ; =>  This Inner Loop Header: Depth=2
	v_mov_b32_e32 v10, s14
	ds_read_b64 v[8:9], v7
	ds_read_b64 v[10:11], v10
	s_add_i32 s15, s15, -1
	s_add_i32 s14, s14, -8
	s_cmp_gt_i32 s15, s5
	v_subrev_u32_e32 v7, 32, v7
	s_waitcnt lgkmcnt(0)
	v_fma_f64 v[1:2], -v[8:9], v[10:11], v[1:2]
	s_cbranch_scc1 .LBB69_17
	s_branch .LBB69_15
.LBB69_18:
	s_cmp_lt_u32 s8, 3
	s_cbranch_scc1 .LBB69_29
; %bb.19:
	s_lshl_b32 s8, s5, 5
	s_lshl_b32 s11, s22, 3
	s_add_i32 s13, s8, s11
	v_lshl_or_b32 v1, s22, 5, v3
	s_add_i32 s8, s13, -8
	v_add_u32_e32 v6, 0x60, v1
	s_sub_i32 s11, s13, 40
	s_add_i32 s12, s13, 0xffffffb8
	s_addk_i32 s13, 0xff98
	s_branch .LBB69_21
.LBB69_20:                              ;   in Loop: Header=BB69_21 Depth=1
	s_sub_i32 s14, s14, 40
	v_mov_b32_e32 v3, s14
	ds_read_b64 v[3:4], v3
	s_add_i32 s14, s5, -4
	s_addk_i32 s8, 0xff80
	s_addk_i32 s11, 0xff80
	s_addk_i32 s12, 0xff80
	s_waitcnt lgkmcnt(0)
	v_mul_f64 v[1:2], v[1:2], v[3:4]
	s_addk_i32 s13, 0xff80
	s_cmp_lt_i32 s5, 4
	s_mov_b32 s5, s14
	ds_write_b64 v7, v[1:2]
	s_cbranch_scc1 .LBB69_29
.LBB69_21:                              ; =>This Loop Header: Depth=1
                                        ;     Child Loop BB69_22 Depth 2
                                        ;     Child Loop BB69_24 Depth 2
	;; [unrolled: 1-line block ×4, first 2 shown]
	s_lshl_b32 s15, s5, 5
	v_add_u32_e32 v8, s15, v5
	ds_read_b64 v[3:4], v8
	s_cmp_le_i32 s4, s5
	v_mov_b32_e32 v1, v6
	s_mov_b32 s14, s8
	s_mov_b32 s16, s4
	s_cbranch_scc1 .LBB69_23
.LBB69_22:                              ;   Parent Loop BB69_21 Depth=1
                                        ; =>  This Inner Loop Header: Depth=2
	v_mov_b32_e32 v2, s14
	ds_read_b64 v[9:10], v1
	ds_read_b64 v[11:12], v2
	s_add_i32 s16, s16, -1
	s_add_i32 s14, s14, -8
	s_cmp_gt_i32 s16, s5
	v_subrev_u32_e32 v1, 32, v1
	s_waitcnt lgkmcnt(0)
	v_fma_f64 v[3:4], -v[9:10], v[11:12], v[3:4]
	s_cbranch_scc1 .LBB69_22
.LBB69_23:                              ;   in Loop: Header=BB69_21 Depth=1
	s_mul_i32 s14, s5, 40
	v_mov_b32_e32 v1, s14
	ds_read_b64 v[9:10], v1
	s_sub_i32 s15, s15, 32
	v_add_u32_e32 v7, s15, v5
	ds_read_b64 v[1:2], v7
	s_mov_b32 s15, s11
	s_waitcnt lgkmcnt(1)
	v_mul_f64 v[9:10], v[3:4], v[9:10]
	v_mov_b32_e32 v3, v6
	s_cmp_le_i32 s22, s5
	s_mov_b32 s16, s22
	ds_write_b64 v8, v[9:10]
	s_cbranch_scc1 .LBB69_25
.LBB69_24:                              ;   Parent Loop BB69_21 Depth=1
                                        ; =>  This Inner Loop Header: Depth=2
	v_mov_b32_e32 v4, s15
	ds_read_b64 v[8:9], v3
	ds_read_b64 v[10:11], v4
	s_add_i32 s16, s16, -1
	s_add_i32 s15, s15, -8
	s_cmp_gt_i32 s16, s5
	v_subrev_u32_e32 v3, 32, v3
	s_waitcnt lgkmcnt(0)
	v_fma_f64 v[1:2], -v[8:9], v[10:11], v[1:2]
	s_cbranch_scc1 .LBB69_24
.LBB69_25:                              ;   in Loop: Header=BB69_21 Depth=1
	s_sub_i32 s14, s14, 40
	v_mov_b32_e32 v3, s14
	ds_read_b64 v[9:10], v3
	s_add_i32 s15, s5, -2
	s_lshl_b32 s16, s15, 5
	v_add_u32_e32 v8, s16, v5
	ds_read_b64 v[3:4], v8
	s_waitcnt lgkmcnt(1)
	v_mul_f64 v[9:10], v[1:2], v[9:10]
	v_mov_b32_e32 v1, v6
	s_mov_b32 s16, s12
	s_cmp_le_i32 s4, s15
	s_mov_b32 s17, s4
	ds_write_b64 v7, v[9:10]
	s_cbranch_scc1 .LBB69_27
.LBB69_26:                              ;   Parent Loop BB69_21 Depth=1
                                        ; =>  This Inner Loop Header: Depth=2
	v_mov_b32_e32 v2, s16
	ds_read_b64 v[9:10], v1
	ds_read_b64 v[11:12], v2
	s_add_i32 s17, s17, -1
	s_add_i32 s16, s16, -8
	s_cmp_gt_i32 s17, s15
	v_subrev_u32_e32 v1, 32, v1
	s_waitcnt lgkmcnt(0)
	v_fma_f64 v[3:4], -v[9:10], v[11:12], v[3:4]
	s_cbranch_scc1 .LBB69_26
.LBB69_27:                              ;   in Loop: Header=BB69_21 Depth=1
	s_sub_i32 s14, s14, 40
	v_mov_b32_e32 v1, s14
	ds_read_b64 v[9:10], v1
	s_add_i32 s15, s5, -3
	s_lshl_b32 s16, s15, 5
	v_add_u32_e32 v7, s16, v5
	ds_read_b64 v[1:2], v7
	s_waitcnt lgkmcnt(1)
	v_mul_f64 v[9:10], v[3:4], v[9:10]
	v_mov_b32_e32 v3, v6
	s_mov_b32 s16, s13
	s_cmp_le_i32 s4, s15
	s_mov_b32 s17, s4
	ds_write_b64 v8, v[9:10]
	s_cbranch_scc1 .LBB69_20
.LBB69_28:                              ;   Parent Loop BB69_21 Depth=1
                                        ; =>  This Inner Loop Header: Depth=2
	v_mov_b32_e32 v4, s16
	ds_read_b64 v[8:9], v3
	ds_read_b64 v[10:11], v4
	s_add_i32 s17, s17, -1
	s_add_i32 s16, s16, -8
	s_cmp_gt_i32 s17, s15
	v_subrev_u32_e32 v3, 32, v3
	s_waitcnt lgkmcnt(0)
	v_fma_f64 v[1:2], -v[8:9], v[10:11], v[1:2]
	s_cbranch_scc1 .LBB69_28
	s_branch .LBB69_20
.LBB69_29:
	s_mov_b64 s[4:5], 0
.LBB69_30:
	s_and_b64 vcc, exec, s[4:5]
	s_cbranch_vccz .LBB69_38
; %bb.31:
	s_cmp_gt_i32 s10, 3
	s_cbranch_scc0 .LBB69_33
; %bb.32:
	ds_read2_b64 v[1:4], v5 offset1:4
	v_mov_b32_e32 v18, 0
	ds_read_b128 v[6:9], v18
	ds_read_b128 v[10:13], v18 offset:16
	s_mov_b32 s4, 4
	s_waitcnt lgkmcnt(1)
	v_mul_f64 v[14:15], v[1:2], v[6:7]
	v_fma_f64 v[16:17], -v[14:15], v[8:9], v[3:4]
	ds_read2_b64 v[1:4], v5 offset0:8 offset1:12
	ds_read2_b64 v[6:9], v18 offset0:5 offset1:6
	s_waitcnt lgkmcnt(1)
	v_fma_f64 v[10:11], -v[14:15], v[10:11], v[1:2]
	v_fma_f64 v[12:13], -v[14:15], v[12:13], v[3:4]
	ds_read_b128 v[1:4], v18 offset:80
	s_waitcnt lgkmcnt(1)
	v_mul_f64 v[16:17], v[16:17], v[6:7]
	v_fma_f64 v[10:11], -v[16:17], v[8:9], v[10:11]
	ds_read2_b64 v[6:9], v18 offset0:7 offset1:15
	s_waitcnt lgkmcnt(0)
	v_fma_f64 v[6:7], -v[16:17], v[6:7], v[12:13]
	v_mul_f64 v[1:2], v[10:11], v[1:2]
	v_fma_f64 v[3:4], -v[1:2], v[3:4], v[6:7]
	v_mul_f64 v[3:4], v[3:4], v[8:9]
	ds_write2_b64 v5, v[14:15], v[16:17] offset1:4
	ds_write2_b64 v5, v[1:2], v[3:4] offset0:8 offset1:12
	s_cmp_ge_i32 s4, s22
	s_cbranch_scc0 .LBB69_34
	s_branch .LBB69_38
.LBB69_33:
	s_mov_b32 s4, 0
	s_cmp_ge_i32 s4, s22
	s_cbranch_scc1 .LBB69_38
.LBB69_34:
	v_mov_b32_e32 v1, 0x80
	s_lshl_b32 s5, s4, 3
	v_lshl_or_b32 v3, v0, 3, v1
	s_branch .LBB69_36
.LBB69_35:                              ;   in Loop: Header=BB69_36 Depth=1
	s_lshl_b32 s10, s4, 3
	s_add_i32 s8, s10, s8
	v_mov_b32_e32 v6, s8
	ds_read_b64 v[6:7], v6
	s_add_i32 s4, s4, 1
	s_add_i32 s5, s5, 8
	s_cmp_ge_i32 s4, s22
	s_waitcnt lgkmcnt(0)
	v_mul_f64 v[1:2], v[1:2], v[6:7]
	ds_write_b64 v4, v[1:2]
	s_cbranch_scc1 .LBB69_38
.LBB69_36:                              ; =>This Loop Header: Depth=1
                                        ;     Child Loop BB69_37 Depth 2
	s_lshl_b32 s8, s4, 5
	v_add_u32_e32 v4, s8, v5
	ds_read_b64 v[1:2], v4
	s_cmp_eq_u32 s4, 0
	v_mov_b32_e32 v6, v3
	s_mov_b32 s10, s5
	s_mov_b32 s11, s4
	s_cbranch_scc1 .LBB69_35
.LBB69_37:                              ;   Parent Loop BB69_36 Depth=1
                                        ; =>  This Inner Loop Header: Depth=2
	v_mov_b32_e32 v9, s10
	ds_read_b64 v[7:8], v6
	ds_read_b64 v[9:10], v9
	s_add_i32 s11, s11, -1
	s_add_i32 s10, s10, 32
	s_cmp_lg_u32 s11, 0
	v_add_u32_e32 v6, 32, v6
	s_waitcnt lgkmcnt(0)
	v_fma_f64 v[1:2], -v[7:8], v[9:10], v[1:2]
	s_cbranch_scc1 .LBB69_37
	s_branch .LBB69_35
.LBB69_38:
	s_waitcnt lgkmcnt(0)
	; wave barrier
	s_and_saveexec_b64 s[4:5], s[0:1]
	s_cbranch_execz .LBB69_42
; %bb.39:
	s_andn2_b64 vcc, exec, s[2:3]
	s_cbranch_vccnz .LBB69_42
; %bb.40:
	v_mad_i64_i32 v[1:2], s[0:1], s9, v0, 0
	v_mov_b32_e32 v3, s7
	v_lshlrev_b64 v[1:2], 3, v[1:2]
	v_add_co_u32_e32 v1, vcc, s6, v1
	v_addc_co_u32_e32 v2, vcc, v3, v2, vcc
	v_mov_b32_e32 v3, 0x80
	v_lshl_or_b32 v0, v0, 3, v3
.LBB69_41:                              ; =>This Inner Loop Header: Depth=1
	ds_read_b64 v[3:4], v0
	s_add_i32 s22, s22, -1
	v_add_u32_e32 v0, 32, v0
	s_cmp_lg_u32 s22, 0
	s_waitcnt lgkmcnt(0)
	global_store_dwordx2 v[1:2], v[3:4], off
	v_add_co_u32_e32 v1, vcc, 8, v1
	v_addc_co_u32_e32 v2, vcc, 0, v2, vcc
	s_cbranch_scc1 .LBB69_41
.LBB69_42:
	s_endpgm
	.section	.rodata,"a",@progbits
	.p2align	6, 0x0
	.amdhsa_kernel _ZL38rocblas_trsm_small_left_device_sharedBILi4ELi4ELb1EddPKdPdEv13rocblas_fill_18rocblas_operation_17rocblas_diagonal_iiT3_T4_lilT5_lili
		.amdhsa_group_segment_fixed_size 256
		.amdhsa_private_segment_fixed_size 0
		.amdhsa_kernarg_size 360
		.amdhsa_user_sgpr_count 6
		.amdhsa_user_sgpr_private_segment_buffer 1
		.amdhsa_user_sgpr_dispatch_ptr 0
		.amdhsa_user_sgpr_queue_ptr 0
		.amdhsa_user_sgpr_kernarg_segment_ptr 1
		.amdhsa_user_sgpr_dispatch_id 0
		.amdhsa_user_sgpr_flat_scratch_init 0
		.amdhsa_user_sgpr_private_segment_size 0
		.amdhsa_uses_dynamic_stack 0
		.amdhsa_system_sgpr_private_segment_wavefront_offset 0
		.amdhsa_system_sgpr_workgroup_id_x 1
		.amdhsa_system_sgpr_workgroup_id_y 0
		.amdhsa_system_sgpr_workgroup_id_z 1
		.amdhsa_system_sgpr_workgroup_info 0
		.amdhsa_system_vgpr_workitem_id 0
		.amdhsa_next_free_vgpr 19
		.amdhsa_next_free_sgpr 26
		.amdhsa_reserve_vcc 1
		.amdhsa_reserve_flat_scratch 0
		.amdhsa_float_round_mode_32 0
		.amdhsa_float_round_mode_16_64 0
		.amdhsa_float_denorm_mode_32 3
		.amdhsa_float_denorm_mode_16_64 3
		.amdhsa_dx10_clamp 1
		.amdhsa_ieee_mode 1
		.amdhsa_fp16_overflow 0
		.amdhsa_exception_fp_ieee_invalid_op 0
		.amdhsa_exception_fp_denorm_src 0
		.amdhsa_exception_fp_ieee_div_zero 0
		.amdhsa_exception_fp_ieee_overflow 0
		.amdhsa_exception_fp_ieee_underflow 0
		.amdhsa_exception_fp_ieee_inexact 0
		.amdhsa_exception_int_div_zero 0
	.end_amdhsa_kernel
	.section	.text._ZL38rocblas_trsm_small_left_device_sharedBILi4ELi4ELb1EddPKdPdEv13rocblas_fill_18rocblas_operation_17rocblas_diagonal_iiT3_T4_lilT5_lili,"axG",@progbits,_ZL38rocblas_trsm_small_left_device_sharedBILi4ELi4ELb1EddPKdPdEv13rocblas_fill_18rocblas_operation_17rocblas_diagonal_iiT3_T4_lilT5_lili,comdat
.Lfunc_end69:
	.size	_ZL38rocblas_trsm_small_left_device_sharedBILi4ELi4ELb1EddPKdPdEv13rocblas_fill_18rocblas_operation_17rocblas_diagonal_iiT3_T4_lilT5_lili, .Lfunc_end69-_ZL38rocblas_trsm_small_left_device_sharedBILi4ELi4ELb1EddPKdPdEv13rocblas_fill_18rocblas_operation_17rocblas_diagonal_iiT3_T4_lilT5_lili
                                        ; -- End function
	.set _ZL38rocblas_trsm_small_left_device_sharedBILi4ELi4ELb1EddPKdPdEv13rocblas_fill_18rocblas_operation_17rocblas_diagonal_iiT3_T4_lilT5_lili.num_vgpr, 19
	.set _ZL38rocblas_trsm_small_left_device_sharedBILi4ELi4ELb1EddPKdPdEv13rocblas_fill_18rocblas_operation_17rocblas_diagonal_iiT3_T4_lilT5_lili.num_agpr, 0
	.set _ZL38rocblas_trsm_small_left_device_sharedBILi4ELi4ELb1EddPKdPdEv13rocblas_fill_18rocblas_operation_17rocblas_diagonal_iiT3_T4_lilT5_lili.numbered_sgpr, 26
	.set _ZL38rocblas_trsm_small_left_device_sharedBILi4ELi4ELb1EddPKdPdEv13rocblas_fill_18rocblas_operation_17rocblas_diagonal_iiT3_T4_lilT5_lili.num_named_barrier, 0
	.set _ZL38rocblas_trsm_small_left_device_sharedBILi4ELi4ELb1EddPKdPdEv13rocblas_fill_18rocblas_operation_17rocblas_diagonal_iiT3_T4_lilT5_lili.private_seg_size, 0
	.set _ZL38rocblas_trsm_small_left_device_sharedBILi4ELi4ELb1EddPKdPdEv13rocblas_fill_18rocblas_operation_17rocblas_diagonal_iiT3_T4_lilT5_lili.uses_vcc, 1
	.set _ZL38rocblas_trsm_small_left_device_sharedBILi4ELi4ELb1EddPKdPdEv13rocblas_fill_18rocblas_operation_17rocblas_diagonal_iiT3_T4_lilT5_lili.uses_flat_scratch, 0
	.set _ZL38rocblas_trsm_small_left_device_sharedBILi4ELi4ELb1EddPKdPdEv13rocblas_fill_18rocblas_operation_17rocblas_diagonal_iiT3_T4_lilT5_lili.has_dyn_sized_stack, 0
	.set _ZL38rocblas_trsm_small_left_device_sharedBILi4ELi4ELb1EddPKdPdEv13rocblas_fill_18rocblas_operation_17rocblas_diagonal_iiT3_T4_lilT5_lili.has_recursion, 0
	.set _ZL38rocblas_trsm_small_left_device_sharedBILi4ELi4ELb1EddPKdPdEv13rocblas_fill_18rocblas_operation_17rocblas_diagonal_iiT3_T4_lilT5_lili.has_indirect_call, 0
	.section	.AMDGPU.csdata,"",@progbits
; Kernel info:
; codeLenInByte = 2140
; TotalNumSgprs: 30
; NumVgprs: 19
; ScratchSize: 0
; MemoryBound: 0
; FloatMode: 240
; IeeeMode: 1
; LDSByteSize: 256 bytes/workgroup (compile time only)
; SGPRBlocks: 3
; VGPRBlocks: 4
; NumSGPRsForWavesPerEU: 30
; NumVGPRsForWavesPerEU: 19
; Occupancy: 10
; WaveLimiterHint : 0
; COMPUTE_PGM_RSRC2:SCRATCH_EN: 0
; COMPUTE_PGM_RSRC2:USER_SGPR: 6
; COMPUTE_PGM_RSRC2:TRAP_HANDLER: 0
; COMPUTE_PGM_RSRC2:TGID_X_EN: 1
; COMPUTE_PGM_RSRC2:TGID_Y_EN: 0
; COMPUTE_PGM_RSRC2:TGID_Z_EN: 1
; COMPUTE_PGM_RSRC2:TIDIG_COMP_CNT: 0
	.section	.text._ZL30rocblas_trsm_small_left_deviceILi4ELi4ELb1EddPKdPdEv13rocblas_fill_18rocblas_operation_17rocblas_diagonal_iiT3_T4_lilT5_lili,"axG",@progbits,_ZL30rocblas_trsm_small_left_deviceILi4ELi4ELb1EddPKdPdEv13rocblas_fill_18rocblas_operation_17rocblas_diagonal_iiT3_T4_lilT5_lili,comdat
	.globl	_ZL30rocblas_trsm_small_left_deviceILi4ELi4ELb1EddPKdPdEv13rocblas_fill_18rocblas_operation_17rocblas_diagonal_iiT3_T4_lilT5_lili ; -- Begin function _ZL30rocblas_trsm_small_left_deviceILi4ELi4ELb1EddPKdPdEv13rocblas_fill_18rocblas_operation_17rocblas_diagonal_iiT3_T4_lilT5_lili
	.p2align	8
	.type	_ZL30rocblas_trsm_small_left_deviceILi4ELi4ELb1EddPKdPdEv13rocblas_fill_18rocblas_operation_17rocblas_diagonal_iiT3_T4_lilT5_lili,@function
_ZL30rocblas_trsm_small_left_deviceILi4ELi4ELb1EddPKdPdEv13rocblas_fill_18rocblas_operation_17rocblas_diagonal_iiT3_T4_lilT5_lili: ; @_ZL30rocblas_trsm_small_left_deviceILi4ELi4ELb1EddPKdPdEv13rocblas_fill_18rocblas_operation_17rocblas_diagonal_iiT3_T4_lilT5_lili
; %bb.0:
	s_load_dwordx4 s[8:11], s[4:5], 0x4
	s_load_dwordx4 s[0:3], s[4:5], 0x18
	s_load_dwordx2 s[20:21], s[4:5], 0x28
	s_load_dwordx4 s[12:15], s[4:5], 0x38
	s_load_dwordx2 s[16:17], s[4:5], 0x48
	s_waitcnt lgkmcnt(0)
	s_min_i32 s22, s10, 4
	v_cmp_gt_i32_e32 vcc, s22, v0
	s_and_saveexec_b64 s[18:19], vcc
	s_cbranch_execz .LBB70_6
; %bb.1:
	s_load_dword s24, s[4:5], 0x30
	s_mul_i32 s13, s13, s7
	s_mul_hi_u32 s23, s12, s7
	s_mul_i32 s12, s12, s7
	s_add_i32 s13, s23, s13
	s_waitcnt lgkmcnt(0)
	s_ashr_i32 s25, s24, 31
	s_lshl_b64 s[12:13], s[12:13], 3
	s_add_u32 s12, s2, s12
	s_addc_u32 s13, s3, s13
	s_lshl_b64 s[2:3], s[20:21], 3
	s_add_u32 s2, s12, s2
	s_addc_u32 s3, s13, s3
	v_lshlrev_b32_e32 v3, 3, v0
	v_mov_b32_e32 v2, s3
	v_add_co_u32_e32 v1, vcc, s2, v3
	s_lshl_b64 s[2:3], s[24:25], 3
	v_addc_co_u32_e32 v2, vcc, 0, v2, vcc
	v_mov_b32_e32 v4, s3
	v_mov_b32_e32 v5, v3
	s_mov_b32 s3, s22
.LBB70_2:                               ; =>This Inner Loop Header: Depth=1
	global_load_dwordx2 v[6:7], v[1:2], off
	v_add_co_u32_e32 v1, vcc, s2, v1
	s_add_i32 s3, s3, -1
	v_addc_co_u32_e32 v2, vcc, v2, v4, vcc
	s_cmp_eq_u32 s3, 0
	s_waitcnt vmcnt(0)
	ds_write_b64 v5, v[6:7]
	v_add_u32_e32 v5, 32, v5
	s_cbranch_scc0 .LBB70_2
; %bb.3:
	v_lshlrev_b32_e32 v4, 5, v0
	v_mov_b32_e32 v1, 0
	s_cmpk_lg_i32 s9, 0x84
	v_mov_b32_e32 v2, 0x3ff00000
	v_add_u32_e32 v3, v3, v4
	s_cbranch_scc0 .LBB70_5
; %bb.4:
	ds_read_b64 v[1:2], v3
	s_waitcnt lgkmcnt(0)
	v_div_scale_f64 v[4:5], s[2:3], v[1:2], v[1:2], 1.0
	v_div_scale_f64 v[10:11], vcc, 1.0, v[1:2], 1.0
	v_rcp_f64_e32 v[6:7], v[4:5]
	v_fma_f64 v[8:9], -v[4:5], v[6:7], 1.0
	v_fma_f64 v[6:7], v[6:7], v[8:9], v[6:7]
	v_fma_f64 v[8:9], -v[4:5], v[6:7], 1.0
	v_fma_f64 v[6:7], v[6:7], v[8:9], v[6:7]
	v_mul_f64 v[8:9], v[10:11], v[6:7]
	v_fma_f64 v[4:5], -v[4:5], v[8:9], v[10:11]
	v_div_fmas_f64 v[4:5], v[4:5], v[6:7], v[8:9]
	v_div_fixup_f64 v[1:2], v[4:5], v[1:2], 1.0
.LBB70_5:
	ds_write_b64 v3, v[1:2]
.LBB70_6:
	s_or_b64 exec, exec, s[18:19]
	s_load_dword s2, s[4:5], 0x68
	s_waitcnt lgkmcnt(0)
	; wave barrier
	s_add_i32 s3, s2, -1
	s_lshl_b32 s2, s6, 2
	s_sub_i32 s9, s11, s2
	s_cmp_ge_u32 s6, s3
	s_cselect_b32 s3, s9, 4
	v_cmp_gt_i32_e32 vcc, s3, v0
	s_and_saveexec_b64 s[12:13], vcc
	s_cbranch_execz .LBB70_32
; %bb.7:
	s_load_dwordx2 s[12:13], s[4:5], 0x58
	s_load_dword s6, s[4:5], 0x50
	v_add_u32_e32 v0, s2, v0
	s_waitcnt lgkmcnt(0)
	s_mul_i32 s3, s13, s7
	s_mul_hi_u32 s4, s12, s7
	s_mul_i32 s2, s12, s7
	s_add_i32 s3, s4, s3
	s_lshl_b64 s[2:3], s[2:3], 3
	s_add_u32 s4, s14, s2
	s_addc_u32 s5, s15, s3
	v_mad_i64_i32 v[0:1], s[2:3], s6, v0, 0
	s_lshl_b64 s[2:3], s[16:17], 3
	s_add_u32 s2, s4, s2
	v_lshlrev_b64 v[0:1], 3, v[0:1]
	s_addc_u32 s3, s5, s3
	v_mov_b32_e32 v2, s3
	v_add_co_u32_e32 v0, vcc, s2, v0
	v_addc_co_u32_e32 v1, vcc, v2, v1, vcc
	s_cmpk_eq_i32 s8, 0x6f
	s_mov_b64 s[2:3], -1
	s_cbranch_scc1 .LBB70_24
; %bb.8:
	s_add_i32 s6, s22, -1
	s_cmp_gt_i32 s10, 3
	s_mov_b32 s4, -1
	s_cbranch_scc0 .LBB70_10
; %bb.9:
	global_load_dwordx4 v[2:5], v[0:1], off offset:16
	global_load_dwordx4 v[6:9], v[0:1], off
	v_mov_b32_e32 v20, 0
	ds_read2_b64 v[10:13], v20 offset0:7 offset1:15
	s_waitcnt vmcnt(1)
	v_mul_f64 v[4:5], s[0:1], v[4:5]
	s_waitcnt lgkmcnt(0)
	v_mul_f64 v[4:5], v[4:5], v[12:13]
	ds_read_b128 v[12:15], v20 offset:80
	ds_read2_b64 v[16:19], v20 offset0:5 offset1:6
	s_waitcnt lgkmcnt(1)
	v_mul_f64 v[14:15], v[4:5], v[14:15]
	v_mul_f64 v[10:11], v[4:5], v[10:11]
	v_fma_f64 v[2:3], s[0:1], v[2:3], -v[14:15]
	v_mul_f64 v[2:3], v[2:3], v[12:13]
	s_waitcnt vmcnt(0)
	v_fma_f64 v[12:13], s[0:1], v[8:9], -v[10:11]
	ds_read_b128 v[8:11], v20 offset:16
	s_waitcnt lgkmcnt(0)
	v_mul_f64 v[10:11], v[4:5], v[10:11]
	v_fma_f64 v[6:7], s[0:1], v[6:7], -v[10:11]
	v_fma_f64 v[10:11], -v[2:3], v[18:19], v[12:13]
	v_fma_f64 v[12:13], -v[2:3], v[8:9], v[6:7]
	v_mul_f64 v[10:11], v[10:11], v[16:17]
	ds_read_b128 v[6:9], v20
	s_waitcnt lgkmcnt(0)
	v_fma_f64 v[8:9], -v[10:11], v[8:9], v[12:13]
	v_mul_f64 v[8:9], v[8:9], v[6:7]
	global_store_dwordx4 v[0:1], v[2:5], off offset:16
	global_store_dwordx4 v[0:1], v[8:11], off
	s_cmp_lt_i32 s4, 0
	s_cbranch_scc0 .LBB70_11
	s_branch .LBB70_23
.LBB70_10:
	s_mov_b32 s4, s6
	s_cmp_lt_i32 s4, 0
	s_cbranch_scc1 .LBB70_23
.LBB70_11:
	s_bitcmp1_b32 s4, 0
	s_cselect_b64 s[2:3], -1, 0
	s_and_b64 vcc, exec, s[2:3]
	s_mov_b32 s2, s4
	s_cbranch_vccnz .LBB70_16
; %bb.12:
	s_mov_b32 s3, 0
	s_mov_b32 s5, s3
	s_lshl_b64 s[8:9], s[4:5], 3
	v_mov_b32_e32 v3, s9
	v_add_co_u32_e32 v2, vcc, s8, v0
	v_addc_co_u32_e32 v3, vcc, v1, v3, vcc
	global_load_dwordx2 v[4:5], v[2:3], off
	s_cmp_le_i32 s6, s4
	s_waitcnt vmcnt(0)
	v_mul_f64 v[4:5], s[0:1], v[4:5]
	s_cbranch_scc1 .LBB70_15
; %bb.13:
	s_lshl_b32 s2, s4, 5
	s_lshl_b32 s5, s22, 3
	s_add_i32 s2, s2, s5
	s_add_i32 s5, s2, -8
	s_mov_b32 s2, s6
.LBB70_14:                              ; =>This Inner Loop Header: Depth=1
	s_lshl_b64 s[8:9], s[2:3], 3
	v_mov_b32_e32 v7, s9
	v_add_co_u32_e32 v6, vcc, s8, v0
	v_addc_co_u32_e32 v7, vcc, v1, v7, vcc
	global_load_dwordx2 v[6:7], v[6:7], off
	v_mov_b32_e32 v8, s5
	ds_read_b64 v[8:9], v8
	s_add_i32 s2, s2, -1
	s_add_i32 s5, s5, -8
	s_cmp_gt_i32 s2, s4
	s_waitcnt vmcnt(0) lgkmcnt(0)
	v_fma_f64 v[4:5], -v[6:7], v[8:9], v[4:5]
	s_cbranch_scc1 .LBB70_14
.LBB70_15:
	s_mul_i32 s2, s4, 40
	v_mov_b32_e32 v6, s2
	ds_read_b64 v[6:7], v6
	s_add_i32 s2, s4, -1
	s_waitcnt lgkmcnt(0)
	v_mul_f64 v[4:5], v[4:5], v[6:7]
	global_store_dwordx2 v[2:3], v[4:5], off
.LBB70_16:
	s_cmp_eq_u32 s4, 0
	s_mov_b32 s5, 0
	s_cbranch_scc1 .LBB70_23
; %bb.17:
	s_lshl_b32 s3, s2, 5
	s_lshl_b32 s4, s22, 3
	s_add_i32 s3, s3, s4
	s_add_i32 s7, s3, -8
	s_sub_i32 s8, s3, 40
	s_branch .LBB70_19
.LBB70_18:                              ;   in Loop: Header=BB70_19 Depth=1
	s_sub_i32 s3, s3, 40
	v_mov_b32_e32 v2, s3
	ds_read_b64 v[2:3], v2
	s_add_i32 s3, s2, -2
	s_sub_i32 s7, s7, 64
	s_sub_i32 s8, s8, 64
	s_cmp_lt_i32 s2, 2
	s_waitcnt lgkmcnt(0)
	v_mul_f64 v[2:3], v[6:7], v[2:3]
	s_mov_b32 s2, s3
	global_store_dwordx2 v[4:5], v[2:3], off
	s_cbranch_scc1 .LBB70_23
.LBB70_19:                              ; =>This Loop Header: Depth=1
                                        ;     Child Loop BB70_20 Depth 2
                                        ;     Child Loop BB70_22 Depth 2
	s_mov_b32 s3, s5
	s_lshl_b64 s[12:13], s[2:3], 3
	v_mov_b32_e32 v3, s13
	v_add_co_u32_e32 v2, vcc, s12, v0
	v_addc_co_u32_e32 v3, vcc, v1, v3, vcc
	global_load_dwordx2 v[4:5], v[2:3], off
	s_cmp_le_i32 s6, s2
	s_mov_b32 s3, s7
	s_mov_b32 s4, s6
	s_waitcnt vmcnt(0)
	v_mul_f64 v[6:7], s[0:1], v[4:5]
	s_cbranch_scc1 .LBB70_21
.LBB70_20:                              ;   Parent Loop BB70_19 Depth=1
                                        ; =>  This Inner Loop Header: Depth=2
	s_lshl_b64 s[12:13], s[4:5], 3
	v_mov_b32_e32 v5, s13
	v_add_co_u32_e32 v4, vcc, s12, v0
	v_addc_co_u32_e32 v5, vcc, v1, v5, vcc
	global_load_dwordx2 v[4:5], v[4:5], off
	v_mov_b32_e32 v8, s3
	ds_read_b64 v[8:9], v8
	s_add_i32 s4, s4, -1
	s_add_i32 s3, s3, -8
	s_cmp_gt_i32 s4, s2
	s_waitcnt vmcnt(0) lgkmcnt(0)
	v_fma_f64 v[6:7], -v[4:5], v[8:9], v[6:7]
	s_cbranch_scc1 .LBB70_20
.LBB70_21:                              ;   in Loop: Header=BB70_19 Depth=1
	s_add_i32 s4, s2, -1
	s_lshl_b64 s[12:13], s[4:5], 3
	v_mov_b32_e32 v5, s13
	v_add_co_u32_e32 v4, vcc, s12, v0
	v_addc_co_u32_e32 v5, vcc, v1, v5, vcc
	global_load_dwordx2 v[8:9], v[4:5], off
	s_mul_i32 s3, s2, 40
	v_mov_b32_e32 v10, s3
	ds_read_b64 v[10:11], v10
	s_cmp_le_i32 s22, s2
	s_mov_b32 s9, s8
	s_mov_b32 s4, s22
	s_waitcnt lgkmcnt(0)
	v_mul_f64 v[10:11], v[6:7], v[10:11]
	global_store_dwordx2 v[2:3], v[10:11], off
	s_waitcnt vmcnt(1)
	v_mul_f64 v[6:7], s[0:1], v[8:9]
	s_cbranch_scc1 .LBB70_18
.LBB70_22:                              ;   Parent Loop BB70_19 Depth=1
                                        ; =>  This Inner Loop Header: Depth=2
	s_add_i32 s4, s4, -1
	s_lshl_b64 s[12:13], s[4:5], 3
	v_mov_b32_e32 v3, s13
	v_add_co_u32_e32 v2, vcc, s12, v0
	v_addc_co_u32_e32 v3, vcc, v1, v3, vcc
	global_load_dwordx2 v[2:3], v[2:3], off
	v_mov_b32_e32 v8, s9
	ds_read_b64 v[8:9], v8
	s_add_i32 s9, s9, -8
	s_cmp_gt_i32 s4, s2
	s_waitcnt vmcnt(0) lgkmcnt(0)
	v_fma_f64 v[6:7], -v[2:3], v[8:9], v[6:7]
	s_cbranch_scc1 .LBB70_22
	s_branch .LBB70_18
.LBB70_23:
	s_mov_b64 s[2:3], 0
.LBB70_24:
	s_and_b64 vcc, exec, s[2:3]
	s_cbranch_vccz .LBB70_32
; %bb.25:
	s_cmp_gt_i32 s10, 3
	s_cbranch_scc0 .LBB70_27
; %bb.26:
	global_load_dwordx4 v[2:5], v[0:1], off
	v_mov_b32_e32 v18, 0
	ds_read_b128 v[6:9], v18
	ds_read_b128 v[10:13], v18 offset:16
	s_mov_b32 s2, 4
	s_waitcnt vmcnt(0)
	v_mul_f64 v[2:3], s[0:1], v[2:3]
	s_waitcnt lgkmcnt(1)
	v_mul_f64 v[2:3], v[2:3], v[6:7]
	v_mul_f64 v[6:7], v[2:3], v[8:9]
	s_waitcnt lgkmcnt(0)
	v_mul_f64 v[8:9], v[2:3], v[10:11]
	v_mul_f64 v[10:11], v[2:3], v[12:13]
	v_fma_f64 v[14:15], s[0:1], v[4:5], -v[6:7]
	global_load_dwordx4 v[4:7], v[0:1], off offset:16
	s_waitcnt vmcnt(0)
	v_fma_f64 v[12:13], s[0:1], v[4:5], -v[8:9]
	v_fma_f64 v[16:17], s[0:1], v[6:7], -v[10:11]
	ds_read2_b64 v[4:7], v18 offset0:5 offset1:6
	ds_read_b128 v[8:11], v18 offset:80
	s_waitcnt lgkmcnt(1)
	v_mul_f64 v[4:5], v[14:15], v[4:5]
	v_fma_f64 v[6:7], -v[4:5], v[6:7], v[12:13]
	ds_read2_b64 v[12:15], v18 offset0:7 offset1:15
	s_waitcnt lgkmcnt(0)
	v_fma_f64 v[12:13], -v[4:5], v[12:13], v[16:17]
	v_mul_f64 v[6:7], v[6:7], v[8:9]
	v_fma_f64 v[8:9], -v[6:7], v[10:11], v[12:13]
	v_mul_f64 v[8:9], v[8:9], v[14:15]
	global_store_dwordx4 v[0:1], v[2:5], off
	global_store_dwordx4 v[0:1], v[6:9], off offset:16
	s_cmp_ge_i32 s2, s22
	s_cbranch_scc0 .LBB70_28
	s_branch .LBB70_32
.LBB70_27:
	s_mov_b32 s2, 0
	s_cmp_ge_i32 s2, s22
	s_cbranch_scc1 .LBB70_32
.LBB70_28:
	s_lshl_b32 s4, s2, 3
	s_mov_b32 s3, 0
	s_branch .LBB70_30
.LBB70_29:                              ;   in Loop: Header=BB70_30 Depth=1
	s_mul_i32 s5, s2, 40
	v_mov_b32_e32 v6, s5
	ds_read_b64 v[6:7], v6
	s_add_i32 s2, s2, 1
	s_add_i32 s4, s4, 8
	s_cmp_ge_i32 s2, s22
	s_waitcnt lgkmcnt(0)
	v_mul_f64 v[4:5], v[4:5], v[6:7]
	global_store_dwordx2 v[2:3], v[4:5], off
	s_cbranch_scc1 .LBB70_32
.LBB70_30:                              ; =>This Loop Header: Depth=1
                                        ;     Child Loop BB70_31 Depth 2
	s_lshl_b64 s[6:7], s[2:3], 3
	v_mov_b32_e32 v3, s7
	v_add_co_u32_e32 v2, vcc, s6, v0
	v_addc_co_u32_e32 v3, vcc, v1, v3, vcc
	global_load_dwordx2 v[4:5], v[2:3], off
	v_mov_b32_e32 v7, v1
	s_cmp_eq_u32 s2, 0
	v_mov_b32_e32 v6, v0
	s_mov_b32 s5, s4
	s_mov_b32 s6, s2
	s_waitcnt vmcnt(0)
	v_mul_f64 v[4:5], s[0:1], v[4:5]
	s_cbranch_scc1 .LBB70_29
.LBB70_31:                              ;   Parent Loop BB70_30 Depth=1
                                        ; =>  This Inner Loop Header: Depth=2
	global_load_dwordx2 v[8:9], v[6:7], off
	v_mov_b32_e32 v10, s5
	ds_read_b64 v[10:11], v10
	s_add_i32 s6, s6, -1
	s_add_i32 s5, s5, 32
	v_add_co_u32_e32 v6, vcc, 8, v6
	s_cmp_lg_u32 s6, 0
	v_addc_co_u32_e32 v7, vcc, 0, v7, vcc
	s_waitcnt vmcnt(0) lgkmcnt(0)
	v_fma_f64 v[4:5], -v[8:9], v[10:11], v[4:5]
	s_cbranch_scc1 .LBB70_31
	s_branch .LBB70_29
.LBB70_32:
	s_endpgm
	.section	.rodata,"a",@progbits
	.p2align	6, 0x0
	.amdhsa_kernel _ZL30rocblas_trsm_small_left_deviceILi4ELi4ELb1EddPKdPdEv13rocblas_fill_18rocblas_operation_17rocblas_diagonal_iiT3_T4_lilT5_lili
		.amdhsa_group_segment_fixed_size 128
		.amdhsa_private_segment_fixed_size 0
		.amdhsa_kernarg_size 360
		.amdhsa_user_sgpr_count 6
		.amdhsa_user_sgpr_private_segment_buffer 1
		.amdhsa_user_sgpr_dispatch_ptr 0
		.amdhsa_user_sgpr_queue_ptr 0
		.amdhsa_user_sgpr_kernarg_segment_ptr 1
		.amdhsa_user_sgpr_dispatch_id 0
		.amdhsa_user_sgpr_flat_scratch_init 0
		.amdhsa_user_sgpr_private_segment_size 0
		.amdhsa_uses_dynamic_stack 0
		.amdhsa_system_sgpr_private_segment_wavefront_offset 0
		.amdhsa_system_sgpr_workgroup_id_x 1
		.amdhsa_system_sgpr_workgroup_id_y 0
		.amdhsa_system_sgpr_workgroup_id_z 1
		.amdhsa_system_sgpr_workgroup_info 0
		.amdhsa_system_vgpr_workitem_id 0
		.amdhsa_next_free_vgpr 21
		.amdhsa_next_free_sgpr 26
		.amdhsa_reserve_vcc 1
		.amdhsa_reserve_flat_scratch 0
		.amdhsa_float_round_mode_32 0
		.amdhsa_float_round_mode_16_64 0
		.amdhsa_float_denorm_mode_32 3
		.amdhsa_float_denorm_mode_16_64 3
		.amdhsa_dx10_clamp 1
		.amdhsa_ieee_mode 1
		.amdhsa_fp16_overflow 0
		.amdhsa_exception_fp_ieee_invalid_op 0
		.amdhsa_exception_fp_denorm_src 0
		.amdhsa_exception_fp_ieee_div_zero 0
		.amdhsa_exception_fp_ieee_overflow 0
		.amdhsa_exception_fp_ieee_underflow 0
		.amdhsa_exception_fp_ieee_inexact 0
		.amdhsa_exception_int_div_zero 0
	.end_amdhsa_kernel
	.section	.text._ZL30rocblas_trsm_small_left_deviceILi4ELi4ELb1EddPKdPdEv13rocblas_fill_18rocblas_operation_17rocblas_diagonal_iiT3_T4_lilT5_lili,"axG",@progbits,_ZL30rocblas_trsm_small_left_deviceILi4ELi4ELb1EddPKdPdEv13rocblas_fill_18rocblas_operation_17rocblas_diagonal_iiT3_T4_lilT5_lili,comdat
.Lfunc_end70:
	.size	_ZL30rocblas_trsm_small_left_deviceILi4ELi4ELb1EddPKdPdEv13rocblas_fill_18rocblas_operation_17rocblas_diagonal_iiT3_T4_lilT5_lili, .Lfunc_end70-_ZL30rocblas_trsm_small_left_deviceILi4ELi4ELb1EddPKdPdEv13rocblas_fill_18rocblas_operation_17rocblas_diagonal_iiT3_T4_lilT5_lili
                                        ; -- End function
	.set _ZL30rocblas_trsm_small_left_deviceILi4ELi4ELb1EddPKdPdEv13rocblas_fill_18rocblas_operation_17rocblas_diagonal_iiT3_T4_lilT5_lili.num_vgpr, 21
	.set _ZL30rocblas_trsm_small_left_deviceILi4ELi4ELb1EddPKdPdEv13rocblas_fill_18rocblas_operation_17rocblas_diagonal_iiT3_T4_lilT5_lili.num_agpr, 0
	.set _ZL30rocblas_trsm_small_left_deviceILi4ELi4ELb1EddPKdPdEv13rocblas_fill_18rocblas_operation_17rocblas_diagonal_iiT3_T4_lilT5_lili.numbered_sgpr, 26
	.set _ZL30rocblas_trsm_small_left_deviceILi4ELi4ELb1EddPKdPdEv13rocblas_fill_18rocblas_operation_17rocblas_diagonal_iiT3_T4_lilT5_lili.num_named_barrier, 0
	.set _ZL30rocblas_trsm_small_left_deviceILi4ELi4ELb1EddPKdPdEv13rocblas_fill_18rocblas_operation_17rocblas_diagonal_iiT3_T4_lilT5_lili.private_seg_size, 0
	.set _ZL30rocblas_trsm_small_left_deviceILi4ELi4ELb1EddPKdPdEv13rocblas_fill_18rocblas_operation_17rocblas_diagonal_iiT3_T4_lilT5_lili.uses_vcc, 1
	.set _ZL30rocblas_trsm_small_left_deviceILi4ELi4ELb1EddPKdPdEv13rocblas_fill_18rocblas_operation_17rocblas_diagonal_iiT3_T4_lilT5_lili.uses_flat_scratch, 0
	.set _ZL30rocblas_trsm_small_left_deviceILi4ELi4ELb1EddPKdPdEv13rocblas_fill_18rocblas_operation_17rocblas_diagonal_iiT3_T4_lilT5_lili.has_dyn_sized_stack, 0
	.set _ZL30rocblas_trsm_small_left_deviceILi4ELi4ELb1EddPKdPdEv13rocblas_fill_18rocblas_operation_17rocblas_diagonal_iiT3_T4_lilT5_lili.has_recursion, 0
	.set _ZL30rocblas_trsm_small_left_deviceILi4ELi4ELb1EddPKdPdEv13rocblas_fill_18rocblas_operation_17rocblas_diagonal_iiT3_T4_lilT5_lili.has_indirect_call, 0
	.section	.AMDGPU.csdata,"",@progbits
; Kernel info:
; codeLenInByte = 1748
; TotalNumSgprs: 30
; NumVgprs: 21
; ScratchSize: 0
; MemoryBound: 0
; FloatMode: 240
; IeeeMode: 1
; LDSByteSize: 128 bytes/workgroup (compile time only)
; SGPRBlocks: 3
; VGPRBlocks: 5
; NumSGPRsForWavesPerEU: 30
; NumVGPRsForWavesPerEU: 21
; Occupancy: 10
; WaveLimiterHint : 0
; COMPUTE_PGM_RSRC2:SCRATCH_EN: 0
; COMPUTE_PGM_RSRC2:USER_SGPR: 6
; COMPUTE_PGM_RSRC2:TRAP_HANDLER: 0
; COMPUTE_PGM_RSRC2:TGID_X_EN: 1
; COMPUTE_PGM_RSRC2:TGID_Y_EN: 0
; COMPUTE_PGM_RSRC2:TGID_Z_EN: 1
; COMPUTE_PGM_RSRC2:TIDIG_COMP_CNT: 0
	.section	.text._ZL31rocblas_trsm_small_right_deviceIddPKdPdLi4EEv13rocblas_fill_18rocblas_operation_17rocblas_diagonal_iiT0_T1_lilT2_lili,"axG",@progbits,_ZL31rocblas_trsm_small_right_deviceIddPKdPdLi4EEv13rocblas_fill_18rocblas_operation_17rocblas_diagonal_iiT0_T1_lilT2_lili,comdat
	.globl	_ZL31rocblas_trsm_small_right_deviceIddPKdPdLi4EEv13rocblas_fill_18rocblas_operation_17rocblas_diagonal_iiT0_T1_lilT2_lili ; -- Begin function _ZL31rocblas_trsm_small_right_deviceIddPKdPdLi4EEv13rocblas_fill_18rocblas_operation_17rocblas_diagonal_iiT0_T1_lilT2_lili
	.p2align	8
	.type	_ZL31rocblas_trsm_small_right_deviceIddPKdPdLi4EEv13rocblas_fill_18rocblas_operation_17rocblas_diagonal_iiT0_T1_lilT2_lili,@function
_ZL31rocblas_trsm_small_right_deviceIddPKdPdLi4EEv13rocblas_fill_18rocblas_operation_17rocblas_diagonal_iiT0_T1_lilT2_lili: ; @_ZL31rocblas_trsm_small_right_deviceIddPKdPdLi4EEv13rocblas_fill_18rocblas_operation_17rocblas_diagonal_iiT0_T1_lilT2_lili
; %bb.0:
	s_load_dwordx4 s[8:11], s[4:5], 0x0
	s_load_dword s22, s[4:5], 0x10
	s_load_dwordx4 s[12:15], s[4:5], 0x18
	s_load_dwordx2 s[20:21], s[4:5], 0x28
	s_load_dwordx4 s[0:3], s[4:5], 0x38
	s_load_dwordx2 s[16:17], s[4:5], 0x48
	s_waitcnt lgkmcnt(0)
	s_min_i32 s23, s22, 4
	v_cmp_gt_i32_e32 vcc, s23, v0
	s_and_saveexec_b64 s[18:19], vcc
	s_cbranch_execz .LBB71_5
; %bb.1:
	s_load_dword s24, s[4:5], 0x30
	s_mul_i32 s1, s1, s7
	s_mul_hi_u32 s25, s0, s7
	s_mul_i32 s0, s0, s7
	s_add_i32 s1, s25, s1
	s_waitcnt lgkmcnt(0)
	s_ashr_i32 s25, s24, 31
	s_lshl_b64 s[0:1], s[0:1], 3
	s_add_u32 s14, s14, s0
	s_addc_u32 s15, s15, s1
	s_lshl_b64 s[0:1], s[20:21], 3
	s_add_u32 s0, s14, s0
	s_addc_u32 s1, s15, s1
	v_lshlrev_b32_e32 v3, 3, v0
	v_mov_b32_e32 v2, s1
	v_add_co_u32_e32 v1, vcc, s0, v3
	s_lshl_b64 s[0:1], s[24:25], 3
	v_addc_co_u32_e32 v2, vcc, 0, v2, vcc
	v_mov_b32_e32 v4, s1
	v_mov_b32_e32 v5, v3
	s_mov_b32 s1, s23
.LBB71_2:                               ; =>This Inner Loop Header: Depth=1
	global_load_dwordx2 v[6:7], v[1:2], off
	v_add_co_u32_e32 v1, vcc, s0, v1
	s_add_i32 s1, s1, -1
	v_addc_co_u32_e32 v2, vcc, v2, v4, vcc
	s_cmp_eq_u32 s1, 0
	s_waitcnt vmcnt(0)
	ds_write_b64 v5, v[6:7]
	v_add_u32_e32 v5, 32, v5
	s_cbranch_scc0 .LBB71_2
; %bb.3:
	s_cmpk_eq_i32 s10, 0x84
	s_cbranch_scc0 .LBB71_5
; %bb.4:
	v_lshl_or_b32 v3, v0, 5, v3
	v_mov_b32_e32 v1, 0
	v_mov_b32_e32 v2, 0x3ff00000
	ds_write_b64 v3, v[1:2]
.LBB71_5:
	s_or_b64 exec, exec, s[18:19]
	s_load_dword s0, s[4:5], 0x68
	s_load_dwordx2 s[14:15], s[4:5], 0x58
	s_load_dword s10, s[4:5], 0x50
	s_waitcnt lgkmcnt(0)
	s_mul_i32 s1, s15, s7
	s_mul_hi_u32 s5, s14, s7
	s_mul_i32 s4, s14, s7
	s_add_i32 s5, s5, s1
	s_lshl_b64 s[4:5], s[4:5], 3
	s_add_u32 s1, s2, s4
	s_addc_u32 s4, s3, s5
	s_lshl_b64 s[2:3], s[16:17], 3
	s_add_u32 s2, s1, s2
	s_addc_u32 s3, s4, s3
	s_lshl_b32 s1, s6, 2
	s_add_i32 s0, s0, -1
	s_sub_i32 s1, s11, s1
	s_cmp_ge_u32 s6, s0
	s_cselect_b32 s4, s1, 4
	s_ashr_i32 s7, s6, 31
	s_lshl_b64 s[0:1], s[6:7], 5
	s_add_u32 s14, s2, s0
	s_addc_u32 s15, s3, s1
	v_cmp_gt_i32_e64 s[0:1], s4, v0
	s_and_saveexec_b64 s[2:3], s[0:1]
	s_cbranch_execz .LBB71_9
; %bb.6:
	s_cmp_lt_i32 s22, 1
	s_cbranch_scc1 .LBB71_9
; %bb.7:
	s_ashr_i32 s11, s10, 31
	v_lshlrev_b32_e32 v3, 3, v0
	v_mov_b32_e32 v2, s15
	v_add_co_u32_e32 v1, vcc, s14, v3
	s_lshl_b64 s[4:5], s[10:11], 3
	v_addc_co_u32_e32 v2, vcc, 0, v2, vcc
	v_or_b32_e32 v3, 0x80, v3
	v_mov_b32_e32 v4, s5
	s_mov_b32 s5, s22
.LBB71_8:                               ; =>This Inner Loop Header: Depth=1
	global_load_dwordx2 v[5:6], v[1:2], off
	s_add_i32 s5, s5, -1
	v_add_co_u32_e32 v1, vcc, s4, v1
	v_addc_co_u32_e32 v2, vcc, v2, v4, vcc
	s_cmp_lg_u32 s5, 0
	s_waitcnt vmcnt(0)
	v_mul_f64 v[5:6], s[12:13], v[5:6]
	ds_write_b64 v3, v[5:6]
	v_add_u32_e32 v3, 32, v3
	s_cbranch_scc1 .LBB71_8
.LBB71_9:
	s_or_b64 exec, exec, s[2:3]
	s_cmpk_eq_i32 s9, 0x6f
	s_cselect_b64 s[2:3], -1, 0
	s_cmpk_lg_i32 s8, 0x79
	s_cselect_b64 s[4:5], -1, 0
	s_cmpk_eq_i32 s8, 0x79
	s_cselect_b64 s[6:7], -1, 0
	s_and_b64 s[6:7], s[6:7], s[2:3]
	s_andn2_b64 vcc, exec, s[6:7]
	s_mov_b64 s[6:7], -1
	s_waitcnt lgkmcnt(0)
	; wave barrier
	s_cbranch_vccz .LBB71_54
; %bb.10:
	s_cmpk_lg_i32 s8, 0x7a
	s_cselect_b64 s[12:13], -1, 0
	s_xor_b64 s[2:3], s[2:3], -1
	s_add_i32 s8, s23, -1
	s_or_b64 s[12:13], s[12:13], s[2:3]
	v_mov_b32_e32 v1, 0x80
	s_cmp_gt_i32 s22, 3
	v_lshl_or_b32 v5, v0, 3, v1
	s_cselect_b64 s[2:3], -1, 0
	s_and_b64 vcc, exec, s[12:13]
	s_cbranch_vccz .LBB71_37
; %bb.11:
	s_andn2_b64 vcc, exec, s[4:5]
	s_mov_b64 s[4:5], -1
	s_cbranch_vccnz .LBB71_20
; %bb.12:
	s_mov_b32 s4, 0
	s_and_b64 vcc, exec, s[2:3]
	s_cbranch_vccz .LBB71_14
; %bb.13:
	v_mov_b32_e32 v26, 0
	ds_read2_b64 v[1:4], v5 offset1:4
	ds_read_b128 v[6:9], v26
	ds_read_b128 v[10:13], v26 offset:16
	s_waitcnt lgkmcnt(1)
	v_div_scale_f64 v[14:15], s[4:5], v[6:7], v[6:7], v[1:2]
	v_rcp_f64_e32 v[16:17], v[14:15]
	v_fma_f64 v[18:19], -v[14:15], v[16:17], 1.0
	v_fma_f64 v[16:17], v[16:17], v[18:19], v[16:17]
	v_div_scale_f64 v[18:19], vcc, v[1:2], v[6:7], v[1:2]
	v_fma_f64 v[20:21], -v[14:15], v[16:17], 1.0
	v_fma_f64 v[16:17], v[16:17], v[20:21], v[16:17]
	v_mul_f64 v[20:21], v[18:19], v[16:17]
	v_fma_f64 v[14:15], -v[14:15], v[20:21], v[18:19]
	v_div_fmas_f64 v[14:15], v[14:15], v[16:17], v[20:21]
	v_div_fixup_f64 v[18:19], v[14:15], v[6:7], v[1:2]
	v_fma_f64 v[20:21], -v[18:19], v[8:9], v[3:4]
	ds_read2_b64 v[1:4], v26 offset0:5 offset1:6
	ds_read_b128 v[6:9], v26 offset:80
	s_waitcnt lgkmcnt(1)
	v_div_scale_f64 v[14:15], s[4:5], v[1:2], v[1:2], v[20:21]
	v_rcp_f64_e32 v[16:17], v[14:15]
	v_fma_f64 v[22:23], -v[14:15], v[16:17], 1.0
	v_fma_f64 v[16:17], v[16:17], v[22:23], v[16:17]
	v_div_scale_f64 v[22:23], vcc, v[20:21], v[1:2], v[20:21]
	v_fma_f64 v[24:25], -v[14:15], v[16:17], 1.0
	v_fma_f64 v[16:17], v[16:17], v[24:25], v[16:17]
	v_mul_f64 v[24:25], v[22:23], v[16:17]
	v_fma_f64 v[14:15], -v[14:15], v[24:25], v[22:23]
	v_div_fmas_f64 v[22:23], v[14:15], v[16:17], v[24:25]
	ds_read2_b64 v[14:17], v5 offset0:8 offset1:12
	s_waitcnt lgkmcnt(0)
	v_fma_f64 v[10:11], -v[18:19], v[10:11], v[14:15]
	v_fma_f64 v[12:13], -v[18:19], v[12:13], v[16:17]
	v_div_fixup_f64 v[14:15], v[22:23], v[1:2], v[20:21]
	v_fma_f64 v[10:11], -v[14:15], v[3:4], v[10:11]
	v_div_scale_f64 v[1:2], s[4:5], v[6:7], v[6:7], v[10:11]
	v_rcp_f64_e32 v[3:4], v[1:2]
	v_fma_f64 v[20:21], -v[1:2], v[3:4], 1.0
	v_fma_f64 v[3:4], v[3:4], v[20:21], v[3:4]
	v_div_scale_f64 v[20:21], vcc, v[10:11], v[6:7], v[10:11]
	v_fma_f64 v[22:23], -v[1:2], v[3:4], 1.0
	v_fma_f64 v[3:4], v[3:4], v[22:23], v[3:4]
	v_mul_f64 v[22:23], v[20:21], v[3:4]
	v_fma_f64 v[1:2], -v[1:2], v[22:23], v[20:21]
	v_div_fmas_f64 v[20:21], v[1:2], v[3:4], v[22:23]
	ds_read2_b64 v[1:4], v26 offset0:7 offset1:15
	s_waitcnt lgkmcnt(0)
	v_fma_f64 v[1:2], -v[14:15], v[1:2], v[12:13]
	v_div_fixup_f64 v[6:7], v[20:21], v[6:7], v[10:11]
	v_fma_f64 v[1:2], -v[6:7], v[8:9], v[1:2]
	v_div_scale_f64 v[8:9], s[4:5], v[3:4], v[3:4], v[1:2]
	s_mov_b32 s4, 4
	v_rcp_f64_e32 v[10:11], v[8:9]
	v_fma_f64 v[12:13], -v[8:9], v[10:11], 1.0
	v_fma_f64 v[10:11], v[10:11], v[12:13], v[10:11]
	v_div_scale_f64 v[12:13], vcc, v[1:2], v[3:4], v[1:2]
	v_fma_f64 v[16:17], -v[8:9], v[10:11], 1.0
	v_fma_f64 v[10:11], v[10:11], v[16:17], v[10:11]
	v_mul_f64 v[16:17], v[12:13], v[10:11]
	v_fma_f64 v[8:9], -v[8:9], v[16:17], v[12:13]
	v_div_fmas_f64 v[8:9], v[8:9], v[10:11], v[16:17]
	v_div_fixup_f64 v[1:2], v[8:9], v[3:4], v[1:2]
	ds_write2_b64 v5, v[18:19], v[14:15] offset1:4
	ds_write2_b64 v5, v[6:7], v[1:2] offset0:8 offset1:12
.LBB71_14:
	s_cmp_ge_i32 s4, s23
	s_cbranch_scc1 .LBB71_19
; %bb.15:
	v_mov_b32_e32 v1, 0x80
	s_lshl_b32 s5, s4, 3
	v_lshl_or_b32 v3, v0, 3, v1
	s_branch .LBB71_17
.LBB71_16:                              ;   in Loop: Header=BB71_17 Depth=1
	s_lshl_b32 s7, s4, 3
	s_add_i32 s6, s7, s6
	v_mov_b32_e32 v6, s6
	ds_read_b64 v[6:7], v6
	s_add_i32 s4, s4, 1
	s_add_i32 s5, s5, 8
	s_cmp_ge_i32 s4, s23
	s_waitcnt lgkmcnt(0)
	v_div_scale_f64 v[8:9], s[6:7], v[6:7], v[6:7], v[1:2]
	v_div_scale_f64 v[14:15], vcc, v[1:2], v[6:7], v[1:2]
	v_rcp_f64_e32 v[10:11], v[8:9]
	v_fma_f64 v[12:13], -v[8:9], v[10:11], 1.0
	v_fma_f64 v[10:11], v[10:11], v[12:13], v[10:11]
	v_fma_f64 v[12:13], -v[8:9], v[10:11], 1.0
	v_fma_f64 v[10:11], v[10:11], v[12:13], v[10:11]
	v_mul_f64 v[12:13], v[14:15], v[10:11]
	v_fma_f64 v[8:9], -v[8:9], v[12:13], v[14:15]
	v_div_fmas_f64 v[8:9], v[8:9], v[10:11], v[12:13]
	v_div_fixup_f64 v[1:2], v[8:9], v[6:7], v[1:2]
	ds_write_b64 v4, v[1:2]
	s_cbranch_scc1 .LBB71_19
.LBB71_17:                              ; =>This Loop Header: Depth=1
                                        ;     Child Loop BB71_18 Depth 2
	s_lshl_b32 s6, s4, 5
	v_add_u32_e32 v4, s6, v5
	ds_read_b64 v[1:2], v4
	s_cmp_eq_u32 s4, 0
	v_mov_b32_e32 v6, v3
	s_mov_b32 s7, s5
	s_mov_b32 s9, s4
	s_cbranch_scc1 .LBB71_16
.LBB71_18:                              ;   Parent Loop BB71_17 Depth=1
                                        ; =>  This Inner Loop Header: Depth=2
	v_mov_b32_e32 v9, s7
	ds_read_b64 v[7:8], v6
	ds_read_b64 v[9:10], v9
	s_add_i32 s9, s9, -1
	s_add_i32 s7, s7, 32
	s_cmp_eq_u32 s9, 0
	v_add_u32_e32 v6, 32, v6
	s_waitcnt lgkmcnt(0)
	v_fma_f64 v[1:2], -v[7:8], v[9:10], v[1:2]
	s_cbranch_scc0 .LBB71_18
	s_branch .LBB71_16
.LBB71_19:
	s_mov_b64 s[4:5], 0
.LBB71_20:
	s_and_b64 vcc, exec, s[4:5]
	s_cbranch_vccz .LBB71_36
; %bb.21:
	s_and_b64 vcc, exec, s[2:3]
	s_mov_b32 s5, s8
	s_cbranch_vccz .LBB71_23
; %bb.22:
	s_add_i32 s5, s23, -2
	s_mul_i32 s4, s8, 40
	s_lshl_b32 s6, s8, 3
	s_sub_i32 s6, s4, s6
	s_lshl_b32 s9, s5, 3
	s_add_i32 s6, s6, s9
	v_lshl_add_u32 v24, s8, 5, v5
	v_mov_b32_e32 v1, s6
	ds_read_b64 v[6:7], v24
	ds_read2_b64 v[1:4], v1 offset1:1
	v_lshl_add_u32 v25, s5, 5, v5
	s_sub_i32 s5, s4, 40
	v_lshl_add_u32 v26, s23, 5, v5
	v_add_u32_e32 v27, 0xffffffa0, v26
	s_waitcnt lgkmcnt(0)
	v_div_scale_f64 v[8:9], s[6:7], v[3:4], v[3:4], v[6:7]
	s_addk_i32 s4, 0xff88
	v_rcp_f64_e32 v[10:11], v[8:9]
	v_fma_f64 v[12:13], -v[8:9], v[10:11], 1.0
	v_fma_f64 v[10:11], v[10:11], v[12:13], v[10:11]
	v_div_scale_f64 v[12:13], vcc, v[6:7], v[3:4], v[6:7]
	v_fma_f64 v[14:15], -v[8:9], v[10:11], 1.0
	v_fma_f64 v[10:11], v[10:11], v[14:15], v[10:11]
	v_mul_f64 v[14:15], v[12:13], v[10:11]
	v_fma_f64 v[8:9], -v[8:9], v[14:15], v[12:13]
	v_div_fmas_f64 v[8:9], v[8:9], v[10:11], v[14:15]
	v_div_fixup_f64 v[12:13], v[8:9], v[3:4], v[6:7]
	ds_read_b64 v[3:4], v25
	s_waitcnt lgkmcnt(0)
	v_fma_f64 v[1:2], -v[12:13], v[1:2], v[3:4]
	v_mov_b32_e32 v3, s5
	ds_read_b64 v[3:4], v3
	s_sub_i32 s5, s5, s9
	s_waitcnt lgkmcnt(0)
	v_div_scale_f64 v[6:7], s[6:7], v[3:4], v[3:4], v[1:2]
	s_lshl_b32 s6, s23, 3
	s_add_i32 s5, s5, s6
	s_sub_i32 s6, s5, 32
	v_rcp_f64_e32 v[8:9], v[6:7]
	v_fma_f64 v[10:11], -v[6:7], v[8:9], 1.0
	v_fma_f64 v[8:9], v[8:9], v[10:11], v[8:9]
	v_div_scale_f64 v[10:11], vcc, v[1:2], v[3:4], v[1:2]
	v_fma_f64 v[14:15], -v[6:7], v[8:9], 1.0
	v_fma_f64 v[8:9], v[8:9], v[14:15], v[8:9]
	v_mul_f64 v[14:15], v[10:11], v[8:9]
	v_fma_f64 v[6:7], -v[6:7], v[14:15], v[10:11]
	v_mov_b32_e32 v10, s5
	s_sub_i32 s5, s5, 64
	v_div_fmas_f64 v[6:7], v[6:7], v[8:9], v[14:15]
	ds_read_b64 v[8:9], v27
	v_div_fixup_f64 v[14:15], v[6:7], v[3:4], v[1:2]
	ds_read2_b64 v[1:4], v10 offset1:1
	v_mov_b32_e32 v6, s6
	s_waitcnt lgkmcnt(0)
	v_fma_f64 v[3:4], -v[12:13], v[3:4], v[8:9]
	ds_read2_b64 v[6:9], v6 offset1:1
	s_waitcnt lgkmcnt(0)
	v_fma_f64 v[3:4], -v[14:15], v[8:9], v[3:4]
	v_mov_b32_e32 v8, s5
	ds_read2_b64 v[8:11], v8 offset1:1
	s_waitcnt lgkmcnt(0)
	v_div_scale_f64 v[16:17], s[6:7], v[10:11], v[10:11], v[3:4]
	v_rcp_f64_e32 v[18:19], v[16:17]
	v_fma_f64 v[20:21], -v[16:17], v[18:19], 1.0
	v_fma_f64 v[18:19], v[18:19], v[20:21], v[18:19]
	v_fma_f64 v[20:21], -v[16:17], v[18:19], 1.0
	v_fma_f64 v[18:19], v[18:19], v[20:21], v[18:19]
	v_div_scale_f64 v[20:21], vcc, v[3:4], v[10:11], v[3:4]
	v_mul_f64 v[22:23], v[20:21], v[18:19]
	v_fma_f64 v[16:17], -v[16:17], v[22:23], v[20:21]
	v_add_u32_e32 v20, 0xffffff80, v26
	s_nop 0
	v_div_fmas_f64 v[16:17], v[16:17], v[18:19], v[22:23]
	ds_read_b64 v[18:19], v20
	s_waitcnt lgkmcnt(0)
	v_fma_f64 v[1:2], -v[12:13], v[1:2], v[18:19]
	v_fma_f64 v[1:2], -v[14:15], v[6:7], v[1:2]
	v_mov_b32_e32 v6, s4
	v_div_fixup_f64 v[3:4], v[16:17], v[10:11], v[3:4]
	ds_read_b64 v[6:7], v6
	v_fma_f64 v[1:2], -v[3:4], v[8:9], v[1:2]
	s_waitcnt lgkmcnt(0)
	v_div_scale_f64 v[8:9], s[4:5], v[6:7], v[6:7], v[1:2]
	s_add_i32 s5, s23, -5
	v_rcp_f64_e32 v[10:11], v[8:9]
	v_fma_f64 v[16:17], -v[8:9], v[10:11], 1.0
	v_fma_f64 v[10:11], v[10:11], v[16:17], v[10:11]
	v_fma_f64 v[16:17], -v[8:9], v[10:11], 1.0
	v_fma_f64 v[10:11], v[10:11], v[16:17], v[10:11]
	v_div_scale_f64 v[16:17], vcc, v[1:2], v[6:7], v[1:2]
	v_mul_f64 v[18:19], v[16:17], v[10:11]
	v_fma_f64 v[8:9], -v[8:9], v[18:19], v[16:17]
	s_nop 1
	v_div_fmas_f64 v[8:9], v[8:9], v[10:11], v[18:19]
	v_div_fixup_f64 v[1:2], v[8:9], v[6:7], v[1:2]
	ds_write_b64 v24, v[12:13]
	ds_write_b64 v25, v[14:15]
	;; [unrolled: 1-line block ×4, first 2 shown]
.LBB71_23:
	s_cmp_lt_i32 s5, 0
	s_cbranch_scc1 .LBB71_36
; %bb.24:
	s_bitcmp1_b32 s5, 0
	s_cselect_b64 s[6:7], -1, 0
	s_and_b64 vcc, exec, s[6:7]
	s_mov_b32 s4, s5
	s_cbranch_vccnz .LBB71_29
; %bb.25:
	s_lshl_b32 s4, s5, 5
	v_add_u32_e32 v3, s4, v5
	ds_read_b64 v[1:2], v3
	s_cmp_le_i32 s8, s5
	s_cbranch_scc1 .LBB71_28
; %bb.26:
	s_lshl_b32 s7, s23, 5
	s_lshl_b32 s6, s5, 3
	s_add_i32 s6, s7, s6
	v_lshl_or_b32 v4, v0, 3, s7
	s_sub_i32 s6, s6, 32
	v_add_u32_e32 v4, 0x60, v4
	s_mov_b32 s7, s8
.LBB71_27:                              ; =>This Inner Loop Header: Depth=1
	v_mov_b32_e32 v8, s6
	ds_read_b64 v[6:7], v4
	ds_read_b64 v[8:9], v8
	s_add_i32 s7, s7, -1
	s_sub_i32 s6, s6, 32
	s_cmp_gt_u32 s7, s5
	v_subrev_u32_e32 v4, 32, v4
	s_waitcnt lgkmcnt(0)
	v_fma_f64 v[1:2], -v[6:7], v[8:9], v[1:2]
	s_cbranch_scc1 .LBB71_27
.LBB71_28:
	s_lshl_b32 s6, s5, 3
	s_add_i32 s4, s6, s4
	v_mov_b32_e32 v4, s4
	ds_read_b64 v[6:7], v4
	s_add_i32 s4, s5, -1
	s_waitcnt lgkmcnt(0)
	v_div_scale_f64 v[8:9], s[6:7], v[6:7], v[6:7], v[1:2]
	v_rcp_f64_e32 v[10:11], v[8:9]
	v_fma_f64 v[12:13], -v[8:9], v[10:11], 1.0
	v_fma_f64 v[10:11], v[10:11], v[12:13], v[10:11]
	v_div_scale_f64 v[12:13], vcc, v[1:2], v[6:7], v[1:2]
	v_fma_f64 v[14:15], -v[8:9], v[10:11], 1.0
	v_fma_f64 v[10:11], v[10:11], v[14:15], v[10:11]
	v_mul_f64 v[14:15], v[12:13], v[10:11]
	v_fma_f64 v[8:9], -v[8:9], v[14:15], v[12:13]
	v_div_fmas_f64 v[8:9], v[8:9], v[10:11], v[14:15]
	v_div_fixup_f64 v[1:2], v[8:9], v[6:7], v[1:2]
	ds_write_b64 v3, v[1:2]
.LBB71_29:
	s_cmp_eq_u32 s5, 0
	s_cbranch_scc1 .LBB71_36
; %bb.30:
	s_lshl_b32 s6, s23, 5
	s_lshl_b32 s5, s4, 3
	s_add_i32 s7, s6, s5
	v_lshl_or_b32 v1, v0, 3, s6
	s_sub_i32 s5, s7, 32
	v_add_u32_e32 v6, 0x60, v1
	s_sub_i32 s6, s7, 40
	s_branch .LBB71_32
.LBB71_31:                              ;   in Loop: Header=BB71_32 Depth=1
	s_add_i32 s9, s9, s11
	s_add_i32 s9, s9, -8
	v_mov_b32_e32 v1, s9
	ds_read_b64 v[1:2], v1
	s_add_i32 s4, s4, -2
	s_add_i32 s5, s5, -16
	s_add_i32 s6, s6, -16
	s_cmp_eq_u32 s7, 0
	s_waitcnt lgkmcnt(0)
	v_div_scale_f64 v[9:10], s[12:13], v[1:2], v[1:2], v[3:4]
	v_div_scale_f64 v[15:16], vcc, v[3:4], v[1:2], v[3:4]
	v_rcp_f64_e32 v[11:12], v[9:10]
	v_fma_f64 v[13:14], -v[9:10], v[11:12], 1.0
	v_fma_f64 v[11:12], v[11:12], v[13:14], v[11:12]
	v_fma_f64 v[13:14], -v[9:10], v[11:12], 1.0
	v_fma_f64 v[11:12], v[11:12], v[13:14], v[11:12]
	v_mul_f64 v[13:14], v[15:16], v[11:12]
	v_fma_f64 v[9:10], -v[9:10], v[13:14], v[15:16]
	v_div_fmas_f64 v[9:10], v[9:10], v[11:12], v[13:14]
	v_div_fixup_f64 v[1:2], v[9:10], v[1:2], v[3:4]
	ds_write_b64 v8, v[1:2]
	s_cbranch_scc1 .LBB71_36
.LBB71_32:                              ; =>This Loop Header: Depth=1
                                        ;     Child Loop BB71_33 Depth 2
                                        ;     Child Loop BB71_35 Depth 2
	s_lshl_b32 s7, s4, 5
	v_add_u32_e32 v7, s7, v5
	ds_read_b64 v[1:2], v7
	s_cmp_le_i32 s8, s4
	v_mov_b32_e32 v3, v6
	s_mov_b32 s9, s5
	s_mov_b32 s11, s8
	s_cbranch_scc1 .LBB71_34
.LBB71_33:                              ;   Parent Loop BB71_32 Depth=1
                                        ; =>  This Inner Loop Header: Depth=2
	v_mov_b32_e32 v4, s9
	ds_read_b64 v[8:9], v3
	ds_read_b64 v[10:11], v4
	s_add_i32 s11, s11, -1
	s_sub_i32 s9, s9, 32
	s_cmp_le_u32 s11, s4
	v_subrev_u32_e32 v3, 32, v3
	s_waitcnt lgkmcnt(0)
	v_fma_f64 v[1:2], -v[8:9], v[10:11], v[1:2]
	s_cbranch_scc0 .LBB71_33
.LBB71_34:                              ;   in Loop: Header=BB71_32 Depth=1
	s_lshl_b32 s9, s4, 3
	s_add_i32 s7, s9, s7
	v_mov_b32_e32 v3, s7
	ds_read_b64 v[9:10], v3
	s_add_i32 s7, s4, -1
	s_lshl_b32 s11, s7, 5
	v_add_u32_e32 v8, s11, v5
	ds_read_b64 v[3:4], v8
	s_waitcnt lgkmcnt(1)
	v_div_scale_f64 v[11:12], s[12:13], v[9:10], v[9:10], v[1:2]
	s_mov_b32 s12, s6
	s_cmp_le_i32 s23, s4
	s_mov_b32 s13, s8
	v_rcp_f64_e32 v[13:14], v[11:12]
	v_fma_f64 v[15:16], -v[11:12], v[13:14], 1.0
	v_fma_f64 v[13:14], v[13:14], v[15:16], v[13:14]
	v_div_scale_f64 v[15:16], vcc, v[1:2], v[9:10], v[1:2]
	v_fma_f64 v[17:18], -v[11:12], v[13:14], 1.0
	v_fma_f64 v[13:14], v[13:14], v[17:18], v[13:14]
	v_mul_f64 v[17:18], v[15:16], v[13:14]
	v_fma_f64 v[11:12], -v[11:12], v[17:18], v[15:16]
	v_div_fmas_f64 v[11:12], v[11:12], v[13:14], v[17:18]
	v_div_fixup_f64 v[9:10], v[11:12], v[9:10], v[1:2]
	v_mov_b32_e32 v1, v6
	ds_write_b64 v7, v[9:10]
	s_cbranch_scc1 .LBB71_31
.LBB71_35:                              ;   Parent Loop BB71_32 Depth=1
                                        ; =>  This Inner Loop Header: Depth=2
	v_mov_b32_e32 v2, s12
	ds_read_b64 v[9:10], v1
	ds_read_b64 v[11:12], v2
	s_add_i32 s13, s13, -1
	s_sub_i32 s12, s12, 32
	s_cmp_gt_u32 s13, s7
	v_subrev_u32_e32 v1, 32, v1
	s_waitcnt lgkmcnt(0)
	v_fma_f64 v[3:4], -v[9:10], v[11:12], v[3:4]
	s_cbranch_scc1 .LBB71_35
	s_branch .LBB71_31
.LBB71_36:
	s_mov_b64 s[6:7], 0
.LBB71_37:
	s_andn2_b64 vcc, exec, s[6:7]
	s_cbranch_vccnz .LBB71_53
; %bb.38:
	s_and_b64 vcc, exec, s[2:3]
	s_mov_b32 s3, s8
	s_cbranch_vccz .LBB71_40
; %bb.39:
	s_add_i32 s2, s23, -2
	s_add_i32 s4, s23, -3
	;; [unrolled: 1-line block ×3, first 2 shown]
	s_mul_i32 s9, s8, 40
	v_lshl_add_u32 v24, s8, 5, v5
	s_lshl_b32 s3, s2, 5
	s_lshl_b32 s5, s4, 5
	s_lshl_b32 s7, s6, 5
	v_mov_b32_e32 v1, s9
	v_add_u32_e32 v25, s3, v5
	v_add_u32_e32 v26, s5, v5
	;; [unrolled: 1-line block ×3, first 2 shown]
	ds_read_b64 v[6:7], v24
	ds_read_b64 v[8:9], v25
	;; [unrolled: 1-line block ×5, first 2 shown]
	s_lshl_b32 s9, s2, 3
	s_add_i32 s2, s3, s9
	v_mov_b32_e32 v1, s2
	ds_read2_b64 v[1:4], v1 offset1:1
	s_waitcnt lgkmcnt(1)
	v_div_scale_f64 v[16:17], s[2:3], v[14:15], v[14:15], v[6:7]
	v_rcp_f64_e32 v[18:19], v[16:17]
	v_fma_f64 v[20:21], -v[16:17], v[18:19], 1.0
	v_fma_f64 v[18:19], v[18:19], v[20:21], v[18:19]
	v_div_scale_f64 v[20:21], vcc, v[6:7], v[14:15], v[6:7]
	v_fma_f64 v[22:23], -v[16:17], v[18:19], 1.0
	v_fma_f64 v[18:19], v[18:19], v[22:23], v[18:19]
	v_mul_f64 v[22:23], v[20:21], v[18:19]
	v_fma_f64 v[16:17], -v[16:17], v[22:23], v[20:21]
	v_div_fmas_f64 v[16:17], v[16:17], v[18:19], v[22:23]
	v_div_fixup_f64 v[14:15], v[16:17], v[14:15], v[6:7]
	s_waitcnt lgkmcnt(0)
	v_fma_f64 v[3:4], -v[14:15], v[3:4], v[8:9]
	v_div_scale_f64 v[6:7], s[2:3], v[1:2], v[1:2], v[3:4]
	s_lshl_b32 s2, s8, 3
	s_add_i32 s2, s5, s2
	v_rcp_f64_e32 v[8:9], v[6:7]
	v_fma_f64 v[16:17], -v[6:7], v[8:9], 1.0
	v_fma_f64 v[8:9], v[8:9], v[16:17], v[8:9]
	v_div_scale_f64 v[16:17], vcc, v[3:4], v[1:2], v[3:4]
	v_fma_f64 v[18:19], -v[6:7], v[8:9], 1.0
	v_fma_f64 v[8:9], v[8:9], v[18:19], v[8:9]
	v_mul_f64 v[18:19], v[16:17], v[8:9]
	v_fma_f64 v[6:7], -v[6:7], v[18:19], v[16:17]
	v_div_fmas_f64 v[16:17], v[6:7], v[8:9], v[18:19]
	v_mov_b32_e32 v6, s2
	ds_read_b64 v[18:19], v6
	s_lshl_b32 s2, s4, 3
	s_add_i32 s2, s5, s2
	v_mov_b32_e32 v6, s2
	ds_read2_b64 v[6:9], v6 offset1:1
	s_waitcnt lgkmcnt(1)
	v_fma_f64 v[10:11], -v[14:15], v[18:19], v[10:11]
	v_div_fixup_f64 v[16:17], v[16:17], v[1:2], v[3:4]
	s_waitcnt lgkmcnt(0)
	v_fma_f64 v[18:19], -v[16:17], v[8:9], v[10:11]
	v_div_scale_f64 v[1:2], s[2:3], v[6:7], v[6:7], v[18:19]
	s_add_i32 s2, s7, s9
	v_rcp_f64_e32 v[3:4], v[1:2]
	v_fma_f64 v[8:9], -v[1:2], v[3:4], 1.0
	v_fma_f64 v[3:4], v[3:4], v[8:9], v[3:4]
	v_div_scale_f64 v[8:9], vcc, v[18:19], v[6:7], v[18:19]
	v_fma_f64 v[10:11], -v[1:2], v[3:4], 1.0
	v_fma_f64 v[3:4], v[3:4], v[10:11], v[3:4]
	v_mul_f64 v[10:11], v[8:9], v[3:4]
	v_fma_f64 v[1:2], -v[1:2], v[10:11], v[8:9]
	v_div_fmas_f64 v[20:21], v[1:2], v[3:4], v[10:11]
	v_mov_b32_e32 v1, s2
	ds_read2_b64 v[1:4], v1 offset1:1
	s_lshl_b32 s2, s6, 3
	s_add_i32 s2, s7, s2
	v_mov_b32_e32 v8, s2
	ds_read2_b64 v[8:11], v8 offset1:1
	s_waitcnt lgkmcnt(1)
	v_fma_f64 v[3:4], -v[14:15], v[3:4], v[12:13]
	v_fma_f64 v[1:2], -v[16:17], v[1:2], v[3:4]
	v_div_fixup_f64 v[3:4], v[20:21], v[6:7], v[18:19]
	s_waitcnt lgkmcnt(0)
	v_fma_f64 v[1:2], -v[3:4], v[10:11], v[1:2]
	v_div_scale_f64 v[6:7], s[2:3], v[8:9], v[8:9], v[1:2]
	s_add_i32 s3, s23, -5
	v_rcp_f64_e32 v[10:11], v[6:7]
	v_fma_f64 v[12:13], -v[6:7], v[10:11], 1.0
	v_fma_f64 v[10:11], v[10:11], v[12:13], v[10:11]
	v_div_scale_f64 v[12:13], vcc, v[1:2], v[8:9], v[1:2]
	v_fma_f64 v[18:19], -v[6:7], v[10:11], 1.0
	v_fma_f64 v[10:11], v[10:11], v[18:19], v[10:11]
	v_mul_f64 v[18:19], v[12:13], v[10:11]
	v_fma_f64 v[6:7], -v[6:7], v[18:19], v[12:13]
	v_div_fmas_f64 v[6:7], v[6:7], v[10:11], v[18:19]
	v_div_fixup_f64 v[1:2], v[6:7], v[8:9], v[1:2]
	ds_write_b64 v24, v[14:15]
	ds_write_b64 v25, v[16:17]
	;; [unrolled: 1-line block ×4, first 2 shown]
.LBB71_40:
	s_cmp_lt_i32 s3, 0
	s_cbranch_scc1 .LBB71_53
; %bb.41:
	s_bitcmp1_b32 s3, 0
	s_cselect_b64 s[4:5], -1, 0
	s_and_b64 vcc, exec, s[4:5]
	s_mov_b32 s2, s3
	s_cbranch_vccnz .LBB71_46
; %bb.42:
	v_lshl_add_u32 v3, s3, 5, v5
	ds_read_b64 v[1:2], v3
	s_cmp_le_i32 s8, s3
	s_cbranch_scc1 .LBB71_45
; %bb.43:
	s_lshl_b32 s2, s3, 5
	s_lshl_b32 s4, s23, 3
	v_lshlrev_b32_e32 v4, 3, v0
	s_add_i32 s2, s2, s4
	v_lshl_or_b32 v4, s23, 5, v4
	s_add_i32 s2, s2, -8
	v_add_u32_e32 v4, 0x60, v4
	s_mov_b32 s4, s8
.LBB71_44:                              ; =>This Inner Loop Header: Depth=1
	v_mov_b32_e32 v8, s2
	ds_read_b64 v[6:7], v4
	ds_read_b64 v[8:9], v8
	s_add_i32 s4, s4, -1
	s_add_i32 s2, s2, -8
	s_cmp_gt_u32 s4, s3
	v_subrev_u32_e32 v4, 32, v4
	s_waitcnt lgkmcnt(0)
	v_fma_f64 v[1:2], -v[6:7], v[8:9], v[1:2]
	s_cbranch_scc1 .LBB71_44
.LBB71_45:
	s_mul_i32 s2, s3, 40
	v_mov_b32_e32 v4, s2
	ds_read_b64 v[6:7], v4
	s_add_i32 s2, s3, -1
	s_waitcnt lgkmcnt(0)
	v_div_scale_f64 v[8:9], s[4:5], v[6:7], v[6:7], v[1:2]
	v_rcp_f64_e32 v[10:11], v[8:9]
	v_fma_f64 v[12:13], -v[8:9], v[10:11], 1.0
	v_fma_f64 v[10:11], v[10:11], v[12:13], v[10:11]
	v_div_scale_f64 v[12:13], vcc, v[1:2], v[6:7], v[1:2]
	v_fma_f64 v[14:15], -v[8:9], v[10:11], 1.0
	v_fma_f64 v[10:11], v[10:11], v[14:15], v[10:11]
	v_mul_f64 v[14:15], v[12:13], v[10:11]
	v_fma_f64 v[8:9], -v[8:9], v[14:15], v[12:13]
	v_div_fmas_f64 v[8:9], v[8:9], v[10:11], v[14:15]
	v_div_fixup_f64 v[1:2], v[8:9], v[6:7], v[1:2]
	ds_write_b64 v3, v[1:2]
.LBB71_46:
	s_cmp_eq_u32 s3, 0
	s_cbranch_scc1 .LBB71_53
; %bb.47:
	v_lshlrev_b32_e32 v1, 3, v0
	s_lshl_b32 s3, s2, 5
	s_lshl_b32 s4, s23, 3
	v_lshl_or_b32 v1, s23, 5, v1
	s_add_i32 s4, s3, s4
	v_add_u32_e32 v6, 0x60, v1
	s_add_i32 s3, s4, -8
	s_sub_i32 s4, s4, 40
	s_branch .LBB71_49
.LBB71_48:                              ;   in Loop: Header=BB71_49 Depth=1
	s_sub_i32 s6, s6, 40
	v_mov_b32_e32 v1, s6
	ds_read_b64 v[1:2], v1
	s_add_i32 s2, s2, -2
	s_sub_i32 s3, s3, 64
	s_sub_i32 s4, s4, 64
	s_cmp_eq_u32 s5, 0
	s_waitcnt lgkmcnt(0)
	v_div_scale_f64 v[9:10], s[6:7], v[1:2], v[1:2], v[3:4]
	v_div_scale_f64 v[15:16], vcc, v[3:4], v[1:2], v[3:4]
	v_rcp_f64_e32 v[11:12], v[9:10]
	v_fma_f64 v[13:14], -v[9:10], v[11:12], 1.0
	v_fma_f64 v[11:12], v[11:12], v[13:14], v[11:12]
	v_fma_f64 v[13:14], -v[9:10], v[11:12], 1.0
	v_fma_f64 v[11:12], v[11:12], v[13:14], v[11:12]
	v_mul_f64 v[13:14], v[15:16], v[11:12]
	v_fma_f64 v[9:10], -v[9:10], v[13:14], v[15:16]
	v_div_fmas_f64 v[9:10], v[9:10], v[11:12], v[13:14]
	v_div_fixup_f64 v[1:2], v[9:10], v[1:2], v[3:4]
	ds_write_b64 v8, v[1:2]
	s_cbranch_scc1 .LBB71_53
.LBB71_49:                              ; =>This Loop Header: Depth=1
                                        ;     Child Loop BB71_50 Depth 2
                                        ;     Child Loop BB71_52 Depth 2
	v_lshl_add_u32 v7, s2, 5, v5
	ds_read_b64 v[1:2], v7
	s_cmp_le_i32 s8, s2
	s_mov_b32 s5, s3
	v_mov_b32_e32 v3, v6
	s_mov_b32 s6, s8
	s_cbranch_scc1 .LBB71_51
.LBB71_50:                              ;   Parent Loop BB71_49 Depth=1
                                        ; =>  This Inner Loop Header: Depth=2
	v_mov_b32_e32 v4, s5
	ds_read_b64 v[8:9], v3
	ds_read_b64 v[10:11], v4
	s_add_i32 s6, s6, -1
	s_add_i32 s5, s5, -8
	s_cmp_le_u32 s6, s2
	v_subrev_u32_e32 v3, 32, v3
	s_waitcnt lgkmcnt(0)
	v_fma_f64 v[1:2], -v[8:9], v[10:11], v[1:2]
	s_cbranch_scc0 .LBB71_50
.LBB71_51:                              ;   in Loop: Header=BB71_49 Depth=1
	s_mul_i32 s6, s2, 40
	v_mov_b32_e32 v3, s6
	ds_read_b64 v[9:10], v3
	s_add_i32 s5, s2, -1
	v_lshl_add_u32 v8, s5, 5, v5
	ds_read_b64 v[3:4], v8
	s_mov_b32 s7, s4
	s_waitcnt lgkmcnt(1)
	v_div_scale_f64 v[11:12], s[12:13], v[9:10], v[9:10], v[1:2]
	s_cmp_le_i32 s23, s2
	s_mov_b32 s9, s8
	v_rcp_f64_e32 v[13:14], v[11:12]
	v_fma_f64 v[15:16], -v[11:12], v[13:14], 1.0
	v_fma_f64 v[13:14], v[13:14], v[15:16], v[13:14]
	v_div_scale_f64 v[15:16], vcc, v[1:2], v[9:10], v[1:2]
	v_fma_f64 v[17:18], -v[11:12], v[13:14], 1.0
	v_fma_f64 v[13:14], v[13:14], v[17:18], v[13:14]
	v_mul_f64 v[17:18], v[15:16], v[13:14]
	v_fma_f64 v[11:12], -v[11:12], v[17:18], v[15:16]
	v_div_fmas_f64 v[11:12], v[11:12], v[13:14], v[17:18]
	v_div_fixup_f64 v[9:10], v[11:12], v[9:10], v[1:2]
	v_mov_b32_e32 v1, v6
	ds_write_b64 v7, v[9:10]
	s_cbranch_scc1 .LBB71_48
.LBB71_52:                              ;   Parent Loop BB71_49 Depth=1
                                        ; =>  This Inner Loop Header: Depth=2
	v_mov_b32_e32 v2, s7
	ds_read_b64 v[9:10], v1
	ds_read_b64 v[11:12], v2
	s_add_i32 s9, s9, -1
	s_add_i32 s7, s7, -8
	s_cmp_gt_u32 s9, s5
	v_subrev_u32_e32 v1, 32, v1
	s_waitcnt lgkmcnt(0)
	v_fma_f64 v[3:4], -v[9:10], v[11:12], v[3:4]
	s_cbranch_scc1 .LBB71_52
	s_branch .LBB71_48
.LBB71_53:
	s_mov_b64 s[6:7], 0
.LBB71_54:
	s_andn2_b64 vcc, exec, s[6:7]
	s_cbranch_vccnz .LBB71_62
; %bb.55:
	v_mov_b32_e32 v1, 0x80
	v_lshl_or_b32 v3, v0, 3, v1
	s_cmp_gt_i32 s22, 3
	s_mov_b32 s2, 0
	s_cbranch_scc0 .LBB71_57
; %bb.56:
	v_mov_b32_e32 v22, 0
	ds_read2_b64 v[4:7], v3 offset1:4
	ds_read2_b64 v[8:11], v22 offset1:10
	s_waitcnt lgkmcnt(0)
	v_div_scale_f64 v[1:2], s[2:3], v[8:9], v[8:9], v[4:5]
	v_rcp_f64_e32 v[12:13], v[1:2]
	v_fma_f64 v[14:15], -v[1:2], v[12:13], 1.0
	v_fma_f64 v[12:13], v[12:13], v[14:15], v[12:13]
	v_div_scale_f64 v[14:15], vcc, v[4:5], v[8:9], v[4:5]
	v_fma_f64 v[16:17], -v[1:2], v[12:13], 1.0
	v_fma_f64 v[12:13], v[12:13], v[16:17], v[12:13]
	v_mul_f64 v[16:17], v[14:15], v[12:13]
	v_fma_f64 v[1:2], -v[1:2], v[16:17], v[14:15]
	v_div_fmas_f64 v[1:2], v[1:2], v[12:13], v[16:17]
	ds_read_b128 v[12:15], v22 offset:32
	ds_read_b128 v[16:19], v22 offset:64
	v_div_fixup_f64 v[1:2], v[1:2], v[8:9], v[4:5]
	s_waitcnt lgkmcnt(1)
	v_fma_f64 v[8:9], -v[1:2], v[12:13], v[6:7]
	v_div_scale_f64 v[4:5], s[2:3], v[14:15], v[14:15], v[8:9]
	v_rcp_f64_e32 v[6:7], v[4:5]
	v_fma_f64 v[12:13], -v[4:5], v[6:7], 1.0
	v_fma_f64 v[6:7], v[6:7], v[12:13], v[6:7]
	v_div_scale_f64 v[12:13], vcc, v[8:9], v[14:15], v[8:9]
	v_fma_f64 v[20:21], -v[4:5], v[6:7], 1.0
	v_fma_f64 v[6:7], v[6:7], v[20:21], v[6:7]
	v_mul_f64 v[20:21], v[12:13], v[6:7]
	v_fma_f64 v[4:5], -v[4:5], v[20:21], v[12:13]
	v_div_fmas_f64 v[12:13], v[4:5], v[6:7], v[20:21]
	ds_read2_b64 v[4:7], v3 offset0:8 offset1:12
	s_waitcnt lgkmcnt(0)
	v_fma_f64 v[4:5], -v[1:2], v[16:17], v[4:5]
	v_div_fixup_f64 v[8:9], v[12:13], v[14:15], v[8:9]
	v_fma_f64 v[4:5], -v[8:9], v[18:19], v[4:5]
	v_div_scale_f64 v[12:13], s[2:3], v[10:11], v[10:11], v[4:5]
	v_rcp_f64_e32 v[14:15], v[12:13]
	v_fma_f64 v[16:17], -v[12:13], v[14:15], 1.0
	v_fma_f64 v[14:15], v[14:15], v[16:17], v[14:15]
	v_div_scale_f64 v[16:17], vcc, v[4:5], v[10:11], v[4:5]
	v_fma_f64 v[18:19], -v[12:13], v[14:15], 1.0
	v_fma_f64 v[14:15], v[14:15], v[18:19], v[14:15]
	v_mul_f64 v[18:19], v[16:17], v[14:15]
	v_fma_f64 v[12:13], -v[12:13], v[18:19], v[16:17]
	v_div_fmas_f64 v[20:21], v[12:13], v[14:15], v[18:19]
	ds_read_b128 v[12:15], v22 offset:96
	ds_read_b128 v[16:19], v22 offset:112
	s_waitcnt lgkmcnt(1)
	v_fma_f64 v[6:7], -v[1:2], v[12:13], v[6:7]
	v_fma_f64 v[6:7], -v[8:9], v[14:15], v[6:7]
	v_div_fixup_f64 v[4:5], v[20:21], v[10:11], v[4:5]
	s_waitcnt lgkmcnt(0)
	v_fma_f64 v[6:7], -v[4:5], v[16:17], v[6:7]
	v_div_scale_f64 v[10:11], s[2:3], v[18:19], v[18:19], v[6:7]
	s_mov_b32 s2, 4
	v_rcp_f64_e32 v[12:13], v[10:11]
	v_fma_f64 v[14:15], -v[10:11], v[12:13], 1.0
	v_fma_f64 v[12:13], v[12:13], v[14:15], v[12:13]
	v_div_scale_f64 v[14:15], vcc, v[6:7], v[18:19], v[6:7]
	v_fma_f64 v[16:17], -v[10:11], v[12:13], 1.0
	v_fma_f64 v[12:13], v[12:13], v[16:17], v[12:13]
	v_mul_f64 v[16:17], v[14:15], v[12:13]
	v_fma_f64 v[10:11], -v[10:11], v[16:17], v[14:15]
	v_div_fmas_f64 v[10:11], v[10:11], v[12:13], v[16:17]
	v_div_fixup_f64 v[6:7], v[10:11], v[18:19], v[6:7]
	ds_write2_b64 v3, v[1:2], v[8:9] offset1:4
	ds_write2_b64 v3, v[4:5], v[6:7] offset0:8 offset1:12
.LBB71_57:
	s_cmp_ge_i32 s2, s23
	s_cbranch_scc1 .LBB71_62
; %bb.58:
	v_mov_b32_e32 v1, 0x80
	v_lshl_or_b32 v4, v0, 3, v1
	s_lshl_b32 s3, s2, 5
	s_branch .LBB71_60
.LBB71_59:                              ;   in Loop: Header=BB71_60 Depth=1
	s_mul_i32 s4, s2, 40
	v_mov_b32_e32 v6, s4
	ds_read_b64 v[6:7], v6
	s_add_i32 s2, s2, 1
	s_add_i32 s3, s3, 32
	s_cmp_ge_i32 s2, s23
	s_waitcnt lgkmcnt(0)
	v_div_scale_f64 v[8:9], s[4:5], v[6:7], v[6:7], v[1:2]
	v_div_scale_f64 v[14:15], vcc, v[1:2], v[6:7], v[1:2]
	v_rcp_f64_e32 v[10:11], v[8:9]
	v_fma_f64 v[12:13], -v[8:9], v[10:11], 1.0
	v_fma_f64 v[10:11], v[10:11], v[12:13], v[10:11]
	v_fma_f64 v[12:13], -v[8:9], v[10:11], 1.0
	v_fma_f64 v[10:11], v[10:11], v[12:13], v[10:11]
	v_mul_f64 v[12:13], v[14:15], v[10:11]
	v_fma_f64 v[8:9], -v[8:9], v[12:13], v[14:15]
	v_div_fmas_f64 v[8:9], v[8:9], v[10:11], v[12:13]
	v_div_fixup_f64 v[1:2], v[8:9], v[6:7], v[1:2]
	ds_write_b64 v5, v[1:2]
	s_cbranch_scc1 .LBB71_62
.LBB71_60:                              ; =>This Loop Header: Depth=1
                                        ;     Child Loop BB71_61 Depth 2
	v_lshl_add_u32 v5, s2, 5, v3
	ds_read_b64 v[1:2], v5
	s_cmp_eq_u32 s2, 0
	s_mov_b32 s4, s3
	v_mov_b32_e32 v6, v4
	s_mov_b32 s5, s2
	s_cbranch_scc1 .LBB71_59
.LBB71_61:                              ;   Parent Loop BB71_60 Depth=1
                                        ; =>  This Inner Loop Header: Depth=2
	v_mov_b32_e32 v9, s4
	ds_read_b64 v[7:8], v6
	ds_read_b64 v[9:10], v9
	s_add_i32 s5, s5, -1
	s_add_i32 s4, s4, 8
	s_cmp_eq_u32 s5, 0
	v_add_u32_e32 v6, 32, v6
	s_waitcnt lgkmcnt(0)
	v_fma_f64 v[1:2], -v[7:8], v[9:10], v[1:2]
	s_cbranch_scc0 .LBB71_61
	s_branch .LBB71_59
.LBB71_62:
	s_and_saveexec_b64 s[2:3], s[0:1]
	s_cbranch_execz .LBB71_66
; %bb.63:
	s_cmp_lt_i32 s22, 1
	s_cbranch_scc1 .LBB71_66
; %bb.64:
	s_ashr_i32 s11, s10, 31
	v_lshlrev_b32_e32 v2, 3, v0
	v_mov_b32_e32 v1, s15
	v_add_co_u32_e32 v0, vcc, s14, v2
	s_lshl_b64 s[0:1], s[10:11], 3
	v_addc_co_u32_e32 v1, vcc, 0, v1, vcc
	v_or_b32_e32 v2, 0x80, v2
	v_mov_b32_e32 v3, s1
.LBB71_65:                              ; =>This Inner Loop Header: Depth=1
	ds_read_b64 v[4:5], v2
	s_add_i32 s22, s22, -1
	v_add_u32_e32 v2, 32, v2
	s_cmp_lg_u32 s22, 0
	s_waitcnt lgkmcnt(0)
	global_store_dwordx2 v[0:1], v[4:5], off
	v_add_co_u32_e32 v0, vcc, s0, v0
	v_addc_co_u32_e32 v1, vcc, v1, v3, vcc
	s_cbranch_scc1 .LBB71_65
.LBB71_66:
	s_endpgm
	.section	.rodata,"a",@progbits
	.p2align	6, 0x0
	.amdhsa_kernel _ZL31rocblas_trsm_small_right_deviceIddPKdPdLi4EEv13rocblas_fill_18rocblas_operation_17rocblas_diagonal_iiT0_T1_lilT2_lili
		.amdhsa_group_segment_fixed_size 256
		.amdhsa_private_segment_fixed_size 0
		.amdhsa_kernarg_size 360
		.amdhsa_user_sgpr_count 6
		.amdhsa_user_sgpr_private_segment_buffer 1
		.amdhsa_user_sgpr_dispatch_ptr 0
		.amdhsa_user_sgpr_queue_ptr 0
		.amdhsa_user_sgpr_kernarg_segment_ptr 1
		.amdhsa_user_sgpr_dispatch_id 0
		.amdhsa_user_sgpr_flat_scratch_init 0
		.amdhsa_user_sgpr_private_segment_size 0
		.amdhsa_uses_dynamic_stack 0
		.amdhsa_system_sgpr_private_segment_wavefront_offset 0
		.amdhsa_system_sgpr_workgroup_id_x 1
		.amdhsa_system_sgpr_workgroup_id_y 0
		.amdhsa_system_sgpr_workgroup_id_z 1
		.amdhsa_system_sgpr_workgroup_info 0
		.amdhsa_system_vgpr_workitem_id 0
		.amdhsa_next_free_vgpr 28
		.amdhsa_next_free_sgpr 26
		.amdhsa_reserve_vcc 1
		.amdhsa_reserve_flat_scratch 0
		.amdhsa_float_round_mode_32 0
		.amdhsa_float_round_mode_16_64 0
		.amdhsa_float_denorm_mode_32 3
		.amdhsa_float_denorm_mode_16_64 3
		.amdhsa_dx10_clamp 1
		.amdhsa_ieee_mode 1
		.amdhsa_fp16_overflow 0
		.amdhsa_exception_fp_ieee_invalid_op 0
		.amdhsa_exception_fp_denorm_src 0
		.amdhsa_exception_fp_ieee_div_zero 0
		.amdhsa_exception_fp_ieee_overflow 0
		.amdhsa_exception_fp_ieee_underflow 0
		.amdhsa_exception_fp_ieee_inexact 0
		.amdhsa_exception_int_div_zero 0
	.end_amdhsa_kernel
	.section	.text._ZL31rocblas_trsm_small_right_deviceIddPKdPdLi4EEv13rocblas_fill_18rocblas_operation_17rocblas_diagonal_iiT0_T1_lilT2_lili,"axG",@progbits,_ZL31rocblas_trsm_small_right_deviceIddPKdPdLi4EEv13rocblas_fill_18rocblas_operation_17rocblas_diagonal_iiT0_T1_lilT2_lili,comdat
.Lfunc_end71:
	.size	_ZL31rocblas_trsm_small_right_deviceIddPKdPdLi4EEv13rocblas_fill_18rocblas_operation_17rocblas_diagonal_iiT0_T1_lilT2_lili, .Lfunc_end71-_ZL31rocblas_trsm_small_right_deviceIddPKdPdLi4EEv13rocblas_fill_18rocblas_operation_17rocblas_diagonal_iiT0_T1_lilT2_lili
                                        ; -- End function
	.set _ZL31rocblas_trsm_small_right_deviceIddPKdPdLi4EEv13rocblas_fill_18rocblas_operation_17rocblas_diagonal_iiT0_T1_lilT2_lili.num_vgpr, 28
	.set _ZL31rocblas_trsm_small_right_deviceIddPKdPdLi4EEv13rocblas_fill_18rocblas_operation_17rocblas_diagonal_iiT0_T1_lilT2_lili.num_agpr, 0
	.set _ZL31rocblas_trsm_small_right_deviceIddPKdPdLi4EEv13rocblas_fill_18rocblas_operation_17rocblas_diagonal_iiT0_T1_lilT2_lili.numbered_sgpr, 26
	.set _ZL31rocblas_trsm_small_right_deviceIddPKdPdLi4EEv13rocblas_fill_18rocblas_operation_17rocblas_diagonal_iiT0_T1_lilT2_lili.num_named_barrier, 0
	.set _ZL31rocblas_trsm_small_right_deviceIddPKdPdLi4EEv13rocblas_fill_18rocblas_operation_17rocblas_diagonal_iiT0_T1_lilT2_lili.private_seg_size, 0
	.set _ZL31rocblas_trsm_small_right_deviceIddPKdPdLi4EEv13rocblas_fill_18rocblas_operation_17rocblas_diagonal_iiT0_T1_lilT2_lili.uses_vcc, 1
	.set _ZL31rocblas_trsm_small_right_deviceIddPKdPdLi4EEv13rocblas_fill_18rocblas_operation_17rocblas_diagonal_iiT0_T1_lilT2_lili.uses_flat_scratch, 0
	.set _ZL31rocblas_trsm_small_right_deviceIddPKdPdLi4EEv13rocblas_fill_18rocblas_operation_17rocblas_diagonal_iiT0_T1_lilT2_lili.has_dyn_sized_stack, 0
	.set _ZL31rocblas_trsm_small_right_deviceIddPKdPdLi4EEv13rocblas_fill_18rocblas_operation_17rocblas_diagonal_iiT0_T1_lilT2_lili.has_recursion, 0
	.set _ZL31rocblas_trsm_small_right_deviceIddPKdPdLi4EEv13rocblas_fill_18rocblas_operation_17rocblas_diagonal_iiT0_T1_lilT2_lili.has_indirect_call, 0
	.section	.AMDGPU.csdata,"",@progbits
; Kernel info:
; codeLenInByte = 5016
; TotalNumSgprs: 30
; NumVgprs: 28
; ScratchSize: 0
; MemoryBound: 0
; FloatMode: 240
; IeeeMode: 1
; LDSByteSize: 256 bytes/workgroup (compile time only)
; SGPRBlocks: 3
; VGPRBlocks: 6
; NumSGPRsForWavesPerEU: 30
; NumVGPRsForWavesPerEU: 28
; Occupancy: 9
; WaveLimiterHint : 0
; COMPUTE_PGM_RSRC2:SCRATCH_EN: 0
; COMPUTE_PGM_RSRC2:USER_SGPR: 6
; COMPUTE_PGM_RSRC2:TRAP_HANDLER: 0
; COMPUTE_PGM_RSRC2:TGID_X_EN: 1
; COMPUTE_PGM_RSRC2:TGID_Y_EN: 0
; COMPUTE_PGM_RSRC2:TGID_Z_EN: 1
; COMPUTE_PGM_RSRC2:TIDIG_COMP_CNT: 0
	.section	.text._ZL38rocblas_trsm_small_left_device_sharedBILi8ELi8ELb0EddPKdPdEv13rocblas_fill_18rocblas_operation_17rocblas_diagonal_iiT3_T4_lilT5_lili,"axG",@progbits,_ZL38rocblas_trsm_small_left_device_sharedBILi8ELi8ELb0EddPKdPdEv13rocblas_fill_18rocblas_operation_17rocblas_diagonal_iiT3_T4_lilT5_lili,comdat
	.globl	_ZL38rocblas_trsm_small_left_device_sharedBILi8ELi8ELb0EddPKdPdEv13rocblas_fill_18rocblas_operation_17rocblas_diagonal_iiT3_T4_lilT5_lili ; -- Begin function _ZL38rocblas_trsm_small_left_device_sharedBILi8ELi8ELb0EddPKdPdEv13rocblas_fill_18rocblas_operation_17rocblas_diagonal_iiT3_T4_lilT5_lili
	.p2align	8
	.type	_ZL38rocblas_trsm_small_left_device_sharedBILi8ELi8ELb0EddPKdPdEv13rocblas_fill_18rocblas_operation_17rocblas_diagonal_iiT3_T4_lilT5_lili,@function
_ZL38rocblas_trsm_small_left_device_sharedBILi8ELi8ELb0EddPKdPdEv13rocblas_fill_18rocblas_operation_17rocblas_diagonal_iiT3_T4_lilT5_lili: ; @_ZL38rocblas_trsm_small_left_device_sharedBILi8ELi8ELb0EddPKdPdEv13rocblas_fill_18rocblas_operation_17rocblas_diagonal_iiT3_T4_lilT5_lili
; %bb.0:
	s_load_dwordx4 s[8:11], s[4:5], 0x4
	s_load_dwordx4 s[12:15], s[4:5], 0x18
	s_load_dwordx2 s[20:21], s[4:5], 0x28
	s_load_dwordx4 s[0:3], s[4:5], 0x38
	s_load_dwordx2 s[16:17], s[4:5], 0x48
	s_waitcnt lgkmcnt(0)
	s_min_i32 s22, s10, 8
	v_cmp_gt_i32_e32 vcc, s22, v0
	s_and_saveexec_b64 s[18:19], vcc
	s_cbranch_execz .LBB72_6
; %bb.1:
	s_load_dword s24, s[4:5], 0x30
	s_mul_i32 s1, s1, s7
	s_mul_hi_u32 s23, s0, s7
	s_mul_i32 s0, s0, s7
	s_add_i32 s1, s23, s1
	s_waitcnt lgkmcnt(0)
	s_ashr_i32 s25, s24, 31
	s_lshl_b64 s[0:1], s[0:1], 3
	s_add_u32 s14, s14, s0
	s_addc_u32 s15, s15, s1
	s_lshl_b64 s[0:1], s[20:21], 3
	s_add_u32 s0, s14, s0
	s_addc_u32 s1, s15, s1
	v_lshlrev_b32_e32 v3, 3, v0
	v_mov_b32_e32 v2, s1
	v_add_co_u32_e32 v1, vcc, s0, v3
	s_lshl_b64 s[0:1], s[24:25], 3
	v_addc_co_u32_e32 v2, vcc, 0, v2, vcc
	v_mov_b32_e32 v4, s1
	v_mov_b32_e32 v5, v3
	s_mov_b32 s1, s22
.LBB72_2:                               ; =>This Inner Loop Header: Depth=1
	global_load_dwordx2 v[6:7], v[1:2], off
	v_add_co_u32_e32 v1, vcc, s0, v1
	s_add_i32 s1, s1, -1
	v_addc_co_u32_e32 v2, vcc, v2, v4, vcc
	s_cmp_eq_u32 s1, 0
	s_waitcnt vmcnt(0)
	ds_write_b64 v5, v[6:7]
	v_add_u32_e32 v5, 64, v5
	s_cbranch_scc0 .LBB72_2
; %bb.3:
	v_lshlrev_b32_e32 v4, 6, v0
	v_mov_b32_e32 v1, 0
	s_cmpk_lg_i32 s9, 0x84
	v_mov_b32_e32 v2, 0x3ff00000
	v_add_u32_e32 v3, v3, v4
	s_cbranch_scc0 .LBB72_5
; %bb.4:
	ds_read_b64 v[1:2], v3
	s_waitcnt lgkmcnt(0)
	v_div_scale_f64 v[4:5], s[0:1], v[1:2], v[1:2], 1.0
	v_div_scale_f64 v[10:11], vcc, 1.0, v[1:2], 1.0
	v_rcp_f64_e32 v[6:7], v[4:5]
	v_fma_f64 v[8:9], -v[4:5], v[6:7], 1.0
	v_fma_f64 v[6:7], v[6:7], v[8:9], v[6:7]
	v_fma_f64 v[8:9], -v[4:5], v[6:7], 1.0
	v_fma_f64 v[6:7], v[6:7], v[8:9], v[6:7]
	v_mul_f64 v[8:9], v[10:11], v[6:7]
	v_fma_f64 v[4:5], -v[4:5], v[8:9], v[10:11]
	v_div_fmas_f64 v[4:5], v[4:5], v[6:7], v[8:9]
	v_div_fixup_f64 v[1:2], v[4:5], v[1:2], 1.0
.LBB72_5:
	ds_write_b64 v3, v[1:2]
.LBB72_6:
	s_or_b64 exec, exec, s[18:19]
	s_load_dword s0, s[4:5], 0x68
	s_load_dwordx2 s[14:15], s[4:5], 0x58
	s_load_dword s9, s[4:5], 0x50
	s_waitcnt lgkmcnt(0)
	s_mul_i32 s1, s15, s7
	s_mul_hi_u32 s5, s14, s7
	s_mul_i32 s4, s14, s7
	s_add_i32 s5, s5, s1
	s_lshl_b64 s[4:5], s[4:5], 3
	s_add_u32 s1, s2, s4
	s_addc_u32 s4, s3, s5
	s_lshl_b64 s[2:3], s[16:17], 3
	s_add_u32 s2, s1, s2
	s_addc_u32 s3, s4, s3
	s_lshl_b32 s4, s6, 3
	s_add_i32 s0, s0, -1
	s_sub_i32 s1, s11, s4
	s_cmp_ge_u32 s6, s0
	s_cselect_b32 s5, s1, 8
	s_mul_hi_i32 s1, s9, s4
	s_mul_i32 s0, s9, s4
	s_lshl_b64 s[0:1], s[0:1], 3
	s_add_u32 s6, s2, s0
	s_addc_u32 s7, s3, s1
	s_cmp_gt_i32 s10, 0
	v_cmp_gt_i32_e64 s[0:1], s5, v0
	s_cselect_b64 s[2:3], -1, 0
	s_and_b64 s[14:15], s[0:1], s[2:3]
	s_and_saveexec_b64 s[4:5], s[14:15]
	s_cbranch_execz .LBB72_9
; %bb.7:
	v_mad_i64_i32 v[1:2], s[14:15], s9, v0, 0
	v_mov_b32_e32 v3, s7
	s_mov_b32 s11, s22
	v_lshlrev_b64 v[1:2], 3, v[1:2]
	v_add_co_u32_e32 v1, vcc, s6, v1
	v_addc_co_u32_e32 v2, vcc, v3, v2, vcc
	v_mov_b32_e32 v3, 0x200
	v_lshl_or_b32 v3, v0, 3, v3
.LBB72_8:                               ; =>This Inner Loop Header: Depth=1
	global_load_dwordx2 v[4:5], v[1:2], off
	s_add_i32 s11, s11, -1
	v_add_co_u32_e32 v1, vcc, 8, v1
	v_addc_co_u32_e32 v2, vcc, 0, v2, vcc
	s_cmp_lg_u32 s11, 0
	s_waitcnt vmcnt(0)
	v_mul_f64 v[4:5], s[12:13], v[4:5]
	ds_write_b64 v3, v[4:5]
	v_add_u32_e32 v3, 64, v3
	s_cbranch_scc1 .LBB72_8
.LBB72_9:
	s_or_b64 exec, exec, s[4:5]
	v_mov_b32_e32 v1, 0x200
	s_cmpk_eq_i32 s8, 0x6f
	v_lshl_or_b32 v9, v0, 3, v1
	s_mov_b64 s[4:5], -1
	s_waitcnt lgkmcnt(0)
	; wave barrier
	s_cbranch_scc1 .LBB72_31
; %bb.10:
	s_cmp_gt_i32 s10, 7
	s_cbranch_scc0 .LBB72_12
; %bb.11:
	v_mov_b32_e32 v26, 0
	ds_read2_b64 v[1:4], v9 offset1:8
	ds_read2_b64 v[5:8], v26 offset1:18
	ds_read_b128 v[10:13], v26 offset:64
	s_mov_b32 s8, 8
	s_waitcnt lgkmcnt(1)
	v_mul_f64 v[18:19], v[1:2], v[5:6]
	s_waitcnt lgkmcnt(0)
	v_fma_f64 v[5:6], -v[18:19], v[10:11], v[3:4]
	ds_read2_b64 v[1:4], v9 offset0:16 offset1:24
	ds_read_b128 v[14:17], v26 offset:128
	s_waitcnt lgkmcnt(0)
	v_fma_f64 v[1:2], -v[18:19], v[14:15], v[1:2]
	v_mul_f64 v[20:21], v[5:6], v[12:13]
	ds_read_b128 v[10:13], v26 offset:192
	s_waitcnt lgkmcnt(0)
	v_fma_f64 v[5:6], -v[18:19], v[10:11], v[3:4]
	v_fma_f64 v[14:15], -v[20:21], v[16:17], v[1:2]
	ds_read2_b64 v[1:4], v9 offset0:32 offset1:40
	v_fma_f64 v[16:17], -v[20:21], v[12:13], v[5:6]
	ds_read_b128 v[10:13], v26 offset:256
	s_waitcnt lgkmcnt(0)
	v_fma_f64 v[1:2], -v[18:19], v[10:11], v[1:2]
	v_fma_f64 v[22:23], -v[20:21], v[12:13], v[1:2]
	ds_read_b128 v[10:13], v26 offset:320
	s_waitcnt lgkmcnt(0)
	v_fma_f64 v[1:2], -v[18:19], v[10:11], v[3:4]
	v_fma_f64 v[24:25], -v[20:21], v[12:13], v[1:2]
	ds_read2_b64 v[1:4], v9 offset0:48 offset1:56
	ds_read_b128 v[10:13], v26 offset:384
	s_waitcnt lgkmcnt(0)
	v_fma_f64 v[1:2], -v[18:19], v[10:11], v[1:2]
	v_fma_f64 v[10:11], -v[20:21], v[12:13], v[1:2]
	v_mul_f64 v[12:13], v[14:15], v[7:8]
	ds_read_b128 v[5:8], v26 offset:448
	s_waitcnt lgkmcnt(0)
	v_fma_f64 v[1:2], -v[18:19], v[5:6], v[3:4]
	v_fma_f64 v[5:6], -v[20:21], v[7:8], v[1:2]
	ds_read_b128 v[1:4], v26 offset:208
	s_waitcnt lgkmcnt(0)
	v_fma_f64 v[1:2], -v[12:13], v[1:2], v[16:17]
	v_mul_f64 v[14:15], v[1:2], v[3:4]
	ds_read_b128 v[1:4], v26 offset:272
	s_waitcnt lgkmcnt(0)
	v_fma_f64 v[1:2], -v[12:13], v[1:2], v[22:23]
	v_fma_f64 v[7:8], -v[14:15], v[3:4], v[1:2]
	ds_read_b128 v[1:4], v26 offset:336
	s_waitcnt lgkmcnt(0)
	v_fma_f64 v[1:2], -v[12:13], v[1:2], v[24:25]
	v_fma_f64 v[16:17], -v[14:15], v[3:4], v[1:2]
	;; [unrolled: 4-line block ×4, first 2 shown]
	ds_read2_b64 v[1:4], v26 offset0:36 offset1:54
	s_waitcnt lgkmcnt(0)
	v_mul_f64 v[24:25], v[7:8], v[1:2]
	ds_read_b128 v[5:8], v26 offset:352
	s_waitcnt lgkmcnt(0)
	v_fma_f64 v[1:2], -v[24:25], v[5:6], v[16:17]
	v_mul_f64 v[16:17], v[1:2], v[7:8]
	ds_read_b128 v[5:8], v26 offset:416
	s_waitcnt lgkmcnt(0)
	v_fma_f64 v[1:2], -v[24:25], v[5:6], v[10:11]
	v_fma_f64 v[1:2], -v[16:17], v[7:8], v[1:2]
	ds_read_b128 v[5:8], v26 offset:480
	s_waitcnt lgkmcnt(0)
	v_fma_f64 v[5:6], -v[24:25], v[5:6], v[22:23]
	v_fma_f64 v[5:6], -v[16:17], v[7:8], v[5:6]
	v_mul_f64 v[7:8], v[1:2], v[3:4]
	ds_read_b128 v[1:4], v26 offset:496
	s_waitcnt lgkmcnt(0)
	v_fma_f64 v[1:2], -v[7:8], v[1:2], v[5:6]
	v_mul_f64 v[1:2], v[1:2], v[3:4]
	ds_write2_b64 v9, v[18:19], v[20:21] offset1:8
	ds_write2_b64 v9, v[12:13], v[14:15] offset0:16 offset1:24
	ds_write2_b64 v9, v[24:25], v[16:17] offset0:32 offset1:40
	;; [unrolled: 1-line block ×3, first 2 shown]
	s_cmp_lt_i32 s8, s22
	s_cbranch_scc1 .LBB72_13
	s_branch .LBB72_30
.LBB72_12:
	s_mov_b32 s8, 0
	s_cmp_lt_i32 s8, s22
	s_cbranch_scc0 .LBB72_30
.LBB72_13:
	s_or_b32 s4, s8, 3
	s_cmp_ge_u32 s4, s22
	s_cbranch_scc1 .LBB72_24
; %bb.14:
	s_add_i32 s11, s8, -1
	s_lshl_b32 s12, s8, 6
	v_mov_b32_e32 v1, 0x200
	s_bitcmp1_b32 s8, 2
	v_lshl_or_b32 v10, v0, 3, v1
	s_mov_b32 s13, 0
	s_cselect_b64 s[4:5], -1, 0
.LBB72_15:                              ; =>This Loop Header: Depth=1
                                        ;     Child Loop BB72_18 Depth 2
                                        ;     Child Loop BB72_21 Depth 2
	s_lshl_b32 s14, s8, 6
	v_add_u32_e32 v11, s14, v9
	ds_read2_b64 v[1:4], v11 offset1:8
	ds_read2_b64 v[5:8], v11 offset0:16 offset1:24
	s_cmp_eq_u32 s8, 0
	s_cbranch_scc1 .LBB72_22
; %bb.16:                               ;   in Loop: Header=BB72_15 Depth=1
	s_lshl_b32 s15, s13, 2
	s_add_i32 s15, s11, s15
	s_cmp_lt_u32 s15, 7
	s_mov_b32 s15, 0
	s_cbranch_scc1 .LBB72_19
; %bb.17:                               ;   in Loop: Header=BB72_15 Depth=1
	s_and_b32 s15, s8, -8
	s_mov_b32 s16, 0
	v_mov_b32_e32 v12, v10
	s_mov_b32 s17, s12
.LBB72_18:                              ;   Parent Loop BB72_15 Depth=1
                                        ; =>  This Inner Loop Header: Depth=2
	ds_read2_b64 v[13:16], v12 offset1:8
	v_mov_b32_e32 v27, s17
	ds_read2_b64 v[17:20], v12 offset0:16 offset1:24
	ds_read_b128 v[21:24], v27
	s_add_i32 s17, s17, 64
	s_add_i32 s16, s16, 8
	s_cmp_lg_u32 s15, s16
	s_waitcnt lgkmcnt(0)
	v_fma_f64 v[1:2], -v[13:14], v[21:22], v[1:2]
	v_fma_f64 v[25:26], -v[15:16], v[23:24], v[1:2]
	ds_read_b128 v[21:24], v27 offset:64
	s_waitcnt lgkmcnt(0)
	v_fma_f64 v[1:2], -v[13:14], v[21:22], v[3:4]
	v_fma_f64 v[21:22], -v[15:16], v[23:24], v[1:2]
	ds_read_b128 v[1:4], v27 offset:128
	;; [unrolled: 4-line block ×3, first 2 shown]
	s_waitcnt lgkmcnt(0)
	v_fma_f64 v[1:2], -v[13:14], v[1:2], v[7:8]
	v_fma_f64 v[13:14], -v[15:16], v[3:4], v[1:2]
	ds_read2_b64 v[1:4], v12 offset0:32 offset1:40
	ds_read_b128 v[5:8], v27 offset:16
	s_waitcnt lgkmcnt(0)
	v_fma_f64 v[5:6], -v[17:18], v[5:6], v[25:26]
	v_fma_f64 v[25:26], -v[19:20], v[7:8], v[5:6]
	ds_read_b128 v[5:8], v27 offset:80
	s_waitcnt lgkmcnt(0)
	v_fma_f64 v[5:6], -v[17:18], v[5:6], v[21:22]
	v_fma_f64 v[21:22], -v[19:20], v[7:8], v[5:6]
	;; [unrolled: 4-line block ×4, first 2 shown]
	ds_read2_b64 v[5:8], v12 offset0:48 offset1:56
	ds_read_b128 v[13:16], v27 offset:32
	v_add_u32_e32 v12, 0x200, v12
	s_waitcnt lgkmcnt(0)
	v_fma_f64 v[13:14], -v[1:2], v[13:14], v[25:26]
	v_fma_f64 v[19:20], -v[3:4], v[15:16], v[13:14]
	ds_read_b128 v[13:16], v27 offset:96
	s_waitcnt lgkmcnt(0)
	v_fma_f64 v[13:14], -v[1:2], v[13:14], v[21:22]
	v_fma_f64 v[21:22], -v[3:4], v[15:16], v[13:14]
	ds_read_b128 v[13:16], v27 offset:160
	;; [unrolled: 4-line block ×4, first 2 shown]
	ds_read_b128 v[13:16], v27 offset:112
	s_waitcnt lgkmcnt(1)
	v_fma_f64 v[1:2], -v[5:6], v[1:2], v[19:20]
	ds_read_b128 v[17:20], v27 offset:176
	v_fma_f64 v[1:2], -v[7:8], v[3:4], v[1:2]
	s_waitcnt lgkmcnt(1)
	v_fma_f64 v[3:4], -v[5:6], v[13:14], v[21:22]
	v_fma_f64 v[3:4], -v[7:8], v[15:16], v[3:4]
	ds_read_b128 v[13:16], v27 offset:240
	s_waitcnt lgkmcnt(1)
	v_fma_f64 v[17:18], -v[5:6], v[17:18], v[23:24]
	s_waitcnt lgkmcnt(0)
	v_fma_f64 v[13:14], -v[5:6], v[13:14], v[25:26]
	v_fma_f64 v[5:6], -v[7:8], v[19:20], v[17:18]
	;; [unrolled: 1-line block ×3, first 2 shown]
	s_cbranch_scc1 .LBB72_18
.LBB72_19:                              ;   in Loop: Header=BB72_15 Depth=1
	s_bitcmp0_b32 s8, 2
	s_cbranch_scc1 .LBB72_22
; %bb.20:                               ;   in Loop: Header=BB72_15 Depth=1
	v_cndmask_b32_e64 v12, 0, 1, s[4:5]
	v_readfirstlane_b32 s16, v12
	s_lshl_b32 s16, s16, 2
	s_lshl_b32 s17, s15, 3
	v_lshl_add_u32 v12, s15, 6, v10
.LBB72_21:                              ;   Parent Loop BB72_15 Depth=1
                                        ; =>  This Inner Loop Header: Depth=2
	s_add_i32 s15, s12, s17
	v_mov_b32_e32 v17, s15
	ds_read_b64 v[21:22], v12
	ds_read2_b64 v[13:16], v17 offset1:8
	ds_read2_b64 v[17:20], v17 offset0:16 offset1:24
	s_add_i32 s17, s17, 8
	s_add_i32 s16, s16, -1
	s_cmp_lg_u32 s16, 0
	s_waitcnt lgkmcnt(1)
	v_fma_f64 v[1:2], -v[21:22], v[13:14], v[1:2]
	v_fma_f64 v[3:4], -v[21:22], v[15:16], v[3:4]
	s_waitcnt lgkmcnt(0)
	v_fma_f64 v[5:6], -v[21:22], v[17:18], v[5:6]
	v_fma_f64 v[7:8], -v[21:22], v[19:20], v[7:8]
	v_add_u32_e32 v12, 64, v12
	s_cbranch_scc1 .LBB72_21
.LBB72_22:                              ;   in Loop: Header=BB72_15 Depth=1
	s_lshl_b32 s15, s8, 3
	s_add_i32 s16, s15, s14
	v_mov_b32_e32 v12, s16
	ds_read2_b64 v[12:15], v12 offset1:18
	s_or_b32 s16, s14, 64
	s_add_i32 s17, s15, s16
	s_add_i32 s13, s13, 1
	s_addk_i32 s12, 0x100
	s_waitcnt lgkmcnt(0)
	v_mul_f64 v[12:13], v[1:2], v[12:13]
	v_mov_b32_e32 v1, s17
	ds_read_b128 v[16:19], v1
	s_or_b32 s17, s14, 0x80
	s_add_i32 s18, s15, s17
	v_mov_b32_e32 v1, s18
	ds_read_b128 v[20:23], v1
	s_or_b32 s14, s14, 0xc0
	s_waitcnt lgkmcnt(1)
	v_fma_f64 v[1:2], -v[12:13], v[16:17], v[3:4]
	s_add_i32 s15, s15, s14
	v_mov_b32_e32 v16, s15
	s_waitcnt lgkmcnt(0)
	v_fma_f64 v[5:6], -v[12:13], v[20:21], v[5:6]
	s_xor_b64 s[4:5], s[4:5], -1
	v_mul_f64 v[20:21], v[1:2], v[18:19]
	ds_read_b128 v[1:4], v16
	ds_read_b128 v[16:19], v16 offset:16
	ds_write_b64 v11, v[12:13]
	s_waitcnt lgkmcnt(2)
	v_fma_f64 v[1:2], -v[12:13], v[1:2], v[7:8]
	v_fma_f64 v[5:6], -v[20:21], v[22:23], v[5:6]
	;; [unrolled: 1-line block ×3, first 2 shown]
	v_add_u32_e32 v3, s16, v9
	ds_write_b64 v3, v[20:21]
	v_mul_f64 v[5:6], v[5:6], v[14:15]
	v_add_u32_e32 v3, s17, v9
	s_waitcnt lgkmcnt(2)
	v_fma_f64 v[1:2], -v[5:6], v[16:17], v[1:2]
	ds_write_b64 v3, v[5:6]
	v_add_u32_e32 v3, s14, v9
	s_add_i32 s14, s8, 4
	s_add_i32 s8, s8, 7
	s_cmp_lt_i32 s8, s22
	v_mul_f64 v[1:2], v[1:2], v[18:19]
	ds_write_b64 v3, v[1:2]
	s_cbranch_scc0 .LBB72_25
; %bb.23:                               ;   in Loop: Header=BB72_15 Depth=1
	s_mov_b32 s8, s14
	s_branch .LBB72_15
.LBB72_24:
	s_mov_b32 s14, s8
.LBB72_25:
	s_cmp_ge_i32 s14, s22
	s_cbranch_scc1 .LBB72_30
; %bb.26:
	v_mov_b32_e32 v1, 0x200
	s_lshl_b32 s4, s14, 6
	v_lshl_or_b32 v3, v0, 3, v1
	s_branch .LBB72_28
.LBB72_27:                              ;   in Loop: Header=BB72_28 Depth=1
	s_mul_i32 s5, s14, 0x48
	v_mov_b32_e32 v5, s5
	ds_read_b64 v[5:6], v5
	s_add_i32 s14, s14, 1
	s_add_i32 s4, s4, 64
	s_cmp_ge_i32 s14, s22
	s_waitcnt lgkmcnt(0)
	v_mul_f64 v[1:2], v[1:2], v[5:6]
	ds_write_b64 v4, v[1:2]
	s_cbranch_scc1 .LBB72_30
.LBB72_28:                              ; =>This Loop Header: Depth=1
                                        ;     Child Loop BB72_29 Depth 2
	s_lshl_b32 s5, s14, 6
	v_add_u32_e32 v4, s5, v9
	ds_read_b64 v[1:2], v4
	s_cmp_eq_u32 s14, 0
	v_mov_b32_e32 v5, v3
	s_mov_b32 s5, s14
	s_mov_b32 s8, s4
	s_cbranch_scc1 .LBB72_27
.LBB72_29:                              ;   Parent Loop BB72_28 Depth=1
                                        ; =>  This Inner Loop Header: Depth=2
	v_mov_b32_e32 v8, s8
	ds_read_b64 v[6:7], v5
	ds_read_b64 v[10:11], v8
	s_add_i32 s8, s8, 8
	s_add_i32 s5, s5, -1
	s_cmp_lg_u32 s5, 0
	v_add_u32_e32 v5, 64, v5
	s_waitcnt lgkmcnt(0)
	v_fma_f64 v[1:2], -v[6:7], v[10:11], v[1:2]
	s_cbranch_scc1 .LBB72_29
	s_branch .LBB72_27
.LBB72_30:
	s_mov_b64 s[4:5], 0
.LBB72_31:
	s_and_b64 vcc, exec, s[4:5]
	s_cbranch_vccz .LBB72_57
; %bb.32:
	s_add_i32 s4, s22, -1
	s_cmp_gt_i32 s10, 7
	s_mov_b32 s5, -1
	s_cbranch_scc0 .LBB72_34
; %bb.33:
	ds_read2_b64 v[1:4], v9 offset0:48 offset1:56
	v_mov_b32_e32 v30, 0
	ds_read_b128 v[5:8], v30 offset:496
	ds_read_b128 v[10:13], v30 offset:480
	s_waitcnt lgkmcnt(1)
	v_mul_f64 v[22:23], v[3:4], v[7:8]
	v_fma_f64 v[24:25], -v[22:23], v[5:6], v[1:2]
	ds_read2_b64 v[1:4], v9 offset0:32 offset1:40
	ds_read2_b64 v[5:8], v30 offset0:36 offset1:54
	;; [unrolled: 1-line block ×3, first 2 shown]
	ds_read_b128 v[18:21], v30 offset:464
	s_waitcnt lgkmcnt(3)
	v_fma_f64 v[26:27], -v[22:23], v[12:13], v[3:4]
	s_waitcnt lgkmcnt(0)
	v_fma_f64 v[20:21], -v[22:23], v[20:21], v[16:17]
	v_fma_f64 v[18:19], -v[22:23], v[18:19], v[14:15]
	v_mul_f64 v[24:25], v[24:25], v[7:8]
	v_fma_f64 v[7:8], -v[22:23], v[10:11], v[1:2]
	ds_read_b128 v[1:4], v30 offset:416
	ds_read_b128 v[10:13], v30 offset:448
	;; [unrolled: 1-line block ×3, first 2 shown]
	s_waitcnt lgkmcnt(2)
	v_fma_f64 v[26:27], -v[24:25], v[3:4], v[26:27]
	v_fma_f64 v[7:8], -v[24:25], v[1:2], v[7:8]
	ds_read_b128 v[1:4], v30 offset:352
	s_waitcnt lgkmcnt(1)
	v_fma_f64 v[16:17], -v[24:25], v[16:17], v[20:21]
	v_fma_f64 v[14:15], -v[24:25], v[14:15], v[18:19]
	s_waitcnt lgkmcnt(0)
	v_mul_f64 v[26:27], v[26:27], v[3:4]
	v_fma_f64 v[7:8], -v[26:27], v[1:2], v[7:8]
	ds_read2_b64 v[1:4], v9 offset1:8
	s_waitcnt lgkmcnt(0)
	v_fma_f64 v[28:29], -v[22:23], v[12:13], v[3:4]
	v_fma_f64 v[20:21], -v[22:23], v[10:11], v[1:2]
	ds_read_b128 v[1:4], v30 offset:336
	ds_read_b128 v[10:13], v30 offset:384
	v_mul_f64 v[18:19], v[7:8], v[5:6]
	ds_read_b128 v[5:8], v30 offset:320
	s_waitcnt lgkmcnt(2)
	v_fma_f64 v[16:17], -v[26:27], v[3:4], v[16:17]
	s_waitcnt lgkmcnt(1)
	v_fma_f64 v[28:29], -v[24:25], v[12:13], v[28:29]
	v_fma_f64 v[20:21], -v[24:25], v[10:11], v[20:21]
	ds_read_b128 v[10:13], v30 offset:272
	v_fma_f64 v[14:15], -v[26:27], v[1:2], v[14:15]
	ds_read_b128 v[1:4], v30 offset:256
	s_waitcnt lgkmcnt(1)
	v_fma_f64 v[16:17], -v[18:19], v[12:13], v[16:17]
	v_fma_f64 v[28:29], -v[26:27], v[7:8], v[28:29]
	;; [unrolled: 1-line block ×3, first 2 shown]
	ds_read_b128 v[5:8], v30 offset:208
	v_fma_f64 v[14:15], -v[18:19], v[10:11], v[14:15]
	ds_read_b128 v[10:13], v30 offset:192
	s_waitcnt lgkmcnt(1)
	v_mul_f64 v[16:17], v[16:17], v[7:8]
	v_fma_f64 v[7:8], -v[18:19], v[3:4], v[28:29]
	v_fma_f64 v[1:2], -v[18:19], v[1:2], v[20:21]
	;; [unrolled: 1-line block ×3, first 2 shown]
	ds_read2_b64 v[3:6], v30 offset1:18
	s_waitcnt lgkmcnt(1)
	v_fma_f64 v[20:21], -v[16:17], v[12:13], v[7:8]
	v_fma_f64 v[1:2], -v[16:17], v[10:11], v[1:2]
	ds_read_b128 v[10:13], v30 offset:64
	s_waitcnt lgkmcnt(1)
	v_mul_f64 v[14:15], v[14:15], v[5:6]
	ds_read_b128 v[5:8], v30 offset:128
	s_waitcnt lgkmcnt(0)
	v_fma_f64 v[7:8], -v[14:15], v[7:8], v[20:21]
	v_fma_f64 v[1:2], -v[14:15], v[5:6], v[1:2]
	v_mul_f64 v[5:6], v[7:8], v[12:13]
	v_fma_f64 v[1:2], -v[5:6], v[10:11], v[1:2]
	v_mul_f64 v[1:2], v[1:2], v[3:4]
	ds_write2_b64 v9, v[24:25], v[22:23] offset0:48 offset1:56
	ds_write2_b64 v9, v[18:19], v[26:27] offset0:32 offset1:40
	;; [unrolled: 1-line block ×3, first 2 shown]
	ds_write2_b64 v9, v[1:2], v[5:6] offset1:8
	s_cmp_gt_i32 s5, -1
	s_cbranch_scc1 .LBB72_35
	s_branch .LBB72_57
.LBB72_34:
	s_mov_b32 s5, s4
	s_cmp_gt_i32 s5, -1
	s_cbranch_scc0 .LBB72_57
.LBB72_35:
	s_cmp_lt_u32 s5, 3
	s_cbranch_scc1 .LBB72_40
; %bb.36:
	s_lshl_b32 s8, s5, 6
	v_add_u32_e32 v10, s8, v9
	v_subrev_u32_e32 v1, 64, v10
	v_add_u32_e32 v2, 0xffffff80, v10
	v_add_u32_e32 v11, 0xffffff40, v10
	ds_read_b64 v[7:8], v10
	ds_read_b64 v[5:6], v1
	;; [unrolled: 1-line block ×4, first 2 shown]
	s_cmp_le_i32 s4, s5
	s_cbranch_scc1 .LBB72_39
; %bb.37:
	s_lshl_b32 s10, s22, 6
	s_lshl_b32 s11, s5, 3
	v_lshl_or_b32 v11, v0, 3, s10
	s_add_i32 s10, s10, s11
	v_add_u32_e32 v11, 0x1c0, v11
	s_addk_i32 s10, 0xffa8
	s_mov_b32 s11, s4
.LBB72_38:                              ; =>This Inner Loop Header: Depth=1
	v_mov_b32_e32 v16, s10
	ds_read_b64 v[20:21], v11
	ds_read2_b64 v[12:15], v16 offset0:2 offset1:3
	ds_read2_b64 v[16:19], v16 offset1:1
	s_add_i32 s11, s11, -1
	s_sub_i32 s10, s10, 64
	s_cmp_gt_i32 s11, s5
	s_waitcnt lgkmcnt(1)
	v_fma_f64 v[7:8], -v[20:21], v[14:15], v[7:8]
	v_fma_f64 v[5:6], -v[20:21], v[12:13], v[5:6]
	s_waitcnt lgkmcnt(0)
	v_fma_f64 v[3:4], -v[20:21], v[18:19], v[3:4]
	v_fma_f64 v[1:2], -v[20:21], v[16:17], v[1:2]
	v_subrev_u32_e32 v11, 64, v11
	s_cbranch_scc1 .LBB72_38
.LBB72_39:
	s_add_i32 s10, s5, -1
	s_lshl_b32 s11, s10, 3
	s_add_i32 s12, s11, s8
	v_mov_b32_e32 v11, s12
	ds_read2_b64 v[11:14], v11 offset1:1
	s_lshl_b32 s10, s10, 6
	s_add_i32 s11, s11, s10
	v_mov_b32_e32 v15, s11
	ds_read_b64 v[15:16], v15
	s_waitcnt lgkmcnt(1)
	v_mul_f64 v[17:18], v[7:8], v[13:14]
	s_add_i32 s11, s5, -3
	s_lshl_b32 s12, s11, 3
	s_add_i32 s13, s12, s8
	s_addk_i32 s8, 0xff80
	s_lshl_b32 s11, s11, 6
	s_add_i32 s5, s5, -4
	v_fma_f64 v[19:20], -v[17:18], v[11:12], v[5:6]
	v_mov_b32_e32 v5, s13
	ds_read2_b64 v[5:8], v5 offset1:1
	s_add_i32 s13, s12, s10
	v_mov_b32_e32 v11, s13
	ds_read2_b64 v[11:14], v11 offset1:1
	s_add_i32 s13, s12, s8
	s_waitcnt lgkmcnt(1)
	v_fma_f64 v[3:4], -v[17:18], v[7:8], v[3:4]
	v_mul_f64 v[7:8], v[19:20], v[15:16]
	v_fma_f64 v[5:6], -v[17:18], v[5:6], v[1:2]
	v_mov_b32_e32 v1, s13
	s_add_i32 s12, s12, s11
	v_mov_b32_e32 v15, s12
	ds_read_b64 v[15:16], v15
	s_waitcnt lgkmcnt(1)
	v_fma_f64 v[13:14], -v[7:8], v[13:14], v[3:4]
	ds_read2_b64 v[1:4], v1 offset1:1
	v_fma_f64 v[5:6], -v[7:8], v[11:12], v[5:6]
	v_add_u32_e32 v11, s11, v9
	s_waitcnt lgkmcnt(0)
	v_mul_f64 v[3:4], v[13:14], v[3:4]
	v_fma_f64 v[1:2], -v[3:4], v[1:2], v[5:6]
	v_add_u32_e32 v5, s8, v9
	v_add_u32_e32 v6, s10, v9
	v_mul_f64 v[1:2], v[1:2], v[15:16]
	ds_write_b64 v10, v[17:18]
	ds_write_b64 v6, v[7:8]
	ds_write_b64 v5, v[3:4]
	ds_write_b64 v11, v[1:2]
.LBB72_40:
	s_cmp_lt_i32 s5, 0
	s_cbranch_scc1 .LBB72_57
; %bb.41:
	s_and_b32 s8, s5, 3
	s_cmp_eq_u32 s8, 3
	s_mov_b32 s8, s5
	s_cbranch_scc1 .LBB72_46
; %bb.42:
	s_add_i32 s8, s5, 1
	s_and_b32 s10, s8, 3
	s_lshl_b32 s8, s22, 6
	s_lshl_b32 s11, s5, 3
	s_add_i32 s11, s8, s11
	v_lshl_or_b32 v1, v0, 3, s8
	s_sub_i32 s11, s11, 64
	v_add_u32_e32 v3, 0x1c0, v1
	s_mov_b32 s12, 0
	s_mov_b32 s8, s5
	s_branch .LBB72_44
.LBB72_43:                              ;   in Loop: Header=BB72_44 Depth=1
	s_mul_i32 s13, s8, 0x48
	v_mov_b32_e32 v5, s13
	ds_read_b64 v[5:6], v5
	s_add_i32 s8, s8, -1
	s_add_i32 s12, s12, 1
	s_add_i32 s11, s11, -8
	s_cmp_lg_u32 s12, s10
	s_waitcnt lgkmcnt(0)
	v_mul_f64 v[1:2], v[1:2], v[5:6]
	ds_write_b64 v4, v[1:2]
	s_cbranch_scc0 .LBB72_46
.LBB72_44:                              ; =>This Loop Header: Depth=1
                                        ;     Child Loop BB72_45 Depth 2
	s_lshl_b32 s13, s8, 6
	v_add_u32_e32 v4, s13, v9
	ds_read_b64 v[1:2], v4
	s_cmp_le_i32 s4, s8
	v_mov_b32_e32 v5, v3
	s_mov_b32 s13, s11
	s_mov_b32 s14, s4
	s_cbranch_scc1 .LBB72_43
.LBB72_45:                              ;   Parent Loop BB72_44 Depth=1
                                        ; =>  This Inner Loop Header: Depth=2
	v_mov_b32_e32 v8, s13
	ds_read_b64 v[6:7], v5
	ds_read_b64 v[10:11], v8
	s_add_i32 s14, s14, -1
	s_sub_i32 s13, s13, 64
	s_cmp_gt_i32 s14, s8
	v_subrev_u32_e32 v5, 64, v5
	s_waitcnt lgkmcnt(0)
	v_fma_f64 v[1:2], -v[6:7], v[10:11], v[1:2]
	s_cbranch_scc1 .LBB72_45
	s_branch .LBB72_43
.LBB72_46:
	s_cmp_lt_u32 s5, 3
	s_cbranch_scc1 .LBB72_57
; %bb.47:
	s_lshl_b32 s10, s22, 6
	s_lshl_b32 s5, s8, 3
	s_add_i32 s12, s10, s5
	v_lshl_or_b32 v1, v0, 3, s10
	s_sub_i32 s5, s12, 64
	v_add_u32_e32 v5, 0x1c0, v1
	s_add_i32 s10, s12, 0xffffffb8
	s_add_i32 s11, s12, 0xffffffb0
	s_addk_i32 s12, 0xffa8
	s_branch .LBB72_49
.LBB72_48:                              ;   in Loop: Header=BB72_49 Depth=1
	s_addk_i32 s13, 0xffb8
	v_mov_b32_e32 v3, s13
	ds_read_b64 v[3:4], v3
	s_add_i32 s13, s8, -4
	s_sub_i32 s5, s5, 32
	s_sub_i32 s10, s10, 32
	;; [unrolled: 1-line block ×3, first 2 shown]
	s_waitcnt lgkmcnt(0)
	v_mul_f64 v[1:2], v[1:2], v[3:4]
	s_sub_i32 s12, s12, 32
	s_cmp_lt_i32 s8, 4
	s_mov_b32 s8, s13
	ds_write_b64 v6, v[1:2]
	s_cbranch_scc1 .LBB72_57
.LBB72_49:                              ; =>This Loop Header: Depth=1
                                        ;     Child Loop BB72_50 Depth 2
                                        ;     Child Loop BB72_52 Depth 2
	;; [unrolled: 1-line block ×4, first 2 shown]
	s_lshl_b32 s14, s8, 6
	v_add_u32_e32 v7, s14, v9
	ds_read_b64 v[3:4], v7
	s_cmp_le_i32 s4, s8
	v_mov_b32_e32 v1, v5
	s_mov_b32 s13, s5
	s_mov_b32 s15, s4
	s_cbranch_scc1 .LBB72_51
.LBB72_50:                              ;   Parent Loop BB72_49 Depth=1
                                        ; =>  This Inner Loop Header: Depth=2
	v_mov_b32_e32 v2, s13
	ds_read_b64 v[10:11], v1
	ds_read_b64 v[12:13], v2
	s_add_i32 s15, s15, -1
	s_sub_i32 s13, s13, 64
	s_cmp_gt_i32 s15, s8
	v_subrev_u32_e32 v1, 64, v1
	s_waitcnt lgkmcnt(0)
	v_fma_f64 v[3:4], -v[10:11], v[12:13], v[3:4]
	s_cbranch_scc1 .LBB72_50
.LBB72_51:                              ;   in Loop: Header=BB72_49 Depth=1
	s_mul_i32 s13, s8, 0x48
	v_mov_b32_e32 v1, s13
	ds_read_b64 v[10:11], v1
	s_sub_i32 s14, s14, 64
	v_add_u32_e32 v6, s14, v9
	ds_read_b64 v[1:2], v6
	s_mov_b32 s14, s10
	s_waitcnt lgkmcnt(1)
	v_mul_f64 v[10:11], v[3:4], v[10:11]
	v_mov_b32_e32 v3, v5
	s_cmp_le_i32 s22, s8
	s_mov_b32 s15, s22
	ds_write_b64 v7, v[10:11]
	s_cbranch_scc1 .LBB72_53
.LBB72_52:                              ;   Parent Loop BB72_49 Depth=1
                                        ; =>  This Inner Loop Header: Depth=2
	v_mov_b32_e32 v4, s14
	ds_read_b64 v[7:8], v3
	ds_read_b64 v[10:11], v4
	s_add_i32 s15, s15, -1
	s_sub_i32 s14, s14, 64
	s_cmp_gt_i32 s15, s8
	v_subrev_u32_e32 v3, 64, v3
	s_waitcnt lgkmcnt(0)
	v_fma_f64 v[1:2], -v[7:8], v[10:11], v[1:2]
	s_cbranch_scc1 .LBB72_52
.LBB72_53:                              ;   in Loop: Header=BB72_49 Depth=1
	s_addk_i32 s13, 0xffb8
	v_mov_b32_e32 v3, s13
	ds_read_b64 v[10:11], v3
	s_add_i32 s14, s8, -2
	s_lshl_b32 s15, s14, 6
	v_add_u32_e32 v7, s15, v9
	ds_read_b64 v[3:4], v7
	s_waitcnt lgkmcnt(1)
	v_mul_f64 v[10:11], v[1:2], v[10:11]
	v_mov_b32_e32 v1, v5
	s_mov_b32 s15, s11
	s_cmp_le_i32 s4, s14
	s_mov_b32 s16, s4
	ds_write_b64 v6, v[10:11]
	s_cbranch_scc1 .LBB72_55
.LBB72_54:                              ;   Parent Loop BB72_49 Depth=1
                                        ; =>  This Inner Loop Header: Depth=2
	v_mov_b32_e32 v2, s15
	ds_read_b64 v[10:11], v1
	ds_read_b64 v[12:13], v2
	s_add_i32 s16, s16, -1
	s_sub_i32 s15, s15, 64
	s_cmp_gt_i32 s16, s14
	v_subrev_u32_e32 v1, 64, v1
	s_waitcnt lgkmcnt(0)
	v_fma_f64 v[3:4], -v[10:11], v[12:13], v[3:4]
	s_cbranch_scc1 .LBB72_54
.LBB72_55:                              ;   in Loop: Header=BB72_49 Depth=1
	s_addk_i32 s13, 0xffb8
	v_mov_b32_e32 v1, s13
	ds_read_b64 v[10:11], v1
	s_add_i32 s14, s8, -3
	s_lshl_b32 s15, s14, 6
	v_add_u32_e32 v6, s15, v9
	ds_read_b64 v[1:2], v6
	s_waitcnt lgkmcnt(1)
	v_mul_f64 v[10:11], v[3:4], v[10:11]
	v_mov_b32_e32 v3, v5
	s_mov_b32 s15, s12
	s_cmp_le_i32 s4, s14
	s_mov_b32 s16, s4
	ds_write_b64 v7, v[10:11]
	s_cbranch_scc1 .LBB72_48
.LBB72_56:                              ;   Parent Loop BB72_49 Depth=1
                                        ; =>  This Inner Loop Header: Depth=2
	v_mov_b32_e32 v4, s15
	ds_read_b64 v[7:8], v3
	ds_read_b64 v[10:11], v4
	s_add_i32 s16, s16, -1
	s_sub_i32 s15, s15, 64
	s_cmp_gt_i32 s16, s14
	v_subrev_u32_e32 v3, 64, v3
	s_waitcnt lgkmcnt(0)
	v_fma_f64 v[1:2], -v[7:8], v[10:11], v[1:2]
	s_cbranch_scc1 .LBB72_56
	s_branch .LBB72_48
.LBB72_57:
	s_waitcnt lgkmcnt(0)
	; wave barrier
	s_and_saveexec_b64 s[4:5], s[0:1]
	s_cbranch_execz .LBB72_61
; %bb.58:
	s_andn2_b64 vcc, exec, s[2:3]
	s_cbranch_vccnz .LBB72_61
; %bb.59:
	v_mad_i64_i32 v[1:2], s[0:1], s9, v0, 0
	v_mov_b32_e32 v3, s7
	v_lshlrev_b64 v[1:2], 3, v[1:2]
	v_add_co_u32_e32 v1, vcc, s6, v1
	v_addc_co_u32_e32 v2, vcc, v3, v2, vcc
	v_mov_b32_e32 v3, 0x200
	v_lshl_or_b32 v0, v0, 3, v3
.LBB72_60:                              ; =>This Inner Loop Header: Depth=1
	ds_read_b64 v[3:4], v0
	s_add_i32 s22, s22, -1
	v_add_u32_e32 v0, 64, v0
	s_cmp_lg_u32 s22, 0
	s_waitcnt lgkmcnt(0)
	global_store_dwordx2 v[1:2], v[3:4], off
	v_add_co_u32_e32 v1, vcc, 8, v1
	v_addc_co_u32_e32 v2, vcc, 0, v2, vcc
	s_cbranch_scc1 .LBB72_60
.LBB72_61:
	s_endpgm
	.section	.rodata,"a",@progbits
	.p2align	6, 0x0
	.amdhsa_kernel _ZL38rocblas_trsm_small_left_device_sharedBILi8ELi8ELb0EddPKdPdEv13rocblas_fill_18rocblas_operation_17rocblas_diagonal_iiT3_T4_lilT5_lili
		.amdhsa_group_segment_fixed_size 1024
		.amdhsa_private_segment_fixed_size 0
		.amdhsa_kernarg_size 360
		.amdhsa_user_sgpr_count 6
		.amdhsa_user_sgpr_private_segment_buffer 1
		.amdhsa_user_sgpr_dispatch_ptr 0
		.amdhsa_user_sgpr_queue_ptr 0
		.amdhsa_user_sgpr_kernarg_segment_ptr 1
		.amdhsa_user_sgpr_dispatch_id 0
		.amdhsa_user_sgpr_flat_scratch_init 0
		.amdhsa_user_sgpr_private_segment_size 0
		.amdhsa_uses_dynamic_stack 0
		.amdhsa_system_sgpr_private_segment_wavefront_offset 0
		.amdhsa_system_sgpr_workgroup_id_x 1
		.amdhsa_system_sgpr_workgroup_id_y 0
		.amdhsa_system_sgpr_workgroup_id_z 1
		.amdhsa_system_sgpr_workgroup_info 0
		.amdhsa_system_vgpr_workitem_id 0
		.amdhsa_next_free_vgpr 31
		.amdhsa_next_free_sgpr 26
		.amdhsa_reserve_vcc 1
		.amdhsa_reserve_flat_scratch 0
		.amdhsa_float_round_mode_32 0
		.amdhsa_float_round_mode_16_64 0
		.amdhsa_float_denorm_mode_32 3
		.amdhsa_float_denorm_mode_16_64 3
		.amdhsa_dx10_clamp 1
		.amdhsa_ieee_mode 1
		.amdhsa_fp16_overflow 0
		.amdhsa_exception_fp_ieee_invalid_op 0
		.amdhsa_exception_fp_denorm_src 0
		.amdhsa_exception_fp_ieee_div_zero 0
		.amdhsa_exception_fp_ieee_overflow 0
		.amdhsa_exception_fp_ieee_underflow 0
		.amdhsa_exception_fp_ieee_inexact 0
		.amdhsa_exception_int_div_zero 0
	.end_amdhsa_kernel
	.section	.text._ZL38rocblas_trsm_small_left_device_sharedBILi8ELi8ELb0EddPKdPdEv13rocblas_fill_18rocblas_operation_17rocblas_diagonal_iiT3_T4_lilT5_lili,"axG",@progbits,_ZL38rocblas_trsm_small_left_device_sharedBILi8ELi8ELb0EddPKdPdEv13rocblas_fill_18rocblas_operation_17rocblas_diagonal_iiT3_T4_lilT5_lili,comdat
.Lfunc_end72:
	.size	_ZL38rocblas_trsm_small_left_device_sharedBILi8ELi8ELb0EddPKdPdEv13rocblas_fill_18rocblas_operation_17rocblas_diagonal_iiT3_T4_lilT5_lili, .Lfunc_end72-_ZL38rocblas_trsm_small_left_device_sharedBILi8ELi8ELb0EddPKdPdEv13rocblas_fill_18rocblas_operation_17rocblas_diagonal_iiT3_T4_lilT5_lili
                                        ; -- End function
	.set _ZL38rocblas_trsm_small_left_device_sharedBILi8ELi8ELb0EddPKdPdEv13rocblas_fill_18rocblas_operation_17rocblas_diagonal_iiT3_T4_lilT5_lili.num_vgpr, 31
	.set _ZL38rocblas_trsm_small_left_device_sharedBILi8ELi8ELb0EddPKdPdEv13rocblas_fill_18rocblas_operation_17rocblas_diagonal_iiT3_T4_lilT5_lili.num_agpr, 0
	.set _ZL38rocblas_trsm_small_left_device_sharedBILi8ELi8ELb0EddPKdPdEv13rocblas_fill_18rocblas_operation_17rocblas_diagonal_iiT3_T4_lilT5_lili.numbered_sgpr, 26
	.set _ZL38rocblas_trsm_small_left_device_sharedBILi8ELi8ELb0EddPKdPdEv13rocblas_fill_18rocblas_operation_17rocblas_diagonal_iiT3_T4_lilT5_lili.num_named_barrier, 0
	.set _ZL38rocblas_trsm_small_left_device_sharedBILi8ELi8ELb0EddPKdPdEv13rocblas_fill_18rocblas_operation_17rocblas_diagonal_iiT3_T4_lilT5_lili.private_seg_size, 0
	.set _ZL38rocblas_trsm_small_left_device_sharedBILi8ELi8ELb0EddPKdPdEv13rocblas_fill_18rocblas_operation_17rocblas_diagonal_iiT3_T4_lilT5_lili.uses_vcc, 1
	.set _ZL38rocblas_trsm_small_left_device_sharedBILi8ELi8ELb0EddPKdPdEv13rocblas_fill_18rocblas_operation_17rocblas_diagonal_iiT3_T4_lilT5_lili.uses_flat_scratch, 0
	.set _ZL38rocblas_trsm_small_left_device_sharedBILi8ELi8ELb0EddPKdPdEv13rocblas_fill_18rocblas_operation_17rocblas_diagonal_iiT3_T4_lilT5_lili.has_dyn_sized_stack, 0
	.set _ZL38rocblas_trsm_small_left_device_sharedBILi8ELi8ELb0EddPKdPdEv13rocblas_fill_18rocblas_operation_17rocblas_diagonal_iiT3_T4_lilT5_lili.has_recursion, 0
	.set _ZL38rocblas_trsm_small_left_device_sharedBILi8ELi8ELb0EddPKdPdEv13rocblas_fill_18rocblas_operation_17rocblas_diagonal_iiT3_T4_lilT5_lili.has_indirect_call, 0
	.section	.AMDGPU.csdata,"",@progbits
; Kernel info:
; codeLenInByte = 4444
; TotalNumSgprs: 30
; NumVgprs: 31
; ScratchSize: 0
; MemoryBound: 0
; FloatMode: 240
; IeeeMode: 1
; LDSByteSize: 1024 bytes/workgroup (compile time only)
; SGPRBlocks: 3
; VGPRBlocks: 7
; NumSGPRsForWavesPerEU: 30
; NumVGPRsForWavesPerEU: 31
; Occupancy: 8
; WaveLimiterHint : 0
; COMPUTE_PGM_RSRC2:SCRATCH_EN: 0
; COMPUTE_PGM_RSRC2:USER_SGPR: 6
; COMPUTE_PGM_RSRC2:TRAP_HANDLER: 0
; COMPUTE_PGM_RSRC2:TGID_X_EN: 1
; COMPUTE_PGM_RSRC2:TGID_Y_EN: 0
; COMPUTE_PGM_RSRC2:TGID_Z_EN: 1
; COMPUTE_PGM_RSRC2:TIDIG_COMP_CNT: 0
	.section	.text._ZL30rocblas_trsm_small_left_deviceILi8ELi8ELb0EddPKdPdEv13rocblas_fill_18rocblas_operation_17rocblas_diagonal_iiT3_T4_lilT5_lili,"axG",@progbits,_ZL30rocblas_trsm_small_left_deviceILi8ELi8ELb0EddPKdPdEv13rocblas_fill_18rocblas_operation_17rocblas_diagonal_iiT3_T4_lilT5_lili,comdat
	.globl	_ZL30rocblas_trsm_small_left_deviceILi8ELi8ELb0EddPKdPdEv13rocblas_fill_18rocblas_operation_17rocblas_diagonal_iiT3_T4_lilT5_lili ; -- Begin function _ZL30rocblas_trsm_small_left_deviceILi8ELi8ELb0EddPKdPdEv13rocblas_fill_18rocblas_operation_17rocblas_diagonal_iiT3_T4_lilT5_lili
	.p2align	8
	.type	_ZL30rocblas_trsm_small_left_deviceILi8ELi8ELb0EddPKdPdEv13rocblas_fill_18rocblas_operation_17rocblas_diagonal_iiT3_T4_lilT5_lili,@function
_ZL30rocblas_trsm_small_left_deviceILi8ELi8ELb0EddPKdPdEv13rocblas_fill_18rocblas_operation_17rocblas_diagonal_iiT3_T4_lilT5_lili: ; @_ZL30rocblas_trsm_small_left_deviceILi8ELi8ELb0EddPKdPdEv13rocblas_fill_18rocblas_operation_17rocblas_diagonal_iiT3_T4_lilT5_lili
; %bb.0:
	s_load_dwordx4 s[8:11], s[4:5], 0x4
	s_load_dwordx4 s[0:3], s[4:5], 0x18
	s_load_dwordx2 s[20:21], s[4:5], 0x28
	s_load_dwordx4 s[12:15], s[4:5], 0x38
	s_load_dwordx2 s[16:17], s[4:5], 0x48
	s_waitcnt lgkmcnt(0)
	s_min_i32 s22, s10, 8
	v_cmp_gt_i32_e32 vcc, s22, v0
	s_and_saveexec_b64 s[18:19], vcc
	s_cbranch_execz .LBB73_6
; %bb.1:
	s_load_dword s24, s[4:5], 0x30
	s_mul_i32 s13, s13, s7
	s_mul_hi_u32 s23, s12, s7
	s_mul_i32 s12, s12, s7
	s_add_i32 s13, s23, s13
	s_waitcnt lgkmcnt(0)
	s_ashr_i32 s25, s24, 31
	s_lshl_b64 s[12:13], s[12:13], 3
	s_add_u32 s12, s2, s12
	s_addc_u32 s13, s3, s13
	s_lshl_b64 s[2:3], s[20:21], 3
	s_add_u32 s2, s12, s2
	s_addc_u32 s3, s13, s3
	v_lshlrev_b32_e32 v3, 3, v0
	v_mov_b32_e32 v2, s3
	v_add_co_u32_e32 v1, vcc, s2, v3
	s_lshl_b64 s[2:3], s[24:25], 3
	v_addc_co_u32_e32 v2, vcc, 0, v2, vcc
	v_mov_b32_e32 v4, s3
	v_mov_b32_e32 v5, v3
	s_mov_b32 s3, s22
.LBB73_2:                               ; =>This Inner Loop Header: Depth=1
	global_load_dwordx2 v[6:7], v[1:2], off
	v_add_co_u32_e32 v1, vcc, s2, v1
	s_add_i32 s3, s3, -1
	v_addc_co_u32_e32 v2, vcc, v2, v4, vcc
	s_cmp_eq_u32 s3, 0
	s_waitcnt vmcnt(0)
	ds_write_b64 v5, v[6:7]
	v_add_u32_e32 v5, 64, v5
	s_cbranch_scc0 .LBB73_2
; %bb.3:
	v_lshlrev_b32_e32 v4, 6, v0
	v_mov_b32_e32 v1, 0
	s_cmpk_lg_i32 s9, 0x84
	v_mov_b32_e32 v2, 0x3ff00000
	v_add_u32_e32 v3, v3, v4
	s_cbranch_scc0 .LBB73_5
; %bb.4:
	ds_read_b64 v[1:2], v3
	s_waitcnt lgkmcnt(0)
	v_div_scale_f64 v[4:5], s[2:3], v[1:2], v[1:2], 1.0
	v_div_scale_f64 v[10:11], vcc, 1.0, v[1:2], 1.0
	v_rcp_f64_e32 v[6:7], v[4:5]
	v_fma_f64 v[8:9], -v[4:5], v[6:7], 1.0
	v_fma_f64 v[6:7], v[6:7], v[8:9], v[6:7]
	v_fma_f64 v[8:9], -v[4:5], v[6:7], 1.0
	v_fma_f64 v[6:7], v[6:7], v[8:9], v[6:7]
	v_mul_f64 v[8:9], v[10:11], v[6:7]
	v_fma_f64 v[4:5], -v[4:5], v[8:9], v[10:11]
	v_div_fmas_f64 v[4:5], v[4:5], v[6:7], v[8:9]
	v_div_fixup_f64 v[1:2], v[4:5], v[1:2], 1.0
.LBB73_5:
	ds_write_b64 v3, v[1:2]
.LBB73_6:
	s_or_b64 exec, exec, s[18:19]
	s_load_dword s2, s[4:5], 0x68
	s_waitcnt lgkmcnt(0)
	; wave barrier
	s_add_i32 s3, s2, -1
	s_lshl_b32 s2, s6, 3
	s_sub_i32 s9, s11, s2
	s_cmp_ge_u32 s6, s3
	s_cselect_b32 s3, s9, 8
	v_cmp_gt_i32_e32 vcc, s3, v0
	s_and_saveexec_b64 s[12:13], vcc
	s_cbranch_execz .LBB73_57
; %bb.7:
	s_load_dwordx2 s[12:13], s[4:5], 0x58
	s_load_dword s6, s[4:5], 0x50
	v_add_u32_e32 v0, s2, v0
	s_waitcnt lgkmcnt(0)
	s_mul_i32 s3, s13, s7
	s_mul_hi_u32 s4, s12, s7
	s_mul_i32 s2, s12, s7
	s_add_i32 s3, s4, s3
	s_lshl_b64 s[4:5], s[2:3], 3
	v_mad_i64_i32 v[0:1], s[2:3], s6, v0, 0
	s_add_u32 s9, s14, s4
	s_addc_u32 s11, s15, s5
	s_lshl_b64 s[6:7], s[16:17], 3
	s_add_u32 s2, s9, s6
	v_lshlrev_b64 v[2:3], 3, v[0:1]
	s_addc_u32 s3, s11, s7
	v_mov_b32_e32 v1, s3
	v_add_co_u32_e32 v0, vcc, s2, v2
	v_addc_co_u32_e32 v1, vcc, v1, v3, vcc
	s_cmpk_eq_i32 s8, 0x6f
	s_mov_b64 s[2:3], -1
	s_cbranch_scc1 .LBB73_31
; %bb.8:
	s_cmp_gt_i32 s10, 7
	s_cbranch_scc0 .LBB73_10
; %bb.9:
	global_load_dwordx4 v[4:7], v[0:1], off
	global_load_dwordx4 v[8:11], v[0:1], off offset:16
	v_mov_b32_e32 v36, 0
	ds_read2_b64 v[12:15], v36 offset1:18
	ds_read_b128 v[16:19], v36 offset:64
	ds_read_b128 v[20:23], v36 offset:128
	s_mov_b32 s2, 8
	ds_read_b128 v[24:27], v36 offset:320
	ds_read_b128 v[28:31], v36 offset:448
	s_waitcnt vmcnt(1)
	v_mul_f64 v[4:5], s[0:1], v[4:5]
	s_waitcnt lgkmcnt(4)
	v_mul_f64 v[4:5], v[4:5], v[12:13]
	s_waitcnt lgkmcnt(3)
	v_mul_f64 v[12:13], v[4:5], v[16:17]
	v_fma_f64 v[12:13], s[0:1], v[6:7], -v[12:13]
	s_waitcnt lgkmcnt(2)
	v_mul_f64 v[6:7], v[4:5], v[20:21]
	s_waitcnt vmcnt(0)
	v_fma_f64 v[20:21], s[0:1], v[8:9], -v[6:7]
	ds_read_b128 v[6:9], v36 offset:192
	s_waitcnt lgkmcnt(0)
	v_mul_f64 v[6:7], v[4:5], v[6:7]
	v_fma_f64 v[32:33], s[0:1], v[10:11], -v[6:7]
	v_mul_f64 v[6:7], v[12:13], v[18:19]
	global_load_dwordx4 v[16:19], v[0:1], off offset:32
	ds_read_b128 v[10:13], v36 offset:256
	s_waitcnt lgkmcnt(0)
	v_mul_f64 v[10:11], v[4:5], v[10:11]
	v_fma_f64 v[34:35], -v[6:7], v[22:23], v[20:21]
	global_load_dwordx4 v[20:23], v[0:1], off offset:48
	s_waitcnt vmcnt(1)
	v_fma_f64 v[10:11], s[0:1], v[16:17], -v[10:11]
	v_mul_f64 v[16:17], v[4:5], v[24:25]
	v_fma_f64 v[24:25], s[0:1], v[18:19], -v[16:17]
	ds_read_b128 v[16:19], v36 offset:384
	s_waitcnt lgkmcnt(0)
	v_mul_f64 v[16:17], v[4:5], v[16:17]
	v_fma_f64 v[24:25], -v[6:7], v[26:27], v[24:25]
	s_waitcnt vmcnt(0)
	v_fma_f64 v[16:17], s[0:1], v[20:21], -v[16:17]
	v_mul_f64 v[20:21], v[4:5], v[28:29]
	v_fma_f64 v[28:29], -v[6:7], v[12:13], v[10:11]
	ds_read_b128 v[10:13], v36 offset:208
	v_fma_f64 v[26:27], -v[6:7], v[18:19], v[16:17]
	v_fma_f64 v[20:21], s[0:1], v[22:23], -v[20:21]
	v_fma_f64 v[22:23], -v[6:7], v[8:9], v[32:33]
	v_mul_f64 v[8:9], v[34:35], v[14:15]
	ds_read_b128 v[16:19], v36 offset:336
	v_fma_f64 v[20:21], -v[6:7], v[30:31], v[20:21]
	s_waitcnt lgkmcnt(1)
	v_fma_f64 v[10:11], -v[8:9], v[10:11], v[22:23]
	s_waitcnt lgkmcnt(0)
	v_fma_f64 v[16:17], -v[8:9], v[16:17], v[24:25]
	v_mul_f64 v[10:11], v[10:11], v[12:13]
	ds_read_b128 v[12:15], v36 offset:272
	v_fma_f64 v[24:25], -v[10:11], v[18:19], v[16:17]
	ds_read_b128 v[16:19], v36 offset:464
	s_waitcnt lgkmcnt(1)
	v_fma_f64 v[12:13], -v[8:9], v[12:13], v[28:29]
	s_waitcnt lgkmcnt(0)
	v_fma_f64 v[20:21], -v[8:9], v[16:17], v[20:21]
	v_fma_f64 v[22:23], -v[10:11], v[14:15], v[12:13]
	ds_read_b128 v[12:15], v36 offset:400
	s_waitcnt lgkmcnt(0)
	v_fma_f64 v[12:13], -v[8:9], v[12:13], v[26:27]
	v_fma_f64 v[26:27], -v[10:11], v[14:15], v[12:13]
	ds_read2_b64 v[12:15], v36 offset0:36 offset1:54
	s_waitcnt lgkmcnt(0)
	v_mul_f64 v[16:17], v[22:23], v[12:13]
	v_fma_f64 v[12:13], -v[10:11], v[18:19], v[20:21]
	ds_read_b128 v[18:21], v36 offset:352
	s_waitcnt lgkmcnt(0)
	v_fma_f64 v[18:19], -v[16:17], v[18:19], v[24:25]
	v_mul_f64 v[18:19], v[18:19], v[20:21]
	ds_read_b128 v[20:23], v36 offset:416
	s_waitcnt lgkmcnt(0)
	v_fma_f64 v[20:21], -v[16:17], v[20:21], v[26:27]
	v_fma_f64 v[24:25], -v[18:19], v[22:23], v[20:21]
	ds_read_b128 v[20:23], v36 offset:480
	s_waitcnt lgkmcnt(0)
	v_fma_f64 v[12:13], -v[16:17], v[20:21], v[12:13]
	v_fma_f64 v[26:27], -v[18:19], v[22:23], v[12:13]
	v_mul_f64 v[12:13], v[24:25], v[14:15]
	ds_read_b128 v[20:23], v36 offset:496
	s_waitcnt lgkmcnt(0)
	v_fma_f64 v[14:15], -v[12:13], v[20:21], v[26:27]
	v_mul_f64 v[14:15], v[14:15], v[22:23]
	global_store_dwordx4 v[0:1], v[4:7], off
	global_store_dwordx4 v[0:1], v[8:11], off offset:16
	global_store_dwordx4 v[0:1], v[16:19], off offset:32
	;; [unrolled: 1-line block ×3, first 2 shown]
	s_cmp_lt_i32 s2, s22
	s_cbranch_scc1 .LBB73_11
	s_branch .LBB73_30
.LBB73_10:
	s_mov_b32 s2, 0
	s_cmp_lt_i32 s2, s22
	s_cbranch_scc0 .LBB73_30
.LBB73_11:
	s_or_b32 s3, s2, 3
	s_cmp_ge_u32 s3, s22
	s_cbranch_scc1 .LBB73_24
; %bb.12:
	s_add_i32 s8, s2, -1
	s_lshl_b32 s9, s2, 6
	s_add_u32 s3, s14, s6
	s_addc_u32 s6, s15, s7
	s_add_u32 s3, s3, s4
	s_addc_u32 s4, s6, s5
	v_mov_b32_e32 v4, s4
	v_add_co_u32_e32 v16, vcc, s3, v2
	v_addc_co_u32_e32 v17, vcc, v4, v3, vcc
	v_add_co_u32_e32 v2, vcc, 56, v16
	s_bitcmp1_b32 s2, 2
	v_addc_co_u32_e32 v3, vcc, 0, v17, vcc
	s_cselect_b64 s[4:5], -1, 0
	s_mov_b32 s3, 0
	s_mov_b32 s11, 0
.LBB73_13:                              ; =>This Loop Header: Depth=1
                                        ;     Child Loop BB73_16 Depth 2
                                        ;     Child Loop BB73_19 Depth 2
	s_lshl_b64 s[6:7], s[2:3], 3
	v_mov_b32_e32 v5, s7
	v_add_co_u32_e32 v4, vcc, s6, v0
	v_addc_co_u32_e32 v5, vcc, v1, v5, vcc
	global_load_dwordx4 v[8:11], v[4:5], off
	global_load_dwordx4 v[18:21], v[4:5], off offset:16
	s_cmp_eq_u32 s2, 0
	s_waitcnt vmcnt(1)
	v_mul_f64 v[8:9], s[0:1], v[8:9]
	v_mul_f64 v[14:15], s[0:1], v[10:11]
	s_waitcnt vmcnt(0)
	v_mul_f64 v[10:11], s[0:1], v[18:19]
	v_mul_f64 v[12:13], s[0:1], v[20:21]
	s_cbranch_scc1 .LBB73_21
; %bb.14:                               ;   in Loop: Header=BB73_13 Depth=1
	s_lshl_b32 s6, s11, 2
	s_add_i32 s6, s8, s6
	s_cmp_lt_u32 s6, 7
	s_mov_b32 s6, 0
	s_cbranch_scc1 .LBB73_17
; %bb.15:                               ;   in Loop: Header=BB73_13 Depth=1
	v_mov_b32_e32 v7, v3
	s_and_b32 s6, s2, -8
	s_mov_b32 s7, 0
	v_mov_b32_e32 v6, v2
	s_mov_b32 s12, s9
.LBB73_16:                              ;   Parent Loop BB73_13 Depth=1
                                        ; =>  This Inner Loop Header: Depth=2
	global_load_dwordx4 v[18:21], v[6:7], off offset:-56
	global_load_dwordx4 v[22:25], v[6:7], off offset:-40
	v_mov_b32_e32 v36, s12
	ds_read_b128 v[30:33], v36
	global_load_dwordx4 v[26:29], v[6:7], off offset:-24
	s_add_i32 s12, s12, 64
	s_add_i32 s7, s7, 8
	s_cmp_lg_u32 s6, s7
	s_waitcnt vmcnt(2) lgkmcnt(0)
	v_fma_f64 v[8:9], -v[18:19], v[30:31], v[8:9]
	v_fma_f64 v[34:35], -v[20:21], v[32:33], v[8:9]
	ds_read_b128 v[30:33], v36 offset:64
	s_waitcnt lgkmcnt(0)
	v_fma_f64 v[8:9], -v[18:19], v[30:31], v[14:15]
	v_fma_f64 v[14:15], -v[20:21], v[32:33], v[8:9]
	ds_read_b128 v[30:33], v36 offset:128
	s_waitcnt lgkmcnt(0)
	;; [unrolled: 4-line block ×3, first 2 shown]
	v_fma_f64 v[8:9], -v[18:19], v[8:9], v[12:13]
	v_fma_f64 v[8:9], -v[20:21], v[10:11], v[8:9]
	ds_read_b128 v[18:21], v36 offset:16
	global_load_dwordx4 v[10:13], v[6:7], off offset:-8
	v_add_co_u32_e32 v6, vcc, 64, v6
	v_addc_co_u32_e32 v7, vcc, 0, v7, vcc
	s_waitcnt vmcnt(2) lgkmcnt(0)
	v_fma_f64 v[18:19], -v[22:23], v[18:19], v[34:35]
	v_fma_f64 v[32:33], -v[24:25], v[20:21], v[18:19]
	ds_read_b128 v[18:21], v36 offset:80
	s_waitcnt lgkmcnt(0)
	v_fma_f64 v[14:15], -v[22:23], v[18:19], v[14:15]
	v_fma_f64 v[14:15], -v[24:25], v[20:21], v[14:15]
	ds_read_b128 v[18:21], v36 offset:144
	s_waitcnt lgkmcnt(0)
	v_fma_f64 v[18:19], -v[22:23], v[18:19], v[30:31]
	v_fma_f64 v[30:31], -v[24:25], v[20:21], v[18:19]
	ds_read_b128 v[18:21], v36 offset:208
	s_waitcnt lgkmcnt(0)
	v_fma_f64 v[8:9], -v[22:23], v[18:19], v[8:9]
	v_fma_f64 v[8:9], -v[24:25], v[20:21], v[8:9]
	ds_read_b128 v[18:21], v36 offset:32
	ds_read_b128 v[22:25], v36 offset:96
	s_waitcnt vmcnt(1) lgkmcnt(1)
	v_fma_f64 v[18:19], -v[26:27], v[18:19], v[32:33]
	s_waitcnt lgkmcnt(0)
	v_fma_f64 v[14:15], -v[26:27], v[22:23], v[14:15]
	v_fma_f64 v[32:33], -v[28:29], v[20:21], v[18:19]
	ds_read_b128 v[18:21], v36 offset:160
	v_fma_f64 v[14:15], -v[28:29], v[24:25], v[14:15]
	ds_read_b128 v[22:25], v36 offset:224
	s_waitcnt lgkmcnt(1)
	v_fma_f64 v[18:19], -v[26:27], v[18:19], v[30:31]
	v_fma_f64 v[30:31], -v[28:29], v[20:21], v[18:19]
	ds_read_b128 v[18:21], v36 offset:48
	s_waitcnt lgkmcnt(1)
	v_fma_f64 v[8:9], -v[26:27], v[22:23], v[8:9]
	v_fma_f64 v[34:35], -v[28:29], v[24:25], v[8:9]
	s_waitcnt vmcnt(0) lgkmcnt(0)
	v_fma_f64 v[8:9], -v[10:11], v[18:19], v[32:33]
	ds_read_b128 v[22:25], v36 offset:112
	ds_read_b128 v[26:29], v36 offset:176
	s_waitcnt lgkmcnt(1)
	v_fma_f64 v[14:15], -v[10:11], v[22:23], v[14:15]
	s_waitcnt lgkmcnt(0)
	v_fma_f64 v[22:23], -v[10:11], v[26:27], v[30:31]
	v_fma_f64 v[8:9], -v[12:13], v[20:21], v[8:9]
	ds_read_b128 v[18:21], v36 offset:240
	v_fma_f64 v[14:15], -v[12:13], v[24:25], v[14:15]
	s_waitcnt lgkmcnt(0)
	v_fma_f64 v[18:19], -v[10:11], v[18:19], v[34:35]
	v_fma_f64 v[10:11], -v[12:13], v[28:29], v[22:23]
	;; [unrolled: 1-line block ×3, first 2 shown]
	s_cbranch_scc1 .LBB73_16
.LBB73_17:                              ;   in Loop: Header=BB73_13 Depth=1
	s_bitcmp0_b32 s2, 2
	s_cbranch_scc1 .LBB73_20
; %bb.18:                               ;   in Loop: Header=BB73_13 Depth=1
	v_cndmask_b32_e64 v6, 0, 1, s[4:5]
	v_readfirstlane_b32 s7, v6
	s_lshl_b32 s12, s7, 2
	s_mov_b32 s7, s3
	s_lshl_b32 s13, s6, 3
	s_lshl_b64 s[6:7], s[6:7], 3
	v_mov_b32_e32 v7, s7
	v_add_co_u32_e32 v6, vcc, s6, v16
	v_addc_co_u32_e32 v7, vcc, v17, v7, vcc
.LBB73_19:                              ;   Parent Loop BB73_13 Depth=1
                                        ; =>  This Inner Loop Header: Depth=2
	global_load_dwordx2 v[26:27], v[6:7], off
	s_add_i32 s6, s9, s13
	v_mov_b32_e32 v22, s6
	ds_read2_b64 v[18:21], v22 offset1:8
	ds_read2_b64 v[22:25], v22 offset0:16 offset1:24
	s_add_i32 s13, s13, 8
	s_add_i32 s12, s12, -1
	v_add_co_u32_e32 v6, vcc, 8, v6
	s_cmp_lg_u32 s12, 0
	v_addc_co_u32_e32 v7, vcc, 0, v7, vcc
	s_waitcnt vmcnt(0) lgkmcnt(1)
	v_fma_f64 v[8:9], -v[26:27], v[18:19], v[8:9]
	v_fma_f64 v[14:15], -v[26:27], v[20:21], v[14:15]
	s_waitcnt lgkmcnt(0)
	v_fma_f64 v[10:11], -v[26:27], v[22:23], v[10:11]
	v_fma_f64 v[12:13], -v[26:27], v[24:25], v[12:13]
	s_cbranch_scc1 .LBB73_19
.LBB73_20:                              ;   in Loop: Header=BB73_13 Depth=1
	s_lshl_b32 s6, s2, 6
	s_branch .LBB73_22
.LBB73_21:                              ;   in Loop: Header=BB73_13 Depth=1
	s_mov_b32 s6, 0
.LBB73_22:                              ;   in Loop: Header=BB73_13 Depth=1
	s_lshl_b32 s7, s2, 3
	s_add_i32 s6, s7, s6
	v_mov_b32_e32 v34, s6
	ds_read2_b64 v[18:21], v34 offset1:9
	s_lshl_b32 s6, s2, 6
	s_add_i32 s6, s7, s6
	s_add_i32 s11, s11, 1
	s_addk_i32 s9, 0x100
	s_waitcnt lgkmcnt(0)
	v_mul_f64 v[6:7], v[8:9], v[18:19]
	v_mov_b32_e32 v18, s6
	ds_read2_b64 v[22:25], v18 offset0:8 offset1:26
	ds_read_b128 v[26:29], v18 offset:128
	ds_read_b128 v[30:33], v18 offset:192
	s_add_i32 s6, s2, 4
	s_add_i32 s2, s2, 7
	s_xor_b64 s[4:5], s[4:5], -1
	s_cmp_lt_i32 s2, s22
	s_waitcnt lgkmcnt(2)
	v_fma_f64 v[8:9], -v[6:7], v[22:23], v[14:15]
	s_waitcnt lgkmcnt(1)
	v_fma_f64 v[10:11], -v[6:7], v[26:27], v[10:11]
	;; [unrolled: 2-line block ×3, first 2 shown]
	v_mul_f64 v[8:9], v[8:9], v[20:21]
	v_fma_f64 v[14:15], -v[8:9], v[28:29], v[10:11]
	ds_read2_b64 v[10:13], v34 offset0:18 offset1:27
	global_store_dwordx4 v[4:5], v[6:9], off
	s_waitcnt lgkmcnt(0)
	v_mul_f64 v[10:11], v[14:15], v[10:11]
	v_fma_f64 v[14:15], -v[8:9], v[32:33], v[18:19]
	v_fma_f64 v[14:15], -v[10:11], v[24:25], v[14:15]
	v_mul_f64 v[12:13], v[14:15], v[12:13]
	global_store_dwordx4 v[4:5], v[10:13], off offset:16
	s_cbranch_scc0 .LBB73_25
; %bb.23:                               ;   in Loop: Header=BB73_13 Depth=1
	s_mov_b32 s2, s6
	s_branch .LBB73_13
.LBB73_24:
	s_mov_b32 s6, s2
.LBB73_25:
	s_cmp_ge_i32 s6, s22
	s_cbranch_scc1 .LBB73_30
; %bb.26:
	s_lshl_b32 s2, s6, 6
	s_branch .LBB73_28
.LBB73_27:                              ;   in Loop: Header=BB73_28 Depth=1
	s_mul_i32 s3, s6, 0x48
	v_mov_b32_e32 v6, s3
	ds_read_b64 v[6:7], v6
	s_add_i32 s6, s6, 1
	s_add_i32 s2, s2, 64
	s_cmp_ge_i32 s6, s22
	s_waitcnt lgkmcnt(0)
	v_mul_f64 v[4:5], v[4:5], v[6:7]
	global_store_dwordx2 v[2:3], v[4:5], off
	s_cbranch_scc1 .LBB73_30
.LBB73_28:                              ; =>This Loop Header: Depth=1
                                        ;     Child Loop BB73_29 Depth 2
	s_ashr_i32 s7, s6, 31
	s_lshl_b64 s[4:5], s[6:7], 3
	v_mov_b32_e32 v3, s5
	v_add_co_u32_e32 v2, vcc, s4, v0
	v_addc_co_u32_e32 v3, vcc, v1, v3, vcc
	global_load_dwordx2 v[4:5], v[2:3], off
	v_mov_b32_e32 v7, v1
	s_cmp_eq_u32 s6, 0
	v_mov_b32_e32 v6, v0
	s_mov_b32 s3, s6
	s_mov_b32 s4, s2
	s_waitcnt vmcnt(0)
	v_mul_f64 v[4:5], s[0:1], v[4:5]
	s_cbranch_scc1 .LBB73_27
.LBB73_29:                              ;   Parent Loop BB73_28 Depth=1
                                        ; =>  This Inner Loop Header: Depth=2
	global_load_dwordx2 v[8:9], v[6:7], off
	v_mov_b32_e32 v10, s4
	ds_read_b64 v[10:11], v10
	s_add_i32 s4, s4, 8
	s_add_i32 s3, s3, -1
	v_add_co_u32_e32 v6, vcc, 8, v6
	s_cmp_lg_u32 s3, 0
	v_addc_co_u32_e32 v7, vcc, 0, v7, vcc
	s_waitcnt vmcnt(0) lgkmcnt(0)
	v_fma_f64 v[4:5], -v[8:9], v[10:11], v[4:5]
	s_cbranch_scc1 .LBB73_29
	s_branch .LBB73_27
.LBB73_30:
	s_mov_b64 s[2:3], 0
.LBB73_31:
	s_and_b64 vcc, exec, s[2:3]
	s_cbranch_vccz .LBB73_57
; %bb.32:
	s_add_i32 s8, s22, -1
	s_cmp_gt_i32 s10, 7
	s_mov_b32 s2, -1
	s_cbranch_scc0 .LBB73_34
; %bb.33:
	global_load_dwordx4 v[2:5], v[0:1], off offset:48
	global_load_dwordx4 v[6:9], v[0:1], off offset:32
	v_mov_b32_e32 v36, 0
	ds_read_b128 v[10:13], v36 offset:496
	ds_read_b128 v[18:21], v36 offset:480
	global_load_dwordx4 v[14:17], v[0:1], off offset:16
	s_waitcnt vmcnt(2)
	v_mul_f64 v[4:5], s[0:1], v[4:5]
	s_waitcnt lgkmcnt(1)
	v_mul_f64 v[4:5], v[4:5], v[12:13]
	v_mul_f64 v[10:11], v[4:5], v[10:11]
	s_waitcnt lgkmcnt(0)
	v_mul_f64 v[20:21], v[4:5], v[20:21]
	v_mul_f64 v[18:19], v[4:5], v[18:19]
	v_fma_f64 v[2:3], s[0:1], v[2:3], -v[10:11]
	ds_read_b128 v[10:13], v36 offset:464
	ds_read2_b64 v[22:25], v36 offset0:36 offset1:54
	ds_read_b128 v[26:29], v36 offset:448
	s_waitcnt vmcnt(1)
	v_fma_f64 v[20:21], s[0:1], v[8:9], -v[20:21]
	v_fma_f64 v[18:19], s[0:1], v[6:7], -v[18:19]
	s_waitcnt lgkmcnt(2)
	v_mul_f64 v[30:31], v[4:5], v[12:13]
	v_mul_f64 v[32:33], v[4:5], v[10:11]
	global_load_dwordx4 v[10:13], v[0:1], off
	ds_read_b128 v[6:9], v36 offset:416
	s_waitcnt lgkmcnt(2)
	v_mul_f64 v[2:3], v[2:3], v[24:25]
	s_waitcnt lgkmcnt(1)
	v_mul_f64 v[28:29], v[4:5], v[28:29]
	v_mul_f64 v[26:27], v[4:5], v[26:27]
	s_waitcnt vmcnt(1)
	v_fma_f64 v[24:25], s[0:1], v[16:17], -v[30:31]
	v_fma_f64 v[30:31], s[0:1], v[14:15], -v[32:33]
	ds_read_b128 v[14:17], v36 offset:400
	s_waitcnt lgkmcnt(1)
	v_fma_f64 v[32:33], -v[2:3], v[8:9], v[20:21]
	v_fma_f64 v[34:35], -v[2:3], v[6:7], v[18:19]
	ds_read_b128 v[6:9], v36 offset:352
	ds_read_b128 v[18:21], v36 offset:384
	s_waitcnt lgkmcnt(2)
	v_fma_f64 v[24:25], -v[2:3], v[16:17], v[24:25]
	v_fma_f64 v[30:31], -v[2:3], v[14:15], v[30:31]
	ds_read_b128 v[14:17], v36 offset:320
	s_waitcnt lgkmcnt(2)
	v_mul_f64 v[8:9], v[32:33], v[8:9]
	v_fma_f64 v[6:7], -v[8:9], v[6:7], v[34:35]
	v_mul_f64 v[6:7], v[6:7], v[22:23]
	s_waitcnt vmcnt(0)
	v_fma_f64 v[28:29], s[0:1], v[12:13], -v[28:29]
	v_fma_f64 v[26:27], s[0:1], v[10:11], -v[26:27]
	ds_read_b128 v[10:13], v36 offset:336
	s_waitcnt lgkmcnt(0)
	v_fma_f64 v[32:33], -v[8:9], v[12:13], v[24:25]
	ds_read_b128 v[22:25], v36 offset:272
	v_fma_f64 v[28:29], -v[2:3], v[20:21], v[28:29]
	v_fma_f64 v[26:27], -v[2:3], v[18:19], v[26:27]
	;; [unrolled: 1-line block ×3, first 2 shown]
	ds_read_b128 v[10:13], v36 offset:256
	ds_read_b128 v[18:21], v36 offset:208
	s_waitcnt lgkmcnt(2)
	v_fma_f64 v[24:25], -v[6:7], v[24:25], v[32:33]
	v_fma_f64 v[28:29], -v[8:9], v[16:17], v[28:29]
	;; [unrolled: 1-line block ×4, first 2 shown]
	ds_read_b128 v[14:17], v36 offset:192
	s_waitcnt lgkmcnt(1)
	v_mul_f64 v[20:21], v[24:25], v[20:21]
	v_fma_f64 v[12:13], -v[6:7], v[12:13], v[28:29]
	v_fma_f64 v[26:27], -v[6:7], v[10:11], v[26:27]
	;; [unrolled: 1-line block ×3, first 2 shown]
	ds_read2_b64 v[22:25], v36 offset1:18
	s_waitcnt lgkmcnt(1)
	v_fma_f64 v[28:29], -v[20:21], v[16:17], v[12:13]
	ds_read_b128 v[10:13], v36 offset:128
	s_waitcnt lgkmcnt(1)
	v_mul_f64 v[18:19], v[18:19], v[24:25]
	v_fma_f64 v[24:25], -v[20:21], v[14:15], v[26:27]
	ds_read_b128 v[14:17], v36 offset:64
	s_waitcnt lgkmcnt(1)
	v_fma_f64 v[12:13], -v[18:19], v[12:13], v[28:29]
	v_fma_f64 v[10:11], -v[18:19], v[10:11], v[24:25]
	s_waitcnt lgkmcnt(0)
	v_mul_f64 v[12:13], v[12:13], v[16:17]
	v_fma_f64 v[10:11], -v[12:13], v[14:15], v[10:11]
	v_mul_f64 v[10:11], v[10:11], v[22:23]
	global_store_dwordx4 v[0:1], v[2:5], off offset:48
	global_store_dwordx4 v[0:1], v[6:9], off offset:32
	;; [unrolled: 1-line block ×3, first 2 shown]
	global_store_dwordx4 v[0:1], v[10:13], off
	s_cmp_gt_i32 s2, -1
	s_cbranch_scc1 .LBB73_35
	s_branch .LBB73_57
.LBB73_34:
	s_mov_b32 s2, s8
	s_cmp_gt_i32 s2, -1
	s_cbranch_scc0 .LBB73_57
.LBB73_35:
	s_cmp_lt_u32 s2, 3
	s_cbranch_scc1 .LBB73_40
; %bb.36:
	s_mov_b32 s5, 0
	s_mov_b32 s3, s5
	s_lshl_b64 s[6:7], s[2:3], 3
	v_mov_b32_e32 v3, s7
	v_add_co_u32_e32 v2, vcc, s6, v0
	v_addc_co_u32_e32 v3, vcc, v1, v3, vcc
	global_load_dwordx4 v[4:7], v[2:3], off offset:-8
	global_load_dwordx4 v[12:15], v[2:3], off offset:-24
	s_cmp_le_i32 s8, s2
	s_waitcnt vmcnt(1)
	v_mul_f64 v[10:11], s[0:1], v[6:7]
	v_mul_f64 v[8:9], s[0:1], v[4:5]
	s_waitcnt vmcnt(0)
	v_mul_f64 v[6:7], s[0:1], v[14:15]
	v_mul_f64 v[4:5], s[0:1], v[12:13]
	s_cbranch_scc1 .LBB73_39
; %bb.37:
	s_lshl_b32 s3, s22, 6
	s_lshl_b32 s4, s2, 3
	s_add_i32 s3, s3, s4
	s_addk_i32 s3, 0xffa8
	s_mov_b32 s4, s8
.LBB73_38:                              ; =>This Inner Loop Header: Depth=1
	s_lshl_b64 s[6:7], s[4:5], 3
	v_mov_b32_e32 v13, s7
	v_add_co_u32_e32 v12, vcc, s6, v0
	v_addc_co_u32_e32 v13, vcc, v1, v13, vcc
	global_load_dwordx2 v[20:21], v[12:13], off
	v_mov_b32_e32 v16, s3
	ds_read2_b64 v[12:15], v16 offset0:2 offset1:3
	ds_read2_b64 v[16:19], v16 offset1:1
	s_add_i32 s4, s4, -1
	s_sub_i32 s3, s3, 64
	s_cmp_gt_i32 s4, s2
	s_waitcnt vmcnt(0) lgkmcnt(1)
	v_fma_f64 v[10:11], -v[20:21], v[14:15], v[10:11]
	v_fma_f64 v[8:9], -v[20:21], v[12:13], v[8:9]
	s_waitcnt lgkmcnt(0)
	v_fma_f64 v[6:7], -v[20:21], v[18:19], v[6:7]
	v_fma_f64 v[4:5], -v[20:21], v[16:17], v[4:5]
	s_cbranch_scc1 .LBB73_38
.LBB73_39:
	s_add_i32 s4, s2, -1
	s_lshl_b32 s3, s4, 3
	s_lshl_b32 s5, s2, 6
	s_add_i32 s6, s3, s5
	v_mov_b32_e32 v12, s6
	ds_read2_b64 v[12:15], v12 offset1:1
	s_lshl_b32 s7, s4, 6
	s_add_i32 s3, s3, s7
	v_mov_b32_e32 v16, s3
	ds_read_b64 v[16:17], v16
	s_waitcnt lgkmcnt(1)
	v_mul_f64 v[18:19], v[10:11], v[14:15]
	s_add_i32 s6, s2, -3
	s_lshl_b32 s3, s6, 3
	s_add_i32 s5, s3, s5
	v_fma_f64 v[20:21], -v[18:19], v[12:13], v[8:9]
	v_mov_b32_e32 v8, s5
	ds_read2_b64 v[8:11], v8 offset1:1
	s_add_i32 s5, s3, s7
	v_mov_b32_e32 v12, s5
	ds_read2_b64 v[12:15], v12 offset1:1
	s_mov_b32 s5, 0
	s_waitcnt lgkmcnt(1)
	v_fma_f64 v[6:7], -v[18:19], v[10:11], v[6:7]
	v_mul_f64 v[10:11], v[20:21], v[16:17]
	s_lshl_b64 s[10:11], s[4:5], 3
	s_add_i32 s4, s2, -2
	s_lshl_b32 s9, s4, 6
	v_fma_f64 v[8:9], -v[18:19], v[8:9], v[4:5]
	s_add_i32 s9, s3, s9
	v_mov_b32_e32 v4, s9
	s_lshl_b32 s7, s6, 6
	s_waitcnt lgkmcnt(0)
	v_fma_f64 v[14:15], -v[10:11], v[14:15], v[6:7]
	ds_read2_b64 v[4:7], v4 offset1:1
	s_add_i32 s3, s3, s7
	v_mov_b32_e32 v16, s3
	ds_read_b64 v[16:17], v16
	v_fma_f64 v[8:9], -v[10:11], v[12:13], v[8:9]
	v_mov_b32_e32 v12, s11
	s_mov_b32 s7, s5
	s_waitcnt lgkmcnt(1)
	v_mul_f64 v[6:7], v[14:15], v[6:7]
	s_lshl_b64 s[4:5], s[4:5], 3
	v_mov_b32_e32 v13, s5
	s_lshl_b64 s[6:7], s[6:7], 3
	v_mov_b32_e32 v15, s7
	s_add_i32 s2, s2, -4
	v_fma_f64 v[4:5], -v[6:7], v[4:5], v[8:9]
	v_add_co_u32_e32 v8, vcc, s10, v0
	v_addc_co_u32_e32 v9, vcc, v1, v12, vcc
	v_add_co_u32_e32 v12, vcc, s4, v0
	v_addc_co_u32_e32 v13, vcc, v1, v13, vcc
	s_waitcnt lgkmcnt(0)
	v_mul_f64 v[4:5], v[4:5], v[16:17]
	v_add_co_u32_e32 v14, vcc, s6, v0
	v_addc_co_u32_e32 v15, vcc, v1, v15, vcc
	global_store_dwordx2 v[2:3], v[18:19], off
	global_store_dwordx2 v[8:9], v[10:11], off
	;; [unrolled: 1-line block ×4, first 2 shown]
.LBB73_40:
	s_cmp_lt_i32 s2, 0
	s_cbranch_scc1 .LBB73_57
; %bb.41:
	s_and_b32 s3, s2, 3
	s_cmp_eq_u32 s3, 3
	s_mov_b32 s4, s2
	s_cbranch_scc1 .LBB73_46
; %bb.42:
	s_lshl_b32 s4, s22, 6
	s_lshl_b32 s5, s2, 3
	s_add_i32 s3, s2, 1
	s_add_i32 s4, s4, s5
	s_and_b32 s3, s3, 3
	s_sub_i32 s9, s4, 64
	s_mov_b32 s7, 0
	s_mov_b32 s4, s2
	;; [unrolled: 1-line block ×3, first 2 shown]
	s_branch .LBB73_44
.LBB73_43:                              ;   in Loop: Header=BB73_44 Depth=1
	s_mul_i32 s5, s4, 0x48
	v_mov_b32_e32 v6, s5
	ds_read_b64 v[6:7], v6
	s_add_i32 s4, s4, -1
	s_add_i32 s10, s10, 1
	s_add_i32 s9, s9, -8
	s_cmp_lg_u32 s10, s3
	s_waitcnt lgkmcnt(0)
	v_mul_f64 v[4:5], v[4:5], v[6:7]
	global_store_dwordx2 v[2:3], v[4:5], off
	s_cbranch_scc0 .LBB73_46
.LBB73_44:                              ; =>This Loop Header: Depth=1
                                        ;     Child Loop BB73_45 Depth 2
	s_mov_b32 s5, s7
	s_lshl_b64 s[12:13], s[4:5], 3
	v_mov_b32_e32 v3, s13
	v_add_co_u32_e32 v2, vcc, s12, v0
	v_addc_co_u32_e32 v3, vcc, v1, v3, vcc
	global_load_dwordx2 v[4:5], v[2:3], off
	s_cmp_le_i32 s8, s4
	s_mov_b32 s5, s9
	s_mov_b32 s6, s8
	s_waitcnt vmcnt(0)
	v_mul_f64 v[4:5], s[0:1], v[4:5]
	s_cbranch_scc1 .LBB73_43
.LBB73_45:                              ;   Parent Loop BB73_44 Depth=1
                                        ; =>  This Inner Loop Header: Depth=2
	s_lshl_b64 s[12:13], s[6:7], 3
	v_mov_b32_e32 v7, s13
	v_add_co_u32_e32 v6, vcc, s12, v0
	v_addc_co_u32_e32 v7, vcc, v1, v7, vcc
	global_load_dwordx2 v[6:7], v[6:7], off
	v_mov_b32_e32 v8, s5
	ds_read_b64 v[8:9], v8
	s_add_i32 s6, s6, -1
	s_sub_i32 s5, s5, 64
	s_cmp_gt_i32 s6, s4
	s_waitcnt vmcnt(0) lgkmcnt(0)
	v_fma_f64 v[4:5], -v[6:7], v[8:9], v[4:5]
	s_cbranch_scc1 .LBB73_45
	s_branch .LBB73_43
.LBB73_46:
	s_cmp_lt_u32 s2, 3
	s_cbranch_scc1 .LBB73_57
; %bb.47:
	s_lshl_b32 s2, s22, 6
	s_lshl_b32 s3, s4, 3
	s_add_i32 s2, s2, s3
	s_sub_i32 s9, s2, 64
	s_add_i32 s10, s2, 0xffffffb8
	s_add_i32 s11, s2, 0xffffffb0
	;; [unrolled: 1-line block ×3, first 2 shown]
	s_mov_b32 s3, 0
	s_branch .LBB73_49
.LBB73_48:                              ;   in Loop: Header=BB73_49 Depth=1
	s_add_i32 s2, s5, 0xffffffb8
	v_mov_b32_e32 v4, s2
	ds_read_b64 v[4:5], v4
	s_add_i32 s2, s4, -4
	s_sub_i32 s9, s9, 32
	s_sub_i32 s10, s10, 32
	;; [unrolled: 1-line block ×3, first 2 shown]
	s_waitcnt lgkmcnt(0)
	v_mul_f64 v[4:5], v[6:7], v[4:5]
	s_sub_i32 s12, s12, 32
	s_cmp_lt_i32 s4, 4
	s_mov_b32 s4, s2
	global_store_dwordx2 v[2:3], v[4:5], off
	s_cbranch_scc1 .LBB73_57
.LBB73_49:                              ; =>This Loop Header: Depth=1
                                        ;     Child Loop BB73_50 Depth 2
                                        ;     Child Loop BB73_52 Depth 2
	;; [unrolled: 1-line block ×4, first 2 shown]
	s_mov_b32 s5, s3
	s_lshl_b64 s[6:7], s[4:5], 3
	v_mov_b32_e32 v2, s7
	v_add_co_u32_e32 v4, vcc, s6, v0
	v_addc_co_u32_e32 v5, vcc, v1, v2, vcc
	global_load_dwordx2 v[2:3], v[4:5], off
	s_cmp_le_i32 s8, s4
	s_mov_b32 s5, s9
	s_mov_b32 s2, s8
	s_waitcnt vmcnt(0)
	v_mul_f64 v[6:7], s[0:1], v[2:3]
	s_cbranch_scc1 .LBB73_51
.LBB73_50:                              ;   Parent Loop BB73_49 Depth=1
                                        ; =>  This Inner Loop Header: Depth=2
	s_lshl_b64 s[6:7], s[2:3], 3
	v_mov_b32_e32 v3, s7
	v_add_co_u32_e32 v2, vcc, s6, v0
	v_addc_co_u32_e32 v3, vcc, v1, v3, vcc
	global_load_dwordx2 v[2:3], v[2:3], off
	v_mov_b32_e32 v8, s5
	ds_read_b64 v[8:9], v8
	s_add_i32 s2, s2, -1
	s_sub_i32 s5, s5, 64
	s_cmp_gt_i32 s2, s4
	s_waitcnt vmcnt(0) lgkmcnt(0)
	v_fma_f64 v[6:7], -v[2:3], v[8:9], v[6:7]
	s_cbranch_scc1 .LBB73_50
.LBB73_51:                              ;   in Loop: Header=BB73_49 Depth=1
	s_add_i32 s2, s4, -1
	s_lshl_b64 s[6:7], s[2:3], 3
	v_mov_b32_e32 v3, s7
	v_add_co_u32_e32 v2, vcc, s6, v0
	v_addc_co_u32_e32 v3, vcc, v1, v3, vcc
	global_load_dwordx2 v[8:9], v[2:3], off
	s_mul_i32 s5, s4, 0x48
	v_mov_b32_e32 v10, s5
	ds_read_b64 v[10:11], v10
	s_cmp_le_i32 s22, s4
	s_mov_b32 s6, s10
	s_mov_b32 s2, s22
	s_waitcnt lgkmcnt(0)
	v_mul_f64 v[10:11], v[6:7], v[10:11]
	global_store_dwordx2 v[4:5], v[10:11], off
	s_waitcnt vmcnt(1)
	v_mul_f64 v[6:7], s[0:1], v[8:9]
	s_cbranch_scc1 .LBB73_53
.LBB73_52:                              ;   Parent Loop BB73_49 Depth=1
                                        ; =>  This Inner Loop Header: Depth=2
	s_add_i32 s2, s2, -1
	s_lshl_b64 s[14:15], s[2:3], 3
	v_mov_b32_e32 v5, s15
	v_add_co_u32_e32 v4, vcc, s14, v0
	v_addc_co_u32_e32 v5, vcc, v1, v5, vcc
	global_load_dwordx2 v[4:5], v[4:5], off
	v_mov_b32_e32 v8, s6
	ds_read_b64 v[8:9], v8
	s_sub_i32 s6, s6, 64
	s_cmp_gt_i32 s2, s4
	s_waitcnt vmcnt(0) lgkmcnt(0)
	v_fma_f64 v[6:7], -v[4:5], v[8:9], v[6:7]
	s_cbranch_scc1 .LBB73_52
.LBB73_53:                              ;   in Loop: Header=BB73_49 Depth=1
	s_add_i32 s6, s4, -2
	s_mov_b32 s7, s3
	s_lshl_b64 s[14:15], s[6:7], 3
	v_mov_b32_e32 v5, s15
	v_add_co_u32_e32 v4, vcc, s14, v0
	v_addc_co_u32_e32 v5, vcc, v1, v5, vcc
	global_load_dwordx2 v[8:9], v[4:5], off
	s_addk_i32 s5, 0xffb8
	v_mov_b32_e32 v10, s5
	ds_read_b64 v[10:11], v10
	s_cmp_le_i32 s8, s6
	s_mov_b32 s7, s11
	s_mov_b32 s2, s8
	s_waitcnt lgkmcnt(0)
	v_mul_f64 v[10:11], v[6:7], v[10:11]
	global_store_dwordx2 v[2:3], v[10:11], off
	s_waitcnt vmcnt(1)
	v_mul_f64 v[6:7], s[0:1], v[8:9]
	s_cbranch_scc1 .LBB73_55
.LBB73_54:                              ;   Parent Loop BB73_49 Depth=1
                                        ; =>  This Inner Loop Header: Depth=2
	s_lshl_b64 s[14:15], s[2:3], 3
	v_mov_b32_e32 v3, s15
	v_add_co_u32_e32 v2, vcc, s14, v0
	v_addc_co_u32_e32 v3, vcc, v1, v3, vcc
	global_load_dwordx2 v[2:3], v[2:3], off
	v_mov_b32_e32 v8, s7
	ds_read_b64 v[8:9], v8
	s_add_i32 s2, s2, -1
	s_sub_i32 s7, s7, 64
	s_cmp_gt_i32 s2, s6
	s_waitcnt vmcnt(0) lgkmcnt(0)
	v_fma_f64 v[6:7], -v[2:3], v[8:9], v[6:7]
	s_cbranch_scc1 .LBB73_54
.LBB73_55:                              ;   in Loop: Header=BB73_49 Depth=1
	s_add_i32 s6, s4, -3
	s_mov_b32 s7, s3
	s_lshl_b64 s[14:15], s[6:7], 3
	v_mov_b32_e32 v3, s15
	v_add_co_u32_e32 v2, vcc, s14, v0
	v_addc_co_u32_e32 v3, vcc, v1, v3, vcc
	global_load_dwordx2 v[8:9], v[2:3], off
	s_addk_i32 s5, 0xffb8
	v_mov_b32_e32 v10, s5
	ds_read_b64 v[10:11], v10
	s_cmp_le_i32 s8, s6
	s_mov_b32 s7, s12
	s_mov_b32 s2, s8
	s_waitcnt lgkmcnt(0)
	v_mul_f64 v[10:11], v[6:7], v[10:11]
	global_store_dwordx2 v[4:5], v[10:11], off
	s_waitcnt vmcnt(1)
	v_mul_f64 v[6:7], s[0:1], v[8:9]
	s_cbranch_scc1 .LBB73_48
.LBB73_56:                              ;   Parent Loop BB73_49 Depth=1
                                        ; =>  This Inner Loop Header: Depth=2
	s_lshl_b64 s[14:15], s[2:3], 3
	v_mov_b32_e32 v5, s15
	v_add_co_u32_e32 v4, vcc, s14, v0
	v_addc_co_u32_e32 v5, vcc, v1, v5, vcc
	global_load_dwordx2 v[4:5], v[4:5], off
	v_mov_b32_e32 v8, s7
	ds_read_b64 v[8:9], v8
	s_add_i32 s2, s2, -1
	s_sub_i32 s7, s7, 64
	s_cmp_gt_i32 s2, s6
	s_waitcnt vmcnt(0) lgkmcnt(0)
	v_fma_f64 v[6:7], -v[4:5], v[8:9], v[6:7]
	s_cbranch_scc1 .LBB73_56
	s_branch .LBB73_48
.LBB73_57:
	s_endpgm
	.section	.rodata,"a",@progbits
	.p2align	6, 0x0
	.amdhsa_kernel _ZL30rocblas_trsm_small_left_deviceILi8ELi8ELb0EddPKdPdEv13rocblas_fill_18rocblas_operation_17rocblas_diagonal_iiT3_T4_lilT5_lili
		.amdhsa_group_segment_fixed_size 512
		.amdhsa_private_segment_fixed_size 0
		.amdhsa_kernarg_size 360
		.amdhsa_user_sgpr_count 6
		.amdhsa_user_sgpr_private_segment_buffer 1
		.amdhsa_user_sgpr_dispatch_ptr 0
		.amdhsa_user_sgpr_queue_ptr 0
		.amdhsa_user_sgpr_kernarg_segment_ptr 1
		.amdhsa_user_sgpr_dispatch_id 0
		.amdhsa_user_sgpr_flat_scratch_init 0
		.amdhsa_user_sgpr_private_segment_size 0
		.amdhsa_uses_dynamic_stack 0
		.amdhsa_system_sgpr_private_segment_wavefront_offset 0
		.amdhsa_system_sgpr_workgroup_id_x 1
		.amdhsa_system_sgpr_workgroup_id_y 0
		.amdhsa_system_sgpr_workgroup_id_z 1
		.amdhsa_system_sgpr_workgroup_info 0
		.amdhsa_system_vgpr_workitem_id 0
		.amdhsa_next_free_vgpr 37
		.amdhsa_next_free_sgpr 26
		.amdhsa_reserve_vcc 1
		.amdhsa_reserve_flat_scratch 0
		.amdhsa_float_round_mode_32 0
		.amdhsa_float_round_mode_16_64 0
		.amdhsa_float_denorm_mode_32 3
		.amdhsa_float_denorm_mode_16_64 3
		.amdhsa_dx10_clamp 1
		.amdhsa_ieee_mode 1
		.amdhsa_fp16_overflow 0
		.amdhsa_exception_fp_ieee_invalid_op 0
		.amdhsa_exception_fp_denorm_src 0
		.amdhsa_exception_fp_ieee_div_zero 0
		.amdhsa_exception_fp_ieee_overflow 0
		.amdhsa_exception_fp_ieee_underflow 0
		.amdhsa_exception_fp_ieee_inexact 0
		.amdhsa_exception_int_div_zero 0
	.end_amdhsa_kernel
	.section	.text._ZL30rocblas_trsm_small_left_deviceILi8ELi8ELb0EddPKdPdEv13rocblas_fill_18rocblas_operation_17rocblas_diagonal_iiT3_T4_lilT5_lili,"axG",@progbits,_ZL30rocblas_trsm_small_left_deviceILi8ELi8ELb0EddPKdPdEv13rocblas_fill_18rocblas_operation_17rocblas_diagonal_iiT3_T4_lilT5_lili,comdat
.Lfunc_end73:
	.size	_ZL30rocblas_trsm_small_left_deviceILi8ELi8ELb0EddPKdPdEv13rocblas_fill_18rocblas_operation_17rocblas_diagonal_iiT3_T4_lilT5_lili, .Lfunc_end73-_ZL30rocblas_trsm_small_left_deviceILi8ELi8ELb0EddPKdPdEv13rocblas_fill_18rocblas_operation_17rocblas_diagonal_iiT3_T4_lilT5_lili
                                        ; -- End function
	.set _ZL30rocblas_trsm_small_left_deviceILi8ELi8ELb0EddPKdPdEv13rocblas_fill_18rocblas_operation_17rocblas_diagonal_iiT3_T4_lilT5_lili.num_vgpr, 37
	.set _ZL30rocblas_trsm_small_left_deviceILi8ELi8ELb0EddPKdPdEv13rocblas_fill_18rocblas_operation_17rocblas_diagonal_iiT3_T4_lilT5_lili.num_agpr, 0
	.set _ZL30rocblas_trsm_small_left_deviceILi8ELi8ELb0EddPKdPdEv13rocblas_fill_18rocblas_operation_17rocblas_diagonal_iiT3_T4_lilT5_lili.numbered_sgpr, 26
	.set _ZL30rocblas_trsm_small_left_deviceILi8ELi8ELb0EddPKdPdEv13rocblas_fill_18rocblas_operation_17rocblas_diagonal_iiT3_T4_lilT5_lili.num_named_barrier, 0
	.set _ZL30rocblas_trsm_small_left_deviceILi8ELi8ELb0EddPKdPdEv13rocblas_fill_18rocblas_operation_17rocblas_diagonal_iiT3_T4_lilT5_lili.private_seg_size, 0
	.set _ZL30rocblas_trsm_small_left_deviceILi8ELi8ELb0EddPKdPdEv13rocblas_fill_18rocblas_operation_17rocblas_diagonal_iiT3_T4_lilT5_lili.uses_vcc, 1
	.set _ZL30rocblas_trsm_small_left_deviceILi8ELi8ELb0EddPKdPdEv13rocblas_fill_18rocblas_operation_17rocblas_diagonal_iiT3_T4_lilT5_lili.uses_flat_scratch, 0
	.set _ZL30rocblas_trsm_small_left_deviceILi8ELi8ELb0EddPKdPdEv13rocblas_fill_18rocblas_operation_17rocblas_diagonal_iiT3_T4_lilT5_lili.has_dyn_sized_stack, 0
	.set _ZL30rocblas_trsm_small_left_deviceILi8ELi8ELb0EddPKdPdEv13rocblas_fill_18rocblas_operation_17rocblas_diagonal_iiT3_T4_lilT5_lili.has_recursion, 0
	.set _ZL30rocblas_trsm_small_left_deviceILi8ELi8ELb0EddPKdPdEv13rocblas_fill_18rocblas_operation_17rocblas_diagonal_iiT3_T4_lilT5_lili.has_indirect_call, 0
	.section	.AMDGPU.csdata,"",@progbits
; Kernel info:
; codeLenInByte = 4644
; TotalNumSgprs: 30
; NumVgprs: 37
; ScratchSize: 0
; MemoryBound: 0
; FloatMode: 240
; IeeeMode: 1
; LDSByteSize: 512 bytes/workgroup (compile time only)
; SGPRBlocks: 3
; VGPRBlocks: 9
; NumSGPRsForWavesPerEU: 30
; NumVGPRsForWavesPerEU: 37
; Occupancy: 6
; WaveLimiterHint : 0
; COMPUTE_PGM_RSRC2:SCRATCH_EN: 0
; COMPUTE_PGM_RSRC2:USER_SGPR: 6
; COMPUTE_PGM_RSRC2:TRAP_HANDLER: 0
; COMPUTE_PGM_RSRC2:TGID_X_EN: 1
; COMPUTE_PGM_RSRC2:TGID_Y_EN: 0
; COMPUTE_PGM_RSRC2:TGID_Z_EN: 1
; COMPUTE_PGM_RSRC2:TIDIG_COMP_CNT: 0
	.section	.text._ZL38rocblas_trsm_small_left_device_sharedBILi8ELi8ELb1EddPKdPdEv13rocblas_fill_18rocblas_operation_17rocblas_diagonal_iiT3_T4_lilT5_lili,"axG",@progbits,_ZL38rocblas_trsm_small_left_device_sharedBILi8ELi8ELb1EddPKdPdEv13rocblas_fill_18rocblas_operation_17rocblas_diagonal_iiT3_T4_lilT5_lili,comdat
	.globl	_ZL38rocblas_trsm_small_left_device_sharedBILi8ELi8ELb1EddPKdPdEv13rocblas_fill_18rocblas_operation_17rocblas_diagonal_iiT3_T4_lilT5_lili ; -- Begin function _ZL38rocblas_trsm_small_left_device_sharedBILi8ELi8ELb1EddPKdPdEv13rocblas_fill_18rocblas_operation_17rocblas_diagonal_iiT3_T4_lilT5_lili
	.p2align	8
	.type	_ZL38rocblas_trsm_small_left_device_sharedBILi8ELi8ELb1EddPKdPdEv13rocblas_fill_18rocblas_operation_17rocblas_diagonal_iiT3_T4_lilT5_lili,@function
_ZL38rocblas_trsm_small_left_device_sharedBILi8ELi8ELb1EddPKdPdEv13rocblas_fill_18rocblas_operation_17rocblas_diagonal_iiT3_T4_lilT5_lili: ; @_ZL38rocblas_trsm_small_left_device_sharedBILi8ELi8ELb1EddPKdPdEv13rocblas_fill_18rocblas_operation_17rocblas_diagonal_iiT3_T4_lilT5_lili
; %bb.0:
	s_load_dwordx4 s[8:11], s[4:5], 0x4
	s_load_dwordx4 s[12:15], s[4:5], 0x18
	s_load_dwordx2 s[20:21], s[4:5], 0x28
	s_load_dwordx4 s[0:3], s[4:5], 0x38
	s_load_dwordx2 s[16:17], s[4:5], 0x48
	s_waitcnt lgkmcnt(0)
	s_min_i32 s22, s10, 8
	v_cmp_gt_i32_e32 vcc, s22, v0
	s_and_saveexec_b64 s[18:19], vcc
	s_cbranch_execz .LBB74_6
; %bb.1:
	s_load_dword s24, s[4:5], 0x30
	s_mul_i32 s1, s1, s7
	s_mul_hi_u32 s23, s0, s7
	s_mul_i32 s0, s0, s7
	s_add_i32 s1, s23, s1
	s_waitcnt lgkmcnt(0)
	s_ashr_i32 s25, s24, 31
	s_lshl_b64 s[0:1], s[0:1], 3
	s_add_u32 s14, s14, s0
	s_addc_u32 s15, s15, s1
	s_lshl_b64 s[0:1], s[20:21], 3
	s_add_u32 s0, s14, s0
	s_addc_u32 s1, s15, s1
	v_lshlrev_b32_e32 v3, 3, v0
	v_mov_b32_e32 v2, s1
	v_add_co_u32_e32 v1, vcc, s0, v3
	s_lshl_b64 s[0:1], s[24:25], 3
	v_addc_co_u32_e32 v2, vcc, 0, v2, vcc
	v_mov_b32_e32 v4, s1
	v_mov_b32_e32 v5, v3
	s_mov_b32 s1, s22
.LBB74_2:                               ; =>This Inner Loop Header: Depth=1
	global_load_dwordx2 v[6:7], v[1:2], off
	v_add_co_u32_e32 v1, vcc, s0, v1
	s_add_i32 s1, s1, -1
	v_addc_co_u32_e32 v2, vcc, v2, v4, vcc
	s_cmp_eq_u32 s1, 0
	s_waitcnt vmcnt(0)
	ds_write_b64 v5, v[6:7]
	v_add_u32_e32 v5, 64, v5
	s_cbranch_scc0 .LBB74_2
; %bb.3:
	v_lshlrev_b32_e32 v4, 6, v0
	v_mov_b32_e32 v1, 0
	s_cmpk_lg_i32 s9, 0x84
	v_mov_b32_e32 v2, 0x3ff00000
	v_add_u32_e32 v3, v3, v4
	s_cbranch_scc0 .LBB74_5
; %bb.4:
	ds_read_b64 v[1:2], v3
	s_waitcnt lgkmcnt(0)
	v_div_scale_f64 v[4:5], s[0:1], v[1:2], v[1:2], 1.0
	v_div_scale_f64 v[10:11], vcc, 1.0, v[1:2], 1.0
	v_rcp_f64_e32 v[6:7], v[4:5]
	v_fma_f64 v[8:9], -v[4:5], v[6:7], 1.0
	v_fma_f64 v[6:7], v[6:7], v[8:9], v[6:7]
	v_fma_f64 v[8:9], -v[4:5], v[6:7], 1.0
	v_fma_f64 v[6:7], v[6:7], v[8:9], v[6:7]
	v_mul_f64 v[8:9], v[10:11], v[6:7]
	v_fma_f64 v[4:5], -v[4:5], v[8:9], v[10:11]
	v_div_fmas_f64 v[4:5], v[4:5], v[6:7], v[8:9]
	v_div_fixup_f64 v[1:2], v[4:5], v[1:2], 1.0
.LBB74_5:
	ds_write_b64 v3, v[1:2]
.LBB74_6:
	s_or_b64 exec, exec, s[18:19]
	s_load_dword s0, s[4:5], 0x68
	s_load_dwordx2 s[14:15], s[4:5], 0x58
	s_load_dword s9, s[4:5], 0x50
	s_waitcnt lgkmcnt(0)
	s_mul_i32 s1, s15, s7
	s_mul_hi_u32 s5, s14, s7
	s_mul_i32 s4, s14, s7
	s_add_i32 s5, s5, s1
	s_lshl_b64 s[4:5], s[4:5], 3
	s_add_u32 s1, s2, s4
	s_addc_u32 s4, s3, s5
	s_lshl_b64 s[2:3], s[16:17], 3
	s_add_u32 s2, s1, s2
	s_addc_u32 s3, s4, s3
	s_lshl_b32 s4, s6, 3
	s_add_i32 s0, s0, -1
	s_sub_i32 s1, s11, s4
	s_cmp_ge_u32 s6, s0
	s_cselect_b32 s5, s1, 8
	s_mul_hi_i32 s1, s9, s4
	s_mul_i32 s0, s9, s4
	s_lshl_b64 s[0:1], s[0:1], 3
	s_add_u32 s6, s2, s0
	s_addc_u32 s7, s3, s1
	s_cmp_gt_i32 s10, 0
	v_cmp_gt_i32_e64 s[0:1], s5, v0
	s_cselect_b64 s[2:3], -1, 0
	s_and_b64 s[14:15], s[0:1], s[2:3]
	s_and_saveexec_b64 s[4:5], s[14:15]
	s_cbranch_execz .LBB74_9
; %bb.7:
	v_mad_i64_i32 v[1:2], s[14:15], s9, v0, 0
	v_mov_b32_e32 v3, s7
	s_mov_b32 s11, s22
	v_lshlrev_b64 v[1:2], 3, v[1:2]
	v_add_co_u32_e32 v1, vcc, s6, v1
	v_addc_co_u32_e32 v2, vcc, v3, v2, vcc
	v_mov_b32_e32 v3, 0x200
	v_lshl_or_b32 v3, v0, 3, v3
.LBB74_8:                               ; =>This Inner Loop Header: Depth=1
	global_load_dwordx2 v[4:5], v[1:2], off
	s_add_i32 s11, s11, -1
	v_add_co_u32_e32 v1, vcc, 8, v1
	v_addc_co_u32_e32 v2, vcc, 0, v2, vcc
	s_cmp_lg_u32 s11, 0
	s_waitcnt vmcnt(0)
	v_mul_f64 v[4:5], s[12:13], v[4:5]
	ds_write_b64 v3, v[4:5]
	v_add_u32_e32 v3, 64, v3
	s_cbranch_scc1 .LBB74_8
.LBB74_9:
	s_or_b64 exec, exec, s[4:5]
	v_mov_b32_e32 v1, 0x200
	s_cmpk_eq_i32 s8, 0x6f
	v_lshl_or_b32 v9, v0, 3, v1
	s_mov_b64 s[4:5], -1
	s_waitcnt lgkmcnt(0)
	; wave barrier
	s_cbranch_scc1 .LBB74_36
; %bb.10:
	s_add_i32 s4, s22, -1
	s_cmp_gt_i32 s10, 7
	s_mov_b32 s5, -1
	s_cbranch_scc0 .LBB74_12
; %bb.11:
	v_mov_b32_e32 v22, 0
	ds_read2_b64 v[1:4], v9 offset0:48 offset1:56
	ds_read2_b64 v[5:8], v22 offset0:47 offset1:63
	ds_read_b128 v[10:13], v22 offset:432
	s_waitcnt lgkmcnt(1)
	v_mul_f64 v[14:15], v[3:4], v[7:8]
	s_waitcnt lgkmcnt(0)
	v_fma_f64 v[7:8], -v[14:15], v[12:13], v[1:2]
	ds_read2_b64 v[1:4], v9 offset0:32 offset1:40
	s_waitcnt lgkmcnt(0)
	v_fma_f64 v[12:13], -v[14:15], v[5:6], v[3:4]
	ds_read_b128 v[3:6], v22 offset:304
	v_mul_f64 v[10:11], v[7:8], v[10:11]
	s_waitcnt lgkmcnt(0)
	v_fma_f64 v[1:2], -v[14:15], v[5:6], v[1:2]
	v_fma_f64 v[16:17], -v[10:11], v[3:4], v[1:2]
	ds_read2_b64 v[1:4], v9 offset0:16 offset1:24
	ds_read_b128 v[5:8], v22 offset:176
	s_waitcnt lgkmcnt(0)
	v_fma_f64 v[1:2], -v[14:15], v[7:8], v[1:2]
	v_fma_f64 v[18:19], -v[10:11], v[5:6], v[1:2]
	ds_read2_b64 v[5:8], v22 offset0:15 offset1:31
	s_waitcnt lgkmcnt(0)
	v_fma_f64 v[7:8], -v[14:15], v[7:8], v[3:4]
	ds_read2_b64 v[1:4], v9 offset1:8
	s_waitcnt lgkmcnt(0)
	v_fma_f64 v[20:21], -v[14:15], v[5:6], v[3:4]
	ds_read_b128 v[3:6], v22 offset:48
	s_waitcnt lgkmcnt(0)
	v_fma_f64 v[1:2], -v[14:15], v[5:6], v[1:2]
	v_fma_f64 v[5:6], -v[10:11], v[3:4], v[1:2]
	ds_read2_b64 v[1:4], v22 offset0:45 offset1:46
	s_waitcnt lgkmcnt(0)
	v_fma_f64 v[3:4], -v[10:11], v[3:4], v[12:13]
	v_mul_f64 v[12:13], v[3:4], v[1:2]
	ds_read2_b64 v[1:4], v22 offset0:29 offset1:30
	s_waitcnt lgkmcnt(0)
	v_fma_f64 v[3:4], -v[10:11], v[3:4], v[7:8]
	v_fma_f64 v[7:8], -v[12:13], v[1:2], v[3:4]
	ds_read2_b64 v[1:4], v22 offset0:13 offset1:14
	s_waitcnt lgkmcnt(0)
	v_fma_f64 v[3:4], -v[10:11], v[3:4], v[20:21]
	v_fma_f64 v[20:21], -v[12:13], v[1:2], v[3:4]
	ds_read_b128 v[1:4], v22 offset:288
	s_waitcnt lgkmcnt(0)
	v_fma_f64 v[3:4], -v[12:13], v[3:4], v[16:17]
	v_mul_f64 v[16:17], v[3:4], v[1:2]
	ds_read_b128 v[1:4], v22 offset:160
	s_waitcnt lgkmcnt(0)
	v_fma_f64 v[3:4], -v[12:13], v[3:4], v[18:19]
	v_fma_f64 v[18:19], -v[16:17], v[1:2], v[3:4]
	ds_read2_b64 v[1:4], v22 offset0:27 offset1:28
	s_waitcnt lgkmcnt(0)
	v_fma_f64 v[3:4], -v[16:17], v[3:4], v[7:8]
	v_mul_f64 v[7:8], v[3:4], v[1:2]
	ds_read2_b64 v[1:4], v22 offset0:11 offset1:12
	s_waitcnt lgkmcnt(0)
	v_fma_f64 v[3:4], -v[16:17], v[3:4], v[20:21]
	v_fma_f64 v[20:21], -v[7:8], v[1:2], v[3:4]
	ds_read_b128 v[1:4], v22 offset:144
	s_waitcnt lgkmcnt(0)
	v_fma_f64 v[3:4], -v[7:8], v[3:4], v[18:19]
	v_mul_f64 v[18:19], v[3:4], v[1:2]
	ds_read_b128 v[1:4], v22 offset:32
	s_waitcnt lgkmcnt(0)
	v_fma_f64 v[3:4], -v[12:13], v[3:4], v[5:6]
	v_fma_f64 v[5:6], -v[16:17], v[1:2], v[3:4]
	ds_read2_b64 v[1:4], v22 offset0:9 offset1:10
	s_waitcnt lgkmcnt(0)
	v_fma_f64 v[3:4], -v[18:19], v[3:4], v[20:21]
	v_mul_f64 v[20:21], v[3:4], v[1:2]
	ds_read_b128 v[1:4], v22 offset:16
	s_waitcnt lgkmcnt(0)
	v_fma_f64 v[3:4], -v[7:8], v[3:4], v[5:6]
	v_fma_f64 v[5:6], -v[18:19], v[1:2], v[3:4]
	ds_read_b128 v[1:4], v22
	s_waitcnt lgkmcnt(0)
	v_fma_f64 v[3:4], -v[20:21], v[3:4], v[5:6]
	v_mul_f64 v[1:2], v[3:4], v[1:2]
	ds_write2_b64 v9, v[10:11], v[14:15] offset0:48 offset1:56
	ds_write2_b64 v9, v[16:17], v[12:13] offset0:32 offset1:40
	;; [unrolled: 1-line block ×3, first 2 shown]
	ds_write2_b64 v9, v[1:2], v[20:21] offset1:8
	s_cmp_gt_i32 s5, -1
	s_cbranch_scc1 .LBB74_13
	s_branch .LBB74_35
.LBB74_12:
	s_mov_b32 s5, s4
	s_cmp_gt_i32 s5, -1
	s_cbranch_scc0 .LBB74_35
.LBB74_13:
	s_cmp_lt_u32 s5, 3
	s_cbranch_scc1 .LBB74_18
; %bb.14:
	s_lshl_b32 s8, s5, 6
	v_add_u32_e32 v10, s8, v9
	v_subrev_u32_e32 v1, 64, v10
	v_add_u32_e32 v2, 0xffffff80, v10
	v_add_u32_e32 v11, 0xffffff40, v10
	ds_read_b64 v[7:8], v10
	ds_read_b64 v[5:6], v1
	;; [unrolled: 1-line block ×4, first 2 shown]
	s_cmp_le_i32 s4, s5
	s_cbranch_scc1 .LBB74_17
; %bb.15:
	v_lshlrev_b32_e32 v11, 3, v0
	s_lshl_b32 s11, s22, 3
	v_lshl_or_b32 v11, s22, 6, v11
	s_add_i32 s8, s8, s11
	v_add_u32_e32 v11, 0x1c0, v11
	s_addk_i32 s8, 0xff38
	s_mov_b32 s11, s4
.LBB74_16:                              ; =>This Inner Loop Header: Depth=1
	v_mov_b32_e32 v16, s8
	ds_read_b64 v[20:21], v11
	ds_read2_b64 v[12:15], v16 offset0:16 offset1:24
	ds_read2_b64 v[16:19], v16 offset1:8
	s_add_i32 s11, s11, -1
	s_add_i32 s8, s8, -8
	s_cmp_gt_i32 s11, s5
	s_waitcnt lgkmcnt(1)
	v_fma_f64 v[7:8], -v[20:21], v[14:15], v[7:8]
	v_fma_f64 v[5:6], -v[20:21], v[12:13], v[5:6]
	s_waitcnt lgkmcnt(0)
	v_fma_f64 v[3:4], -v[20:21], v[18:19], v[3:4]
	v_fma_f64 v[1:2], -v[20:21], v[16:17], v[1:2]
	v_subrev_u32_e32 v11, 64, v11
	s_cbranch_scc1 .LBB74_16
.LBB74_17:
	s_mul_i32 s8, s5, 0x48
	v_mov_b32_e32 v11, s8
	ds_read_b64 v[15:16], v11
	s_add_i32 s8, s5, -1
	s_lshl_b32 s11, s8, 6
	s_lshl_b32 s8, s8, 3
	s_add_i32 s8, s11, s8
	s_waitcnt lgkmcnt(0)
	v_mul_f64 v[19:20], v[7:8], v[15:16]
	v_mov_b32_e32 v11, s8
	ds_read2_b64 v[11:14], v11 offset1:1
	s_add_i32 s8, s5, -2
	s_lshl_b32 s12, s5, 3
	s_lshl_b32 s14, s8, 6
	s_add_i32 s15, s14, s12
	s_lshl_b32 s8, s8, 3
	s_waitcnt lgkmcnt(0)
	v_fma_f64 v[13:14], -v[19:20], v[13:14], v[5:6]
	v_mov_b32_e32 v5, s15
	ds_read_b64 v[15:16], v5
	s_add_i32 s13, s5, -3
	s_add_i32 s8, s14, s8
	v_mov_b32_e32 v5, s8
	s_lshl_b32 s8, s13, 6
	s_waitcnt lgkmcnt(0)
	v_fma_f64 v[3:4], -v[19:20], v[15:16], v[3:4]
	v_mul_f64 v[21:22], v[13:14], v[11:12]
	s_add_i32 s12, s8, s12
	s_add_i32 s12, s12, -8
	v_mov_b32_e32 v11, s12
	ds_read2_b64 v[5:8], v5 offset1:1
	ds_read2_b64 v[11:14], v11 offset1:1
	s_lshl_b32 s12, s13, 3
	s_add_i32 s12, s8, s12
	v_mov_b32_e32 v15, s12
	s_waitcnt lgkmcnt(1)
	v_fma_f64 v[3:4], -v[21:22], v[7:8], v[3:4]
	s_waitcnt lgkmcnt(0)
	v_fma_f64 v[1:2], -v[19:20], v[13:14], v[1:2]
	ds_read2_b64 v[15:18], v15 offset1:1
	s_add_i32 s5, s5, -4
	v_add_u32_e32 v7, s8, v9
	v_mul_f64 v[3:4], v[3:4], v[5:6]
	v_fma_f64 v[1:2], -v[21:22], v[11:12], v[1:2]
	v_add_u32_e32 v5, s11, v9
	v_add_u32_e32 v6, s14, v9
	s_waitcnt lgkmcnt(0)
	v_fma_f64 v[1:2], -v[3:4], v[17:18], v[1:2]
	v_mul_f64 v[1:2], v[1:2], v[15:16]
	ds_write_b64 v10, v[19:20]
	ds_write_b64 v5, v[21:22]
	;; [unrolled: 1-line block ×4, first 2 shown]
.LBB74_18:
	s_cmp_lt_i32 s5, 0
	s_cbranch_scc1 .LBB74_35
; %bb.19:
	s_and_b32 s8, s5, 3
	s_cmp_eq_u32 s8, 3
	v_lshlrev_b32_e32 v3, 3, v0
	s_mov_b32 s8, s5
	s_cbranch_scc1 .LBB74_24
; %bb.20:
	s_add_i32 s8, s5, 1
	s_and_b32 s11, s8, 3
	s_lshl_b32 s8, s5, 6
	s_lshl_b32 s12, s22, 3
	s_add_i32 s8, s8, s12
	v_lshl_or_b32 v1, s22, 6, v3
	s_add_i32 s12, s8, -8
	v_add_u32_e32 v4, 0x1c0, v1
	s_mov_b32 s13, 0
	s_mov_b32 s8, s5
	s_branch .LBB74_22
.LBB74_21:                              ;   in Loop: Header=BB74_22 Depth=1
	s_mul_i32 s14, s8, 0x48
	v_mov_b32_e32 v6, s14
	ds_read_b64 v[6:7], v6
	s_add_i32 s8, s8, -1
	s_add_i32 s13, s13, 1
	s_sub_i32 s12, s12, 64
	s_cmp_lg_u32 s13, s11
	s_waitcnt lgkmcnt(0)
	v_mul_f64 v[1:2], v[1:2], v[6:7]
	ds_write_b64 v5, v[1:2]
	s_cbranch_scc0 .LBB74_24
.LBB74_22:                              ; =>This Loop Header: Depth=1
                                        ;     Child Loop BB74_23 Depth 2
	s_lshl_b32 s14, s8, 6
	v_add_u32_e32 v5, s14, v9
	ds_read_b64 v[1:2], v5
	s_cmp_le_i32 s4, s8
	v_mov_b32_e32 v6, v4
	s_mov_b32 s14, s12
	s_mov_b32 s15, s4
	s_cbranch_scc1 .LBB74_21
.LBB74_23:                              ;   Parent Loop BB74_22 Depth=1
                                        ; =>  This Inner Loop Header: Depth=2
	v_mov_b32_e32 v10, s14
	ds_read_b64 v[7:8], v6
	ds_read_b64 v[10:11], v10
	s_add_i32 s15, s15, -1
	s_add_i32 s14, s14, -8
	s_cmp_gt_i32 s15, s8
	v_subrev_u32_e32 v6, 64, v6
	s_waitcnt lgkmcnt(0)
	v_fma_f64 v[1:2], -v[7:8], v[10:11], v[1:2]
	s_cbranch_scc1 .LBB74_23
	s_branch .LBB74_21
.LBB74_24:
	s_cmp_lt_u32 s5, 3
	s_cbranch_scc1 .LBB74_35
; %bb.25:
	s_lshl_b32 s5, s8, 6
	s_lshl_b32 s11, s22, 3
	s_add_i32 s13, s5, s11
	v_lshl_or_b32 v1, s22, 6, v3
	s_add_i32 s5, s13, -8
	v_add_u32_e32 v5, 0x1c0, v1
	s_add_i32 s11, s13, 0xffffffb8
	s_add_i32 s12, s13, 0xffffff78
	s_addk_i32 s13, 0xff38
	s_branch .LBB74_27
.LBB74_26:                              ;   in Loop: Header=BB74_27 Depth=1
	s_addk_i32 s14, 0xffb8
	v_mov_b32_e32 v3, s14
	ds_read_b64 v[3:4], v3
	s_add_i32 s14, s8, -4
	s_addk_i32 s5, 0xff00
	s_addk_i32 s11, 0xff00
	;; [unrolled: 1-line block ×3, first 2 shown]
	s_waitcnt lgkmcnt(0)
	v_mul_f64 v[1:2], v[1:2], v[3:4]
	s_addk_i32 s13, 0xff00
	s_cmp_lt_i32 s8, 4
	s_mov_b32 s8, s14
	ds_write_b64 v6, v[1:2]
	s_cbranch_scc1 .LBB74_35
.LBB74_27:                              ; =>This Loop Header: Depth=1
                                        ;     Child Loop BB74_28 Depth 2
                                        ;     Child Loop BB74_30 Depth 2
	;; [unrolled: 1-line block ×4, first 2 shown]
	s_lshl_b32 s15, s8, 6
	v_add_u32_e32 v7, s15, v9
	ds_read_b64 v[3:4], v7
	s_cmp_le_i32 s4, s8
	v_mov_b32_e32 v1, v5
	s_mov_b32 s14, s5
	s_mov_b32 s16, s4
	s_cbranch_scc1 .LBB74_29
.LBB74_28:                              ;   Parent Loop BB74_27 Depth=1
                                        ; =>  This Inner Loop Header: Depth=2
	v_mov_b32_e32 v2, s14
	ds_read_b64 v[10:11], v1
	ds_read_b64 v[12:13], v2
	s_add_i32 s16, s16, -1
	s_add_i32 s14, s14, -8
	s_cmp_gt_i32 s16, s8
	v_subrev_u32_e32 v1, 64, v1
	s_waitcnt lgkmcnt(0)
	v_fma_f64 v[3:4], -v[10:11], v[12:13], v[3:4]
	s_cbranch_scc1 .LBB74_28
.LBB74_29:                              ;   in Loop: Header=BB74_27 Depth=1
	s_mul_i32 s14, s8, 0x48
	v_mov_b32_e32 v1, s14
	ds_read_b64 v[10:11], v1
	s_sub_i32 s15, s15, 64
	v_add_u32_e32 v6, s15, v9
	ds_read_b64 v[1:2], v6
	s_mov_b32 s15, s11
	s_waitcnt lgkmcnt(1)
	v_mul_f64 v[10:11], v[3:4], v[10:11]
	v_mov_b32_e32 v3, v5
	s_cmp_le_i32 s22, s8
	s_mov_b32 s16, s22
	ds_write_b64 v7, v[10:11]
	s_cbranch_scc1 .LBB74_31
.LBB74_30:                              ;   Parent Loop BB74_27 Depth=1
                                        ; =>  This Inner Loop Header: Depth=2
	v_mov_b32_e32 v4, s15
	ds_read_b64 v[7:8], v3
	ds_read_b64 v[10:11], v4
	s_add_i32 s16, s16, -1
	s_add_i32 s15, s15, -8
	s_cmp_gt_i32 s16, s8
	v_subrev_u32_e32 v3, 64, v3
	s_waitcnt lgkmcnt(0)
	v_fma_f64 v[1:2], -v[7:8], v[10:11], v[1:2]
	s_cbranch_scc1 .LBB74_30
.LBB74_31:                              ;   in Loop: Header=BB74_27 Depth=1
	s_addk_i32 s14, 0xffb8
	v_mov_b32_e32 v3, s14
	ds_read_b64 v[10:11], v3
	s_add_i32 s15, s8, -2
	s_lshl_b32 s16, s15, 6
	v_add_u32_e32 v7, s16, v9
	ds_read_b64 v[3:4], v7
	s_waitcnt lgkmcnt(1)
	v_mul_f64 v[10:11], v[1:2], v[10:11]
	v_mov_b32_e32 v1, v5
	s_mov_b32 s16, s12
	s_cmp_le_i32 s4, s15
	s_mov_b32 s17, s4
	ds_write_b64 v6, v[10:11]
	s_cbranch_scc1 .LBB74_33
.LBB74_32:                              ;   Parent Loop BB74_27 Depth=1
                                        ; =>  This Inner Loop Header: Depth=2
	v_mov_b32_e32 v2, s16
	ds_read_b64 v[10:11], v1
	ds_read_b64 v[12:13], v2
	s_add_i32 s17, s17, -1
	s_add_i32 s16, s16, -8
	s_cmp_gt_i32 s17, s15
	v_subrev_u32_e32 v1, 64, v1
	s_waitcnt lgkmcnt(0)
	v_fma_f64 v[3:4], -v[10:11], v[12:13], v[3:4]
	s_cbranch_scc1 .LBB74_32
.LBB74_33:                              ;   in Loop: Header=BB74_27 Depth=1
	s_addk_i32 s14, 0xffb8
	v_mov_b32_e32 v1, s14
	ds_read_b64 v[10:11], v1
	s_add_i32 s15, s8, -3
	s_lshl_b32 s16, s15, 6
	v_add_u32_e32 v6, s16, v9
	ds_read_b64 v[1:2], v6
	s_waitcnt lgkmcnt(1)
	v_mul_f64 v[10:11], v[3:4], v[10:11]
	v_mov_b32_e32 v3, v5
	s_mov_b32 s16, s13
	s_cmp_le_i32 s4, s15
	s_mov_b32 s17, s4
	ds_write_b64 v7, v[10:11]
	s_cbranch_scc1 .LBB74_26
.LBB74_34:                              ;   Parent Loop BB74_27 Depth=1
                                        ; =>  This Inner Loop Header: Depth=2
	v_mov_b32_e32 v4, s16
	ds_read_b64 v[7:8], v3
	ds_read_b64 v[10:11], v4
	s_add_i32 s17, s17, -1
	s_add_i32 s16, s16, -8
	s_cmp_gt_i32 s17, s15
	v_subrev_u32_e32 v3, 64, v3
	s_waitcnt lgkmcnt(0)
	v_fma_f64 v[1:2], -v[7:8], v[10:11], v[1:2]
	s_cbranch_scc1 .LBB74_34
	s_branch .LBB74_26
.LBB74_35:
	s_mov_b64 s[4:5], 0
.LBB74_36:
	s_and_b64 vcc, exec, s[4:5]
	s_cbranch_vccz .LBB74_52
; %bb.37:
	s_cmp_gt_i32 s10, 7
	s_cbranch_scc0 .LBB74_39
; %bb.38:
	v_mov_b32_e32 v26, 0
	ds_read2_b64 v[1:4], v9 offset1:8
	ds_read_b128 v[5:8], v26
	ds_read2_b64 v[10:13], v9 offset0:16 offset1:24
	s_mov_b32 s4, 8
	s_waitcnt lgkmcnt(1)
	v_mul_f64 v[14:15], v[1:2], v[5:6]
	v_fma_f64 v[16:17], -v[14:15], v[7:8], v[3:4]
	ds_read_b128 v[1:4], v26 offset:16
	s_waitcnt lgkmcnt(0)
	v_fma_f64 v[10:11], -v[14:15], v[1:2], v[10:11]
	v_fma_f64 v[12:13], -v[14:15], v[3:4], v[12:13]
	ds_read2_b64 v[1:4], v9 offset0:32 offset1:40
	ds_read_b128 v[5:8], v26 offset:32
	s_waitcnt lgkmcnt(0)
	v_fma_f64 v[18:19], -v[14:15], v[5:6], v[1:2]
	v_fma_f64 v[20:21], -v[14:15], v[7:8], v[3:4]
	ds_read2_b64 v[1:4], v9 offset0:48 offset1:56
	;; [unrolled: 5-line block ×3, first 2 shown]
	s_waitcnt lgkmcnt(0)
	v_mul_f64 v[16:17], v[16:17], v[1:2]
	v_fma_f64 v[10:11], -v[16:17], v[3:4], v[10:11]
	ds_read2_b64 v[1:4], v26 offset0:11 offset1:12
	s_waitcnt lgkmcnt(0)
	v_fma_f64 v[12:13], -v[16:17], v[1:2], v[12:13]
	v_fma_f64 v[18:19], -v[16:17], v[3:4], v[18:19]
	ds_read2_b64 v[1:4], v26 offset0:13 offset1:14
	s_waitcnt lgkmcnt(0)
	v_fma_f64 v[20:21], -v[16:17], v[1:2], v[20:21]
	v_fma_f64 v[22:23], -v[16:17], v[3:4], v[5:6]
	ds_read_b128 v[1:4], v26 offset:144
	s_waitcnt lgkmcnt(0)
	v_mul_f64 v[10:11], v[10:11], v[1:2]
	v_fma_f64 v[12:13], -v[10:11], v[3:4], v[12:13]
	ds_read_b128 v[1:4], v26 offset:160
	s_waitcnt lgkmcnt(0)
	v_fma_f64 v[18:19], -v[10:11], v[1:2], v[18:19]
	v_fma_f64 v[20:21], -v[10:11], v[3:4], v[20:21]
	ds_read2_b64 v[1:4], v26 offset0:15 offset1:31
	s_waitcnt lgkmcnt(0)
	v_fma_f64 v[1:2], -v[16:17], v[1:2], v[7:8]
	ds_read_b128 v[5:8], v26 offset:176
	s_waitcnt lgkmcnt(0)
	v_fma_f64 v[22:23], -v[10:11], v[5:6], v[22:23]
	v_fma_f64 v[1:2], -v[10:11], v[7:8], v[1:2]
	ds_read2_b64 v[5:8], v26 offset0:27 offset1:28
	s_waitcnt lgkmcnt(0)
	v_mul_f64 v[12:13], v[12:13], v[5:6]
	v_fma_f64 v[18:19], -v[12:13], v[7:8], v[18:19]
	ds_read2_b64 v[5:8], v26 offset0:29 offset1:30
	s_waitcnt lgkmcnt(0)
	v_fma_f64 v[5:6], -v[12:13], v[5:6], v[20:21]
	v_fma_f64 v[20:21], -v[12:13], v[3:4], v[1:2]
	ds_read_b128 v[1:4], v26 offset:288
	v_fma_f64 v[7:8], -v[12:13], v[7:8], v[22:23]
	s_waitcnt lgkmcnt(0)
	v_mul_f64 v[18:19], v[18:19], v[1:2]
	v_fma_f64 v[5:6], -v[18:19], v[3:4], v[5:6]
	ds_read_b128 v[1:4], v26 offset:304
	s_waitcnt lgkmcnt(0)
	v_fma_f64 v[7:8], -v[18:19], v[1:2], v[7:8]
	v_fma_f64 v[20:21], -v[18:19], v[3:4], v[20:21]
	ds_read2_b64 v[1:4], v26 offset0:45 offset1:46
	s_waitcnt lgkmcnt(0)
	v_mul_f64 v[22:23], v[5:6], v[1:2]
	v_fma_f64 v[24:25], -v[22:23], v[3:4], v[7:8]
	ds_read2_b64 v[1:4], v26 offset0:47 offset1:63
	ds_read_b128 v[5:8], v26 offset:432
	s_waitcnt lgkmcnt(1)
	v_fma_f64 v[1:2], -v[22:23], v[1:2], v[20:21]
	s_waitcnt lgkmcnt(0)
	v_mul_f64 v[5:6], v[24:25], v[5:6]
	v_fma_f64 v[1:2], -v[5:6], v[7:8], v[1:2]
	v_mul_f64 v[1:2], v[1:2], v[3:4]
	ds_write2_b64 v9, v[14:15], v[16:17] offset1:8
	ds_write2_b64 v9, v[10:11], v[12:13] offset0:16 offset1:24
	ds_write2_b64 v9, v[18:19], v[22:23] offset0:32 offset1:40
	;; [unrolled: 1-line block ×3, first 2 shown]
	s_cmp_lt_i32 s4, s22
	s_cbranch_scc1 .LBB74_40
	s_branch .LBB74_52
.LBB74_39:
	s_mov_b32 s4, 0
	s_cmp_lt_i32 s4, s22
	s_cbranch_scc0 .LBB74_52
.LBB74_40:
	s_or_b32 s5, s4, 3
	s_cmp_ge_u32 s5, s22
	s_cbranch_scc1 .LBB74_46
; %bb.41:
	v_mov_b32_e32 v1, 0x200
	s_lshl_b32 s5, s4, 3
	v_lshl_or_b32 v10, v0, 3, v1
.LBB74_42:                              ; =>This Loop Header: Depth=1
                                        ;     Child Loop BB74_43 Depth 2
	s_lshl_b32 s8, s4, 6
	v_add_u32_e32 v11, s8, v9
	ds_read2_b64 v[5:8], v11 offset1:8
	ds_read2_b64 v[1:4], v11 offset0:16 offset1:24
	s_cmp_eq_u32 s4, 0
	v_mov_b32_e32 v12, v10
	s_mov_b32 s10, s5
	s_mov_b32 s11, s4
	s_cbranch_scc1 .LBB74_44
.LBB74_43:                              ;   Parent Loop BB74_42 Depth=1
                                        ; =>  This Inner Loop Header: Depth=2
	v_mov_b32_e32 v17, s10
	ds_read_b64 v[21:22], v12
	ds_read_b128 v[13:16], v17
	ds_read_b128 v[17:20], v17 offset:16
	s_add_i32 s11, s11, -1
	s_add_i32 s10, s10, 64
	s_cmp_lg_u32 s11, 0
	s_waitcnt lgkmcnt(1)
	v_fma_f64 v[5:6], -v[21:22], v[13:14], v[5:6]
	v_fma_f64 v[7:8], -v[21:22], v[15:16], v[7:8]
	s_waitcnt lgkmcnt(0)
	v_fma_f64 v[1:2], -v[21:22], v[17:18], v[1:2]
	v_fma_f64 v[3:4], -v[21:22], v[19:20], v[3:4]
	v_add_u32_e32 v12, 64, v12
	s_cbranch_scc1 .LBB74_43
.LBB74_44:                              ;   in Loop: Header=BB74_42 Depth=1
	s_lshl_b32 s10, s4, 3
	s_add_i32 s11, s10, s8
	v_mov_b32_e32 v24, s11
	ds_read_b128 v[12:15], v24
	ds_read_b128 v[16:19], v24 offset:16
	s_or_b32 s8, s8, 64
	s_add_i32 s10, s10, s8
	s_add_i32 s5, s5, 32
	s_waitcnt lgkmcnt(1)
	v_mul_f64 v[20:21], v[5:6], v[12:13]
	v_fma_f64 v[22:23], -v[20:21], v[14:15], v[7:8]
	ds_read2_b64 v[5:8], v24 offset0:9 offset1:10
	ds_read_b128 v[12:15], v24 offset:144
	s_waitcnt lgkmcnt(2)
	v_fma_f64 v[1:2], -v[20:21], v[16:17], v[1:2]
	v_fma_f64 v[3:4], -v[20:21], v[18:19], v[3:4]
	s_waitcnt lgkmcnt(1)
	v_mul_f64 v[5:6], v[22:23], v[5:6]
	v_fma_f64 v[1:2], -v[5:6], v[7:8], v[1:2]
	v_mov_b32_e32 v7, s10
	ds_read_b64 v[7:8], v7 offset:24
	ds_read_b64 v[16:17], v24 offset:216
	s_waitcnt lgkmcnt(1)
	v_fma_f64 v[3:4], -v[5:6], v[7:8], v[3:4]
	v_add_u32_e32 v7, s8, v9
	v_mul_f64 v[1:2], v[1:2], v[12:13]
	s_add_i32 s8, s4, 4
	s_add_i32 s4, s4, 7
	s_cmp_lt_i32 s4, s22
	ds_write_b64 v7, v[5:6]
	ds_write2_b64 v11, v[20:21], v[1:2] offset1:16
	v_fma_f64 v[3:4], -v[1:2], v[14:15], v[3:4]
	s_waitcnt lgkmcnt(2)
	v_mul_f64 v[3:4], v[3:4], v[16:17]
	ds_write_b64 v11, v[3:4] offset:192
	s_cbranch_scc0 .LBB74_47
; %bb.45:                               ;   in Loop: Header=BB74_42 Depth=1
	s_mov_b32 s4, s8
	s_branch .LBB74_42
.LBB74_46:
	s_mov_b32 s8, s4
.LBB74_47:
	s_cmp_ge_i32 s8, s22
	s_cbranch_scc1 .LBB74_52
; %bb.48:
	v_mov_b32_e32 v1, 0x200
	s_lshl_b32 s4, s8, 3
	v_lshl_or_b32 v3, v0, 3, v1
	s_branch .LBB74_50
.LBB74_49:                              ;   in Loop: Header=BB74_50 Depth=1
	s_lshl_b32 s10, s8, 3
	s_add_i32 s5, s10, s5
	v_mov_b32_e32 v5, s5
	ds_read_b64 v[5:6], v5
	s_add_i32 s8, s8, 1
	s_add_i32 s4, s4, 8
	s_cmp_ge_i32 s8, s22
	s_waitcnt lgkmcnt(0)
	v_mul_f64 v[1:2], v[1:2], v[5:6]
	ds_write_b64 v4, v[1:2]
	s_cbranch_scc1 .LBB74_52
.LBB74_50:                              ; =>This Loop Header: Depth=1
                                        ;     Child Loop BB74_51 Depth 2
	s_lshl_b32 s5, s8, 6
	v_add_u32_e32 v4, s5, v9
	ds_read_b64 v[1:2], v4
	s_cmp_eq_u32 s8, 0
	v_mov_b32_e32 v5, v3
	s_mov_b32 s10, s4
	s_mov_b32 s11, s8
	s_cbranch_scc1 .LBB74_49
.LBB74_51:                              ;   Parent Loop BB74_50 Depth=1
                                        ; =>  This Inner Loop Header: Depth=2
	v_mov_b32_e32 v8, s10
	ds_read_b64 v[6:7], v5
	ds_read_b64 v[10:11], v8
	s_add_i32 s11, s11, -1
	s_add_i32 s10, s10, 64
	s_cmp_lg_u32 s11, 0
	v_add_u32_e32 v5, 64, v5
	s_waitcnt lgkmcnt(0)
	v_fma_f64 v[1:2], -v[6:7], v[10:11], v[1:2]
	s_cbranch_scc1 .LBB74_51
	s_branch .LBB74_49
.LBB74_52:
	s_waitcnt lgkmcnt(0)
	; wave barrier
	s_and_saveexec_b64 s[4:5], s[0:1]
	s_cbranch_execz .LBB74_56
; %bb.53:
	s_andn2_b64 vcc, exec, s[2:3]
	s_cbranch_vccnz .LBB74_56
; %bb.54:
	v_mad_i64_i32 v[1:2], s[0:1], s9, v0, 0
	v_mov_b32_e32 v3, s7
	v_lshlrev_b64 v[1:2], 3, v[1:2]
	v_add_co_u32_e32 v1, vcc, s6, v1
	v_addc_co_u32_e32 v2, vcc, v3, v2, vcc
	v_mov_b32_e32 v3, 0x200
	v_lshl_or_b32 v0, v0, 3, v3
.LBB74_55:                              ; =>This Inner Loop Header: Depth=1
	ds_read_b64 v[3:4], v0
	s_add_i32 s22, s22, -1
	v_add_u32_e32 v0, 64, v0
	s_cmp_lg_u32 s22, 0
	s_waitcnt lgkmcnt(0)
	global_store_dwordx2 v[1:2], v[3:4], off
	v_add_co_u32_e32 v1, vcc, 8, v1
	v_addc_co_u32_e32 v2, vcc, 0, v2, vcc
	s_cbranch_scc1 .LBB74_55
.LBB74_56:
	s_endpgm
	.section	.rodata,"a",@progbits
	.p2align	6, 0x0
	.amdhsa_kernel _ZL38rocblas_trsm_small_left_device_sharedBILi8ELi8ELb1EddPKdPdEv13rocblas_fill_18rocblas_operation_17rocblas_diagonal_iiT3_T4_lilT5_lili
		.amdhsa_group_segment_fixed_size 1024
		.amdhsa_private_segment_fixed_size 0
		.amdhsa_kernarg_size 360
		.amdhsa_user_sgpr_count 6
		.amdhsa_user_sgpr_private_segment_buffer 1
		.amdhsa_user_sgpr_dispatch_ptr 0
		.amdhsa_user_sgpr_queue_ptr 0
		.amdhsa_user_sgpr_kernarg_segment_ptr 1
		.amdhsa_user_sgpr_dispatch_id 0
		.amdhsa_user_sgpr_flat_scratch_init 0
		.amdhsa_user_sgpr_private_segment_size 0
		.amdhsa_uses_dynamic_stack 0
		.amdhsa_system_sgpr_private_segment_wavefront_offset 0
		.amdhsa_system_sgpr_workgroup_id_x 1
		.amdhsa_system_sgpr_workgroup_id_y 0
		.amdhsa_system_sgpr_workgroup_id_z 1
		.amdhsa_system_sgpr_workgroup_info 0
		.amdhsa_system_vgpr_workitem_id 0
		.amdhsa_next_free_vgpr 27
		.amdhsa_next_free_sgpr 26
		.amdhsa_reserve_vcc 1
		.amdhsa_reserve_flat_scratch 0
		.amdhsa_float_round_mode_32 0
		.amdhsa_float_round_mode_16_64 0
		.amdhsa_float_denorm_mode_32 3
		.amdhsa_float_denorm_mode_16_64 3
		.amdhsa_dx10_clamp 1
		.amdhsa_ieee_mode 1
		.amdhsa_fp16_overflow 0
		.amdhsa_exception_fp_ieee_invalid_op 0
		.amdhsa_exception_fp_denorm_src 0
		.amdhsa_exception_fp_ieee_div_zero 0
		.amdhsa_exception_fp_ieee_overflow 0
		.amdhsa_exception_fp_ieee_underflow 0
		.amdhsa_exception_fp_ieee_inexact 0
		.amdhsa_exception_int_div_zero 0
	.end_amdhsa_kernel
	.section	.text._ZL38rocblas_trsm_small_left_device_sharedBILi8ELi8ELb1EddPKdPdEv13rocblas_fill_18rocblas_operation_17rocblas_diagonal_iiT3_T4_lilT5_lili,"axG",@progbits,_ZL38rocblas_trsm_small_left_device_sharedBILi8ELi8ELb1EddPKdPdEv13rocblas_fill_18rocblas_operation_17rocblas_diagonal_iiT3_T4_lilT5_lili,comdat
.Lfunc_end74:
	.size	_ZL38rocblas_trsm_small_left_device_sharedBILi8ELi8ELb1EddPKdPdEv13rocblas_fill_18rocblas_operation_17rocblas_diagonal_iiT3_T4_lilT5_lili, .Lfunc_end74-_ZL38rocblas_trsm_small_left_device_sharedBILi8ELi8ELb1EddPKdPdEv13rocblas_fill_18rocblas_operation_17rocblas_diagonal_iiT3_T4_lilT5_lili
                                        ; -- End function
	.set _ZL38rocblas_trsm_small_left_device_sharedBILi8ELi8ELb1EddPKdPdEv13rocblas_fill_18rocblas_operation_17rocblas_diagonal_iiT3_T4_lilT5_lili.num_vgpr, 27
	.set _ZL38rocblas_trsm_small_left_device_sharedBILi8ELi8ELb1EddPKdPdEv13rocblas_fill_18rocblas_operation_17rocblas_diagonal_iiT3_T4_lilT5_lili.num_agpr, 0
	.set _ZL38rocblas_trsm_small_left_device_sharedBILi8ELi8ELb1EddPKdPdEv13rocblas_fill_18rocblas_operation_17rocblas_diagonal_iiT3_T4_lilT5_lili.numbered_sgpr, 26
	.set _ZL38rocblas_trsm_small_left_device_sharedBILi8ELi8ELb1EddPKdPdEv13rocblas_fill_18rocblas_operation_17rocblas_diagonal_iiT3_T4_lilT5_lili.num_named_barrier, 0
	.set _ZL38rocblas_trsm_small_left_device_sharedBILi8ELi8ELb1EddPKdPdEv13rocblas_fill_18rocblas_operation_17rocblas_diagonal_iiT3_T4_lilT5_lili.private_seg_size, 0
	.set _ZL38rocblas_trsm_small_left_device_sharedBILi8ELi8ELb1EddPKdPdEv13rocblas_fill_18rocblas_operation_17rocblas_diagonal_iiT3_T4_lilT5_lili.uses_vcc, 1
	.set _ZL38rocblas_trsm_small_left_device_sharedBILi8ELi8ELb1EddPKdPdEv13rocblas_fill_18rocblas_operation_17rocblas_diagonal_iiT3_T4_lilT5_lili.uses_flat_scratch, 0
	.set _ZL38rocblas_trsm_small_left_device_sharedBILi8ELi8ELb1EddPKdPdEv13rocblas_fill_18rocblas_operation_17rocblas_diagonal_iiT3_T4_lilT5_lili.has_dyn_sized_stack, 0
	.set _ZL38rocblas_trsm_small_left_device_sharedBILi8ELi8ELb1EddPKdPdEv13rocblas_fill_18rocblas_operation_17rocblas_diagonal_iiT3_T4_lilT5_lili.has_recursion, 0
	.set _ZL38rocblas_trsm_small_left_device_sharedBILi8ELi8ELb1EddPKdPdEv13rocblas_fill_18rocblas_operation_17rocblas_diagonal_iiT3_T4_lilT5_lili.has_indirect_call, 0
	.section	.AMDGPU.csdata,"",@progbits
; Kernel info:
; codeLenInByte = 3864
; TotalNumSgprs: 30
; NumVgprs: 27
; ScratchSize: 0
; MemoryBound: 0
; FloatMode: 240
; IeeeMode: 1
; LDSByteSize: 1024 bytes/workgroup (compile time only)
; SGPRBlocks: 3
; VGPRBlocks: 6
; NumSGPRsForWavesPerEU: 30
; NumVGPRsForWavesPerEU: 27
; Occupancy: 9
; WaveLimiterHint : 0
; COMPUTE_PGM_RSRC2:SCRATCH_EN: 0
; COMPUTE_PGM_RSRC2:USER_SGPR: 6
; COMPUTE_PGM_RSRC2:TRAP_HANDLER: 0
; COMPUTE_PGM_RSRC2:TGID_X_EN: 1
; COMPUTE_PGM_RSRC2:TGID_Y_EN: 0
; COMPUTE_PGM_RSRC2:TGID_Z_EN: 1
; COMPUTE_PGM_RSRC2:TIDIG_COMP_CNT: 0
	.section	.text._ZL30rocblas_trsm_small_left_deviceILi8ELi8ELb1EddPKdPdEv13rocblas_fill_18rocblas_operation_17rocblas_diagonal_iiT3_T4_lilT5_lili,"axG",@progbits,_ZL30rocblas_trsm_small_left_deviceILi8ELi8ELb1EddPKdPdEv13rocblas_fill_18rocblas_operation_17rocblas_diagonal_iiT3_T4_lilT5_lili,comdat
	.globl	_ZL30rocblas_trsm_small_left_deviceILi8ELi8ELb1EddPKdPdEv13rocblas_fill_18rocblas_operation_17rocblas_diagonal_iiT3_T4_lilT5_lili ; -- Begin function _ZL30rocblas_trsm_small_left_deviceILi8ELi8ELb1EddPKdPdEv13rocblas_fill_18rocblas_operation_17rocblas_diagonal_iiT3_T4_lilT5_lili
	.p2align	8
	.type	_ZL30rocblas_trsm_small_left_deviceILi8ELi8ELb1EddPKdPdEv13rocblas_fill_18rocblas_operation_17rocblas_diagonal_iiT3_T4_lilT5_lili,@function
_ZL30rocblas_trsm_small_left_deviceILi8ELi8ELb1EddPKdPdEv13rocblas_fill_18rocblas_operation_17rocblas_diagonal_iiT3_T4_lilT5_lili: ; @_ZL30rocblas_trsm_small_left_deviceILi8ELi8ELb1EddPKdPdEv13rocblas_fill_18rocblas_operation_17rocblas_diagonal_iiT3_T4_lilT5_lili
; %bb.0:
	s_load_dwordx4 s[8:11], s[4:5], 0x4
	s_load_dwordx4 s[0:3], s[4:5], 0x18
	s_load_dwordx2 s[20:21], s[4:5], 0x28
	s_load_dwordx4 s[12:15], s[4:5], 0x38
	s_load_dwordx2 s[16:17], s[4:5], 0x48
	s_waitcnt lgkmcnt(0)
	s_min_i32 s22, s10, 8
	v_cmp_gt_i32_e32 vcc, s22, v0
	s_and_saveexec_b64 s[18:19], vcc
	s_cbranch_execz .LBB75_6
; %bb.1:
	s_load_dword s24, s[4:5], 0x30
	s_mul_i32 s13, s13, s7
	s_mul_hi_u32 s23, s12, s7
	s_mul_i32 s12, s12, s7
	s_add_i32 s13, s23, s13
	s_waitcnt lgkmcnt(0)
	s_ashr_i32 s25, s24, 31
	s_lshl_b64 s[12:13], s[12:13], 3
	s_add_u32 s12, s2, s12
	s_addc_u32 s13, s3, s13
	s_lshl_b64 s[2:3], s[20:21], 3
	s_add_u32 s2, s12, s2
	s_addc_u32 s3, s13, s3
	v_lshlrev_b32_e32 v3, 3, v0
	v_mov_b32_e32 v2, s3
	v_add_co_u32_e32 v1, vcc, s2, v3
	s_lshl_b64 s[2:3], s[24:25], 3
	v_addc_co_u32_e32 v2, vcc, 0, v2, vcc
	v_mov_b32_e32 v4, s3
	v_mov_b32_e32 v5, v3
	s_mov_b32 s3, s22
.LBB75_2:                               ; =>This Inner Loop Header: Depth=1
	global_load_dwordx2 v[6:7], v[1:2], off
	v_add_co_u32_e32 v1, vcc, s2, v1
	s_add_i32 s3, s3, -1
	v_addc_co_u32_e32 v2, vcc, v2, v4, vcc
	s_cmp_eq_u32 s3, 0
	s_waitcnt vmcnt(0)
	ds_write_b64 v5, v[6:7]
	v_add_u32_e32 v5, 64, v5
	s_cbranch_scc0 .LBB75_2
; %bb.3:
	v_lshlrev_b32_e32 v4, 6, v0
	v_mov_b32_e32 v1, 0
	s_cmpk_lg_i32 s9, 0x84
	v_mov_b32_e32 v2, 0x3ff00000
	v_add_u32_e32 v3, v3, v4
	s_cbranch_scc0 .LBB75_5
; %bb.4:
	ds_read_b64 v[1:2], v3
	s_waitcnt lgkmcnt(0)
	v_div_scale_f64 v[4:5], s[2:3], v[1:2], v[1:2], 1.0
	v_div_scale_f64 v[10:11], vcc, 1.0, v[1:2], 1.0
	v_rcp_f64_e32 v[6:7], v[4:5]
	v_fma_f64 v[8:9], -v[4:5], v[6:7], 1.0
	v_fma_f64 v[6:7], v[6:7], v[8:9], v[6:7]
	v_fma_f64 v[8:9], -v[4:5], v[6:7], 1.0
	v_fma_f64 v[6:7], v[6:7], v[8:9], v[6:7]
	v_mul_f64 v[8:9], v[10:11], v[6:7]
	v_fma_f64 v[4:5], -v[4:5], v[8:9], v[10:11]
	v_div_fmas_f64 v[4:5], v[4:5], v[6:7], v[8:9]
	v_div_fixup_f64 v[1:2], v[4:5], v[1:2], 1.0
.LBB75_5:
	ds_write_b64 v3, v[1:2]
.LBB75_6:
	s_or_b64 exec, exec, s[18:19]
	s_load_dword s2, s[4:5], 0x68
	s_waitcnt lgkmcnt(0)
	; wave barrier
	s_add_i32 s3, s2, -1
	s_lshl_b32 s2, s6, 3
	s_sub_i32 s9, s11, s2
	s_cmp_ge_u32 s6, s3
	s_cselect_b32 s3, s9, 8
	v_cmp_gt_i32_e32 vcc, s3, v0
	s_and_saveexec_b64 s[12:13], vcc
	s_cbranch_execz .LBB75_46
; %bb.7:
	s_load_dwordx2 s[12:13], s[4:5], 0x58
	s_load_dword s6, s[4:5], 0x50
	v_add_u32_e32 v0, s2, v0
	s_waitcnt lgkmcnt(0)
	s_mul_i32 s3, s13, s7
	s_mul_hi_u32 s4, s12, s7
	s_mul_i32 s2, s12, s7
	s_add_i32 s3, s4, s3
	s_lshl_b64 s[2:3], s[2:3], 3
	s_add_u32 s4, s14, s2
	s_addc_u32 s5, s15, s3
	v_mad_i64_i32 v[0:1], s[2:3], s6, v0, 0
	s_lshl_b64 s[2:3], s[16:17], 3
	s_add_u32 s2, s4, s2
	v_lshlrev_b64 v[0:1], 3, v[0:1]
	s_addc_u32 s3, s5, s3
	v_mov_b32_e32 v2, s3
	v_add_co_u32_e32 v0, vcc, s2, v0
	v_addc_co_u32_e32 v1, vcc, v2, v1, vcc
	s_cmpk_eq_i32 s8, 0x6f
	s_mov_b64 s[2:3], -1
	s_cbranch_scc1 .LBB75_30
; %bb.8:
	s_add_i32 s6, s22, -1
	s_cmp_gt_i32 s10, 7
	s_mov_b32 s2, -1
	s_cbranch_scc0 .LBB75_10
; %bb.9:
	global_load_dwordx4 v[2:5], v[0:1], off offset:48
	v_mov_b32_e32 v24, 0
	ds_read_b128 v[10:13], v24 offset:432
	s_waitcnt vmcnt(0)
	v_mul_f64 v[8:9], s[0:1], v[4:5]
	ds_read2_b64 v[4:7], v24 offset0:47 offset1:63
	s_waitcnt lgkmcnt(0)
	v_mul_f64 v[8:9], v[8:9], v[6:7]
	v_mul_f64 v[6:7], v[8:9], v[12:13]
	;; [unrolled: 1-line block ×3, first 2 shown]
	v_fma_f64 v[2:3], s[0:1], v[2:3], -v[6:7]
	v_mul_f64 v[6:7], v[2:3], v[10:11]
	global_load_dwordx4 v[10:13], v[0:1], off offset:32
	ds_read_b128 v[2:5], v24 offset:304
	s_waitcnt lgkmcnt(0)
	v_mul_f64 v[4:5], v[8:9], v[4:5]
	s_waitcnt vmcnt(0)
	v_fma_f64 v[4:5], s[0:1], v[10:11], -v[4:5]
	v_fma_f64 v[10:11], s[0:1], v[12:13], -v[14:15]
	v_fma_f64 v[14:15], -v[6:7], v[2:3], v[4:5]
	ds_read2_b64 v[2:5], v24 offset0:45 offset1:46
	s_waitcnt lgkmcnt(0)
	v_fma_f64 v[4:5], -v[6:7], v[4:5], v[10:11]
	ds_read_b128 v[10:13], v24 offset:288
	v_mul_f64 v[4:5], v[4:5], v[2:3]
	s_waitcnt lgkmcnt(0)
	v_fma_f64 v[2:3], -v[4:5], v[12:13], v[14:15]
	v_mul_f64 v[2:3], v[2:3], v[10:11]
	ds_read_b128 v[10:13], v24 offset:176
	s_waitcnt lgkmcnt(0)
	v_mul_f64 v[16:17], v[8:9], v[12:13]
	global_load_dwordx4 v[12:15], v[0:1], off offset:16
	s_waitcnt vmcnt(0)
	v_fma_f64 v[12:13], s[0:1], v[12:13], -v[16:17]
	ds_read2_b64 v[16:19], v24 offset0:15 offset1:31
	s_waitcnt lgkmcnt(0)
	v_mul_f64 v[18:19], v[8:9], v[18:19]
	v_fma_f64 v[14:15], s[0:1], v[14:15], -v[18:19]
	v_fma_f64 v[18:19], -v[6:7], v[10:11], v[12:13]
	ds_read2_b64 v[10:13], v24 offset0:29 offset1:30
	s_waitcnt lgkmcnt(0)
	v_fma_f64 v[12:13], -v[6:7], v[12:13], v[14:15]
	v_fma_f64 v[14:15], -v[4:5], v[10:11], v[12:13]
	ds_read_b128 v[10:13], v24 offset:160
	s_waitcnt lgkmcnt(0)
	v_fma_f64 v[12:13], -v[4:5], v[12:13], v[18:19]
	ds_read_b128 v[18:21], v24 offset:144
	v_fma_f64 v[22:23], -v[2:3], v[10:11], v[12:13]
	ds_read2_b64 v[10:13], v24 offset0:27 offset1:28
	s_waitcnt lgkmcnt(0)
	v_fma_f64 v[12:13], -v[2:3], v[12:13], v[14:15]
	v_mul_f64 v[12:13], v[12:13], v[10:11]
	v_fma_f64 v[10:11], -v[12:13], v[20:21], v[22:23]
	v_mul_f64 v[20:21], v[8:9], v[16:17]
	ds_read_b128 v[14:17], v24 offset:48
	s_waitcnt lgkmcnt(0)
	v_mul_f64 v[22:23], v[8:9], v[16:17]
	v_mul_f64 v[10:11], v[10:11], v[18:19]
	global_load_dwordx4 v[16:19], v[0:1], off
	s_waitcnt vmcnt(0)
	v_fma_f64 v[16:17], s[0:1], v[16:17], -v[22:23]
	v_fma_f64 v[18:19], s[0:1], v[18:19], -v[20:21]
	v_fma_f64 v[20:21], -v[6:7], v[14:15], v[16:17]
	ds_read2_b64 v[14:17], v24 offset0:13 offset1:14
	s_waitcnt lgkmcnt(0)
	v_fma_f64 v[16:17], -v[6:7], v[16:17], v[18:19]
	v_fma_f64 v[18:19], -v[4:5], v[14:15], v[16:17]
	ds_read_b128 v[14:17], v24 offset:32
	s_waitcnt lgkmcnt(0)
	v_fma_f64 v[16:17], -v[4:5], v[16:17], v[20:21]
	v_fma_f64 v[20:21], -v[2:3], v[14:15], v[16:17]
	ds_read2_b64 v[14:17], v24 offset0:11 offset1:12
	s_waitcnt lgkmcnt(0)
	v_fma_f64 v[16:17], -v[2:3], v[16:17], v[18:19]
	v_fma_f64 v[18:19], -v[12:13], v[14:15], v[16:17]
	ds_read_b128 v[14:17], v24 offset:16
	s_waitcnt lgkmcnt(0)
	v_fma_f64 v[16:17], -v[12:13], v[16:17], v[20:21]
	v_fma_f64 v[22:23], -v[10:11], v[14:15], v[16:17]
	ds_read2_b64 v[14:17], v24 offset0:9 offset1:10
	s_waitcnt lgkmcnt(0)
	v_fma_f64 v[16:17], -v[10:11], v[16:17], v[18:19]
	ds_read_b128 v[18:21], v24
	v_mul_f64 v[16:17], v[16:17], v[14:15]
	s_waitcnt lgkmcnt(0)
	v_fma_f64 v[14:15], -v[16:17], v[20:21], v[22:23]
	v_mul_f64 v[14:15], v[14:15], v[18:19]
	global_store_dwordx4 v[0:1], v[6:9], off offset:48
	global_store_dwordx4 v[0:1], v[2:5], off offset:32
	;; [unrolled: 1-line block ×3, first 2 shown]
	global_store_dwordx4 v[0:1], v[14:17], off
	s_cmp_gt_i32 s2, -1
	s_cbranch_scc1 .LBB75_11
	s_branch .LBB75_29
.LBB75_10:
	s_mov_b32 s2, s6
	s_cmp_gt_i32 s2, -1
	s_cbranch_scc0 .LBB75_29
.LBB75_11:
	s_cmp_lt_u32 s2, 3
	s_cbranch_scc1 .LBB75_16
; %bb.12:
	s_mov_b32 s5, 0
	s_mov_b32 s3, s5
	s_lshl_b64 s[8:9], s[2:3], 3
	v_mov_b32_e32 v3, s9
	v_add_co_u32_e32 v2, vcc, s8, v0
	v_addc_co_u32_e32 v3, vcc, v1, v3, vcc
	global_load_dwordx4 v[4:7], v[2:3], off offset:-8
	global_load_dwordx4 v[12:15], v[2:3], off offset:-24
	s_cmp_le_i32 s6, s2
	s_waitcnt vmcnt(1)
	v_mul_f64 v[10:11], s[0:1], v[6:7]
	v_mul_f64 v[8:9], s[0:1], v[4:5]
	s_waitcnt vmcnt(0)
	v_mul_f64 v[6:7], s[0:1], v[14:15]
	v_mul_f64 v[4:5], s[0:1], v[12:13]
	s_cbranch_scc1 .LBB75_15
; %bb.13:
	s_lshl_b32 s3, s2, 6
	s_lshl_b32 s4, s22, 3
	s_add_i32 s3, s3, s4
	s_addk_i32 s3, 0xff38
	s_mov_b32 s4, s6
.LBB75_14:                              ; =>This Inner Loop Header: Depth=1
	s_lshl_b64 s[8:9], s[4:5], 3
	v_mov_b32_e32 v13, s9
	v_add_co_u32_e32 v12, vcc, s8, v0
	v_addc_co_u32_e32 v13, vcc, v1, v13, vcc
	global_load_dwordx2 v[20:21], v[12:13], off
	v_mov_b32_e32 v16, s3
	ds_read2_b64 v[12:15], v16 offset0:16 offset1:24
	ds_read2_b64 v[16:19], v16 offset1:8
	s_add_i32 s4, s4, -1
	s_add_i32 s3, s3, -8
	s_cmp_gt_i32 s4, s2
	s_waitcnt vmcnt(0) lgkmcnt(1)
	v_fma_f64 v[10:11], -v[20:21], v[14:15], v[10:11]
	v_fma_f64 v[8:9], -v[20:21], v[12:13], v[8:9]
	s_waitcnt lgkmcnt(0)
	v_fma_f64 v[6:7], -v[20:21], v[18:19], v[6:7]
	v_fma_f64 v[4:5], -v[20:21], v[16:17], v[4:5]
	s_cbranch_scc1 .LBB75_14
.LBB75_15:
	s_mul_i32 s3, s2, 0x48
	v_mov_b32_e32 v12, s3
	ds_read_b64 v[16:17], v12
	s_add_i32 s4, s2, -1
	s_lshl_b32 s3, s4, 6
	s_lshl_b32 s5, s4, 3
	s_add_i32 s3, s3, s5
	s_waitcnt lgkmcnt(0)
	v_mul_f64 v[20:21], v[10:11], v[16:17]
	v_mov_b32_e32 v12, s3
	ds_read2_b64 v[12:15], v12 offset1:1
	s_mov_b32 s5, 0
	s_lshl_b64 s[8:9], s[4:5], 3
	s_add_i32 s4, s2, -2
	s_lshl_b32 s3, s2, 3
	s_lshl_b32 s7, s4, 6
	s_waitcnt lgkmcnt(0)
	v_fma_f64 v[14:15], -v[20:21], v[14:15], v[8:9]
	s_add_i32 s12, s7, s3
	v_mov_b32_e32 v8, s12
	ds_read_b64 v[16:17], v8
	s_lshl_b32 s11, s4, 3
	s_add_i32 s7, s7, s11
	s_lshl_b64 s[12:13], s[4:5], 3
	s_add_i32 s4, s2, -3
	v_mov_b32_e32 v8, s7
	s_lshl_b32 s7, s4, 6
	v_mul_f64 v[22:23], v[14:15], v[12:13]
	s_waitcnt lgkmcnt(0)
	v_fma_f64 v[6:7], -v[20:21], v[16:17], v[6:7]
	s_add_i32 s3, s7, s3
	s_add_i32 s3, s3, -8
	v_mov_b32_e32 v12, s3
	ds_read2_b64 v[8:11], v8 offset1:1
	ds_read2_b64 v[12:15], v12 offset1:1
	s_lshl_b32 s3, s4, 3
	s_add_i32 s3, s7, s3
	v_mov_b32_e32 v16, s3
	s_waitcnt lgkmcnt(1)
	v_fma_f64 v[6:7], -v[22:23], v[10:11], v[6:7]
	s_waitcnt lgkmcnt(0)
	v_fma_f64 v[4:5], -v[20:21], v[14:15], v[4:5]
	ds_read2_b64 v[16:19], v16 offset1:1
	v_mov_b32_e32 v11, s13
	s_lshl_b64 s[4:5], s[4:5], 3
	s_add_i32 s2, s2, -4
	v_mul_f64 v[6:7], v[6:7], v[8:9]
	v_fma_f64 v[4:5], -v[22:23], v[12:13], v[4:5]
	v_mov_b32_e32 v9, s9
	v_add_co_u32_e32 v8, vcc, s8, v0
	v_addc_co_u32_e32 v9, vcc, v1, v9, vcc
	v_add_co_u32_e32 v10, vcc, s12, v0
	s_waitcnt lgkmcnt(0)
	v_fma_f64 v[4:5], -v[6:7], v[18:19], v[4:5]
	v_addc_co_u32_e32 v11, vcc, v1, v11, vcc
	v_mov_b32_e32 v13, s5
	v_add_co_u32_e32 v12, vcc, s4, v0
	v_addc_co_u32_e32 v13, vcc, v1, v13, vcc
	v_mul_f64 v[4:5], v[4:5], v[16:17]
	global_store_dwordx2 v[2:3], v[20:21], off
	global_store_dwordx2 v[8:9], v[22:23], off
	;; [unrolled: 1-line block ×4, first 2 shown]
.LBB75_16:
	s_cmp_lt_i32 s2, 0
	s_cbranch_scc1 .LBB75_29
; %bb.17:
	s_bitcmp1_b32 s2, 0
	s_cselect_b64 s[4:5], -1, 0
	s_and_b64 vcc, exec, s[4:5]
	s_mov_b32 s4, s2
	s_cbranch_vccnz .LBB75_22
; %bb.18:
	s_mov_b32 s5, 0
	s_mov_b32 s3, s5
	s_lshl_b64 s[8:9], s[2:3], 3
	v_mov_b32_e32 v3, s9
	v_add_co_u32_e32 v2, vcc, s8, v0
	v_addc_co_u32_e32 v3, vcc, v1, v3, vcc
	global_load_dwordx2 v[4:5], v[2:3], off
	s_cmp_le_i32 s6, s2
	s_waitcnt vmcnt(0)
	v_mul_f64 v[4:5], s[0:1], v[4:5]
	s_cbranch_scc1 .LBB75_21
; %bb.19:
	s_lshl_b32 s3, s2, 6
	s_lshl_b32 s4, s22, 3
	s_add_i32 s3, s3, s4
	s_add_i32 s3, s3, -8
	s_mov_b32 s4, s6
.LBB75_20:                              ; =>This Inner Loop Header: Depth=1
	s_lshl_b64 s[8:9], s[4:5], 3
	v_mov_b32_e32 v7, s9
	v_add_co_u32_e32 v6, vcc, s8, v0
	v_addc_co_u32_e32 v7, vcc, v1, v7, vcc
	global_load_dwordx2 v[6:7], v[6:7], off
	v_mov_b32_e32 v8, s3
	ds_read_b64 v[8:9], v8
	s_add_i32 s4, s4, -1
	s_add_i32 s3, s3, -8
	s_cmp_gt_i32 s4, s2
	s_waitcnt vmcnt(0) lgkmcnt(0)
	v_fma_f64 v[4:5], -v[6:7], v[8:9], v[4:5]
	s_cbranch_scc1 .LBB75_20
.LBB75_21:
	s_mul_i32 s3, s2, 0x48
	v_mov_b32_e32 v6, s3
	ds_read_b64 v[6:7], v6
	s_add_i32 s4, s2, -1
	s_waitcnt lgkmcnt(0)
	v_mul_f64 v[4:5], v[4:5], v[6:7]
	global_store_dwordx2 v[2:3], v[4:5], off
.LBB75_22:
	s_cmp_eq_u32 s2, 0
	s_mov_b32 s3, 0
	s_cbranch_scc1 .LBB75_29
; %bb.23:
	s_lshl_b32 s2, s4, 6
	s_lshl_b32 s5, s22, 3
	s_add_i32 s2, s2, s5
	s_add_i32 s7, s2, -8
	s_add_i32 s8, s2, 0xffffffb8
	s_branch .LBB75_25
.LBB75_24:                              ;   in Loop: Header=BB75_25 Depth=1
	s_add_i32 s2, s5, 0xffffffb8
	v_mov_b32_e32 v2, s2
	ds_read_b64 v[2:3], v2
	s_add_i32 s2, s4, -2
	s_addk_i32 s7, 0xff80
	s_addk_i32 s8, 0xff80
	s_cmp_lt_i32 s4, 2
	s_waitcnt lgkmcnt(0)
	v_mul_f64 v[2:3], v[6:7], v[2:3]
	s_mov_b32 s4, s2
	global_store_dwordx2 v[4:5], v[2:3], off
	s_cbranch_scc1 .LBB75_29
.LBB75_25:                              ; =>This Loop Header: Depth=1
                                        ;     Child Loop BB75_26 Depth 2
                                        ;     Child Loop BB75_28 Depth 2
	s_mov_b32 s5, s3
	s_lshl_b64 s[12:13], s[4:5], 3
	v_mov_b32_e32 v3, s13
	v_add_co_u32_e32 v2, vcc, s12, v0
	v_addc_co_u32_e32 v3, vcc, v1, v3, vcc
	global_load_dwordx2 v[4:5], v[2:3], off
	s_cmp_le_i32 s6, s4
	s_mov_b32 s5, s7
	s_mov_b32 s2, s6
	s_waitcnt vmcnt(0)
	v_mul_f64 v[6:7], s[0:1], v[4:5]
	s_cbranch_scc1 .LBB75_27
.LBB75_26:                              ;   Parent Loop BB75_25 Depth=1
                                        ; =>  This Inner Loop Header: Depth=2
	s_lshl_b64 s[12:13], s[2:3], 3
	v_mov_b32_e32 v5, s13
	v_add_co_u32_e32 v4, vcc, s12, v0
	v_addc_co_u32_e32 v5, vcc, v1, v5, vcc
	global_load_dwordx2 v[4:5], v[4:5], off
	v_mov_b32_e32 v8, s5
	ds_read_b64 v[8:9], v8
	s_add_i32 s2, s2, -1
	s_add_i32 s5, s5, -8
	s_cmp_gt_i32 s2, s4
	s_waitcnt vmcnt(0) lgkmcnt(0)
	v_fma_f64 v[6:7], -v[4:5], v[8:9], v[6:7]
	s_cbranch_scc1 .LBB75_26
.LBB75_27:                              ;   in Loop: Header=BB75_25 Depth=1
	s_add_i32 s2, s4, -1
	s_lshl_b64 s[12:13], s[2:3], 3
	v_mov_b32_e32 v5, s13
	v_add_co_u32_e32 v4, vcc, s12, v0
	v_addc_co_u32_e32 v5, vcc, v1, v5, vcc
	global_load_dwordx2 v[8:9], v[4:5], off
	s_mul_i32 s5, s4, 0x48
	v_mov_b32_e32 v10, s5
	ds_read_b64 v[10:11], v10
	s_cmp_le_i32 s22, s4
	s_mov_b32 s9, s8
	s_mov_b32 s2, s22
	s_waitcnt lgkmcnt(0)
	v_mul_f64 v[10:11], v[6:7], v[10:11]
	global_store_dwordx2 v[2:3], v[10:11], off
	s_waitcnt vmcnt(1)
	v_mul_f64 v[6:7], s[0:1], v[8:9]
	s_cbranch_scc1 .LBB75_24
.LBB75_28:                              ;   Parent Loop BB75_25 Depth=1
                                        ; =>  This Inner Loop Header: Depth=2
	s_add_i32 s2, s2, -1
	s_lshl_b64 s[12:13], s[2:3], 3
	v_mov_b32_e32 v3, s13
	v_add_co_u32_e32 v2, vcc, s12, v0
	v_addc_co_u32_e32 v3, vcc, v1, v3, vcc
	global_load_dwordx2 v[2:3], v[2:3], off
	v_mov_b32_e32 v8, s9
	ds_read_b64 v[8:9], v8
	s_add_i32 s9, s9, -8
	s_cmp_gt_i32 s2, s4
	s_waitcnt vmcnt(0) lgkmcnt(0)
	v_fma_f64 v[6:7], -v[2:3], v[8:9], v[6:7]
	s_cbranch_scc1 .LBB75_28
	s_branch .LBB75_24
.LBB75_29:
	s_mov_b64 s[2:3], 0
.LBB75_30:
	s_and_b64 vcc, exec, s[2:3]
	s_cbranch_vccz .LBB75_46
; %bb.31:
	s_cmp_gt_i32 s10, 7
	s_cbranch_scc0 .LBB75_33
; %bb.32:
	global_load_dwordx4 v[2:5], v[0:1], off
	v_mov_b32_e32 v26, 0
	ds_read_b128 v[6:9], v26
	s_mov_b32 s2, 8
	s_waitcnt vmcnt(0)
	v_mul_f64 v[2:3], s[0:1], v[2:3]
	s_waitcnt lgkmcnt(0)
	v_mul_f64 v[2:3], v[2:3], v[6:7]
	v_mul_f64 v[10:11], v[2:3], v[8:9]
	ds_read_b128 v[6:9], v26 offset:16
	s_waitcnt lgkmcnt(0)
	v_mul_f64 v[12:13], v[2:3], v[6:7]
	v_mul_f64 v[8:9], v[2:3], v[8:9]
	v_fma_f64 v[10:11], s[0:1], v[4:5], -v[10:11]
	global_load_dwordx4 v[4:7], v[0:1], off offset:16
	s_waitcnt vmcnt(0)
	v_fma_f64 v[12:13], s[0:1], v[4:5], -v[12:13]
	v_fma_f64 v[14:15], s[0:1], v[6:7], -v[8:9]
	ds_read_b128 v[4:7], v26 offset:32
	s_waitcnt lgkmcnt(0)
	v_mul_f64 v[8:9], v[2:3], v[4:5]
	v_mul_f64 v[16:17], v[2:3], v[6:7]
	global_load_dwordx4 v[4:7], v[0:1], off offset:32
	s_waitcnt vmcnt(0)
	v_fma_f64 v[18:19], s[0:1], v[4:5], -v[8:9]
	v_fma_f64 v[16:17], s[0:1], v[6:7], -v[16:17]
	ds_read_b128 v[4:7], v26 offset:48
	s_waitcnt lgkmcnt(0)
	v_mul_f64 v[8:9], v[2:3], v[4:5]
	v_mul_f64 v[20:21], v[2:3], v[6:7]
	global_load_dwordx4 v[4:7], v[0:1], off offset:48
	s_waitcnt vmcnt(0)
	v_fma_f64 v[22:23], s[0:1], v[4:5], -v[8:9]
	v_fma_f64 v[20:21], s[0:1], v[6:7], -v[20:21]
	ds_read2_b64 v[4:7], v26 offset0:9 offset1:10
	s_waitcnt lgkmcnt(0)
	v_mul_f64 v[4:5], v[10:11], v[4:5]
	v_fma_f64 v[10:11], -v[4:5], v[6:7], v[12:13]
	ds_read2_b64 v[6:9], v26 offset0:11 offset1:12
	s_waitcnt lgkmcnt(0)
	v_fma_f64 v[12:13], -v[4:5], v[6:7], v[14:15]
	v_fma_f64 v[14:15], -v[4:5], v[8:9], v[18:19]
	ds_read2_b64 v[6:9], v26 offset0:13 offset1:14
	s_waitcnt lgkmcnt(0)
	v_fma_f64 v[16:17], -v[4:5], v[6:7], v[16:17]
	v_fma_f64 v[18:19], -v[4:5], v[8:9], v[22:23]
	ds_read_b128 v[6:9], v26 offset:144
	s_waitcnt lgkmcnt(0)
	v_mul_f64 v[6:7], v[10:11], v[6:7]
	v_fma_f64 v[22:23], -v[6:7], v[8:9], v[12:13]
	ds_read_b128 v[8:11], v26 offset:160
	s_waitcnt lgkmcnt(0)
	v_fma_f64 v[24:25], -v[6:7], v[8:9], v[14:15]
	v_fma_f64 v[16:17], -v[6:7], v[10:11], v[16:17]
	ds_read2_b64 v[8:11], v26 offset0:15 offset1:31
	ds_read_b128 v[12:15], v26 offset:176
	s_waitcnt lgkmcnt(1)
	v_fma_f64 v[8:9], -v[4:5], v[8:9], v[20:21]
	s_waitcnt lgkmcnt(0)
	v_fma_f64 v[18:19], -v[6:7], v[12:13], v[18:19]
	v_fma_f64 v[20:21], -v[6:7], v[14:15], v[8:9]
	ds_read2_b64 v[12:15], v26 offset0:27 offset1:28
	s_waitcnt lgkmcnt(0)
	v_mul_f64 v[8:9], v[22:23], v[12:13]
	v_fma_f64 v[22:23], -v[8:9], v[14:15], v[24:25]
	ds_read2_b64 v[12:15], v26 offset0:29 offset1:30
	v_fma_f64 v[20:21], -v[8:9], v[10:11], v[20:21]
	s_waitcnt lgkmcnt(0)
	v_fma_f64 v[16:17], -v[8:9], v[12:13], v[16:17]
	ds_read_b128 v[10:13], v26 offset:288
	v_fma_f64 v[18:19], -v[8:9], v[14:15], v[18:19]
	s_waitcnt lgkmcnt(0)
	v_mul_f64 v[10:11], v[22:23], v[10:11]
	v_fma_f64 v[16:17], -v[10:11], v[12:13], v[16:17]
	ds_read_b128 v[12:15], v26 offset:304
	s_waitcnt lgkmcnt(0)
	v_fma_f64 v[18:19], -v[10:11], v[12:13], v[18:19]
	v_fma_f64 v[20:21], -v[10:11], v[14:15], v[20:21]
	ds_read2_b64 v[12:15], v26 offset0:45 offset1:46
	s_waitcnt lgkmcnt(0)
	v_mul_f64 v[12:13], v[16:17], v[12:13]
	v_fma_f64 v[22:23], -v[12:13], v[14:15], v[18:19]
	ds_read2_b64 v[14:17], v26 offset0:47 offset1:63
	s_waitcnt lgkmcnt(0)
	v_fma_f64 v[24:25], -v[12:13], v[14:15], v[20:21]
	ds_read_b128 v[18:21], v26 offset:432
	s_waitcnt lgkmcnt(0)
	v_mul_f64 v[14:15], v[22:23], v[18:19]
	v_fma_f64 v[18:19], -v[14:15], v[20:21], v[24:25]
	v_mul_f64 v[16:17], v[18:19], v[16:17]
	global_store_dwordx4 v[0:1], v[2:5], off
	global_store_dwordx4 v[0:1], v[6:9], off offset:16
	global_store_dwordx4 v[0:1], v[10:13], off offset:32
	;; [unrolled: 1-line block ×3, first 2 shown]
	s_cmp_lt_i32 s2, s22
	s_cbranch_scc1 .LBB75_34
	s_branch .LBB75_46
.LBB75_33:
	s_mov_b32 s2, 0
	s_cmp_lt_i32 s2, s22
	s_cbranch_scc0 .LBB75_46
.LBB75_34:
	s_or_b32 s3, s2, 3
	s_cmp_ge_u32 s3, s22
	s_cbranch_scc1 .LBB75_40
; %bb.35:
	s_lshl_b32 s5, s2, 3
	s_mov_b32 s3, 0
.LBB75_36:                              ; =>This Loop Header: Depth=1
                                        ;     Child Loop BB75_37 Depth 2
	s_lshl_b64 s[6:7], s[2:3], 3
	v_mov_b32_e32 v3, s7
	v_add_co_u32_e32 v2, vcc, s6, v0
	v_addc_co_u32_e32 v3, vcc, v1, v3, vcc
	global_load_dwordx4 v[4:7], v[2:3], off
	global_load_dwordx4 v[12:15], v[2:3], off offset:16
	s_cmp_eq_u32 s2, 0
	s_mov_b32 s4, s5
	s_mov_b32 s6, s2
	s_waitcnt vmcnt(1)
	v_mul_f64 v[8:9], s[0:1], v[4:5]
	v_mul_f64 v[10:11], s[0:1], v[6:7]
	s_waitcnt vmcnt(0)
	v_mul_f64 v[6:7], s[0:1], v[12:13]
	v_mul_f64 v[4:5], s[0:1], v[14:15]
	v_mov_b32_e32 v13, v1
	v_mov_b32_e32 v12, v0
	s_cbranch_scc1 .LBB75_38
.LBB75_37:                              ;   Parent Loop BB75_36 Depth=1
                                        ; =>  This Inner Loop Header: Depth=2
	global_load_dwordx2 v[22:23], v[12:13], off
	v_mov_b32_e32 v18, s4
	ds_read_b128 v[14:17], v18
	ds_read_b128 v[18:21], v18 offset:16
	s_add_i32 s6, s6, -1
	s_add_i32 s4, s4, 64
	v_add_co_u32_e32 v12, vcc, 8, v12
	s_cmp_lg_u32 s6, 0
	v_addc_co_u32_e32 v13, vcc, 0, v13, vcc
	s_waitcnt vmcnt(0) lgkmcnt(1)
	v_fma_f64 v[8:9], -v[22:23], v[14:15], v[8:9]
	v_fma_f64 v[10:11], -v[22:23], v[16:17], v[10:11]
	s_waitcnt lgkmcnt(0)
	v_fma_f64 v[6:7], -v[22:23], v[18:19], v[6:7]
	v_fma_f64 v[4:5], -v[22:23], v[20:21], v[4:5]
	s_cbranch_scc1 .LBB75_37
.LBB75_38:                              ;   in Loop: Header=BB75_36 Depth=1
	s_lshl_b32 s4, s2, 3
	s_lshl_b32 s6, s2, 6
	s_add_i32 s4, s4, s6
	v_mov_b32_e32 v24, s4
	ds_read_b128 v[12:15], v24
	ds_read_b128 v[16:19], v24 offset:16
	s_add_i32 s4, s2, 4
	s_add_i32 s2, s2, 7
	s_add_i32 s5, s5, 32
	s_waitcnt lgkmcnt(1)
	v_mul_f64 v[8:9], v[8:9], v[12:13]
	s_cmp_lt_i32 s2, s22
	v_fma_f64 v[14:15], -v[8:9], v[14:15], v[10:11]
	ds_read2_b64 v[10:13], v24 offset0:9 offset1:10
	ds_read_b128 v[20:23], v24 offset:144
	s_waitcnt lgkmcnt(2)
	v_fma_f64 v[6:7], -v[8:9], v[16:17], v[6:7]
	s_waitcnt lgkmcnt(1)
	v_mul_f64 v[10:11], v[14:15], v[10:11]
	v_fma_f64 v[14:15], -v[8:9], v[18:19], v[4:5]
	v_fma_f64 v[12:13], -v[10:11], v[12:13], v[6:7]
	ds_read2_b64 v[4:7], v24 offset0:11 offset1:27
	global_store_dwordx4 v[2:3], v[8:11], off
	s_waitcnt lgkmcnt(0)
	v_fma_f64 v[4:5], -v[10:11], v[4:5], v[14:15]
	v_mul_f64 v[12:13], v[12:13], v[20:21]
	v_fma_f64 v[4:5], -v[12:13], v[22:23], v[4:5]
	v_mul_f64 v[14:15], v[4:5], v[6:7]
	global_store_dwordx4 v[2:3], v[12:15], off offset:16
	s_cbranch_scc0 .LBB75_41
; %bb.39:                               ;   in Loop: Header=BB75_36 Depth=1
	s_mov_b32 s2, s4
	s_branch .LBB75_36
.LBB75_40:
	s_mov_b32 s4, s2
.LBB75_41:
	s_cmp_ge_i32 s4, s22
	s_cbranch_scc1 .LBB75_46
; %bb.42:
	s_lshl_b32 s2, s4, 3
	s_branch .LBB75_44
.LBB75_43:                              ;   in Loop: Header=BB75_44 Depth=1
	s_mul_i32 s3, s4, 0x48
	v_mov_b32_e32 v6, s3
	ds_read_b64 v[6:7], v6
	s_add_i32 s4, s4, 1
	s_add_i32 s2, s2, 8
	s_cmp_ge_i32 s4, s22
	s_waitcnt lgkmcnt(0)
	v_mul_f64 v[4:5], v[4:5], v[6:7]
	global_store_dwordx2 v[2:3], v[4:5], off
	s_cbranch_scc1 .LBB75_46
.LBB75_44:                              ; =>This Loop Header: Depth=1
                                        ;     Child Loop BB75_45 Depth 2
	s_ashr_i32 s5, s4, 31
	s_lshl_b64 s[6:7], s[4:5], 3
	v_mov_b32_e32 v3, s7
	v_add_co_u32_e32 v2, vcc, s6, v0
	v_addc_co_u32_e32 v3, vcc, v1, v3, vcc
	global_load_dwordx2 v[4:5], v[2:3], off
	v_mov_b32_e32 v7, v1
	s_cmp_eq_u32 s4, 0
	v_mov_b32_e32 v6, v0
	s_mov_b32 s3, s2
	s_mov_b32 s5, s4
	s_waitcnt vmcnt(0)
	v_mul_f64 v[4:5], s[0:1], v[4:5]
	s_cbranch_scc1 .LBB75_43
.LBB75_45:                              ;   Parent Loop BB75_44 Depth=1
                                        ; =>  This Inner Loop Header: Depth=2
	global_load_dwordx2 v[8:9], v[6:7], off
	v_mov_b32_e32 v10, s3
	ds_read_b64 v[10:11], v10
	s_add_i32 s5, s5, -1
	s_add_i32 s3, s3, 64
	v_add_co_u32_e32 v6, vcc, 8, v6
	s_cmp_lg_u32 s5, 0
	v_addc_co_u32_e32 v7, vcc, 0, v7, vcc
	s_waitcnt vmcnt(0) lgkmcnt(0)
	v_fma_f64 v[4:5], -v[8:9], v[10:11], v[4:5]
	s_cbranch_scc1 .LBB75_45
	s_branch .LBB75_43
.LBB75_46:
	s_endpgm
	.section	.rodata,"a",@progbits
	.p2align	6, 0x0
	.amdhsa_kernel _ZL30rocblas_trsm_small_left_deviceILi8ELi8ELb1EddPKdPdEv13rocblas_fill_18rocblas_operation_17rocblas_diagonal_iiT3_T4_lilT5_lili
		.amdhsa_group_segment_fixed_size 512
		.amdhsa_private_segment_fixed_size 0
		.amdhsa_kernarg_size 360
		.amdhsa_user_sgpr_count 6
		.amdhsa_user_sgpr_private_segment_buffer 1
		.amdhsa_user_sgpr_dispatch_ptr 0
		.amdhsa_user_sgpr_queue_ptr 0
		.amdhsa_user_sgpr_kernarg_segment_ptr 1
		.amdhsa_user_sgpr_dispatch_id 0
		.amdhsa_user_sgpr_flat_scratch_init 0
		.amdhsa_user_sgpr_private_segment_size 0
		.amdhsa_uses_dynamic_stack 0
		.amdhsa_system_sgpr_private_segment_wavefront_offset 0
		.amdhsa_system_sgpr_workgroup_id_x 1
		.amdhsa_system_sgpr_workgroup_id_y 0
		.amdhsa_system_sgpr_workgroup_id_z 1
		.amdhsa_system_sgpr_workgroup_info 0
		.amdhsa_system_vgpr_workitem_id 0
		.amdhsa_next_free_vgpr 27
		.amdhsa_next_free_sgpr 26
		.amdhsa_reserve_vcc 1
		.amdhsa_reserve_flat_scratch 0
		.amdhsa_float_round_mode_32 0
		.amdhsa_float_round_mode_16_64 0
		.amdhsa_float_denorm_mode_32 3
		.amdhsa_float_denorm_mode_16_64 3
		.amdhsa_dx10_clamp 1
		.amdhsa_ieee_mode 1
		.amdhsa_fp16_overflow 0
		.amdhsa_exception_fp_ieee_invalid_op 0
		.amdhsa_exception_fp_denorm_src 0
		.amdhsa_exception_fp_ieee_div_zero 0
		.amdhsa_exception_fp_ieee_overflow 0
		.amdhsa_exception_fp_ieee_underflow 0
		.amdhsa_exception_fp_ieee_inexact 0
		.amdhsa_exception_int_div_zero 0
	.end_amdhsa_kernel
	.section	.text._ZL30rocblas_trsm_small_left_deviceILi8ELi8ELb1EddPKdPdEv13rocblas_fill_18rocblas_operation_17rocblas_diagonal_iiT3_T4_lilT5_lili,"axG",@progbits,_ZL30rocblas_trsm_small_left_deviceILi8ELi8ELb1EddPKdPdEv13rocblas_fill_18rocblas_operation_17rocblas_diagonal_iiT3_T4_lilT5_lili,comdat
.Lfunc_end75:
	.size	_ZL30rocblas_trsm_small_left_deviceILi8ELi8ELb1EddPKdPdEv13rocblas_fill_18rocblas_operation_17rocblas_diagonal_iiT3_T4_lilT5_lili, .Lfunc_end75-_ZL30rocblas_trsm_small_left_deviceILi8ELi8ELb1EddPKdPdEv13rocblas_fill_18rocblas_operation_17rocblas_diagonal_iiT3_T4_lilT5_lili
                                        ; -- End function
	.set _ZL30rocblas_trsm_small_left_deviceILi8ELi8ELb1EddPKdPdEv13rocblas_fill_18rocblas_operation_17rocblas_diagonal_iiT3_T4_lilT5_lili.num_vgpr, 27
	.set _ZL30rocblas_trsm_small_left_deviceILi8ELi8ELb1EddPKdPdEv13rocblas_fill_18rocblas_operation_17rocblas_diagonal_iiT3_T4_lilT5_lili.num_agpr, 0
	.set _ZL30rocblas_trsm_small_left_deviceILi8ELi8ELb1EddPKdPdEv13rocblas_fill_18rocblas_operation_17rocblas_diagonal_iiT3_T4_lilT5_lili.numbered_sgpr, 26
	.set _ZL30rocblas_trsm_small_left_deviceILi8ELi8ELb1EddPKdPdEv13rocblas_fill_18rocblas_operation_17rocblas_diagonal_iiT3_T4_lilT5_lili.num_named_barrier, 0
	.set _ZL30rocblas_trsm_small_left_deviceILi8ELi8ELb1EddPKdPdEv13rocblas_fill_18rocblas_operation_17rocblas_diagonal_iiT3_T4_lilT5_lili.private_seg_size, 0
	.set _ZL30rocblas_trsm_small_left_deviceILi8ELi8ELb1EddPKdPdEv13rocblas_fill_18rocblas_operation_17rocblas_diagonal_iiT3_T4_lilT5_lili.uses_vcc, 1
	.set _ZL30rocblas_trsm_small_left_deviceILi8ELi8ELb1EddPKdPdEv13rocblas_fill_18rocblas_operation_17rocblas_diagonal_iiT3_T4_lilT5_lili.uses_flat_scratch, 0
	.set _ZL30rocblas_trsm_small_left_deviceILi8ELi8ELb1EddPKdPdEv13rocblas_fill_18rocblas_operation_17rocblas_diagonal_iiT3_T4_lilT5_lili.has_dyn_sized_stack, 0
	.set _ZL30rocblas_trsm_small_left_deviceILi8ELi8ELb1EddPKdPdEv13rocblas_fill_18rocblas_operation_17rocblas_diagonal_iiT3_T4_lilT5_lili.has_recursion, 0
	.set _ZL30rocblas_trsm_small_left_deviceILi8ELi8ELb1EddPKdPdEv13rocblas_fill_18rocblas_operation_17rocblas_diagonal_iiT3_T4_lilT5_lili.has_indirect_call, 0
	.section	.AMDGPU.csdata,"",@progbits
; Kernel info:
; codeLenInByte = 3616
; TotalNumSgprs: 30
; NumVgprs: 27
; ScratchSize: 0
; MemoryBound: 0
; FloatMode: 240
; IeeeMode: 1
; LDSByteSize: 512 bytes/workgroup (compile time only)
; SGPRBlocks: 3
; VGPRBlocks: 6
; NumSGPRsForWavesPerEU: 30
; NumVGPRsForWavesPerEU: 27
; Occupancy: 9
; WaveLimiterHint : 0
; COMPUTE_PGM_RSRC2:SCRATCH_EN: 0
; COMPUTE_PGM_RSRC2:USER_SGPR: 6
; COMPUTE_PGM_RSRC2:TRAP_HANDLER: 0
; COMPUTE_PGM_RSRC2:TGID_X_EN: 1
; COMPUTE_PGM_RSRC2:TGID_Y_EN: 0
; COMPUTE_PGM_RSRC2:TGID_Z_EN: 1
; COMPUTE_PGM_RSRC2:TIDIG_COMP_CNT: 0
	.section	.text._ZL31rocblas_trsm_small_right_deviceIddPKdPdLi8EEv13rocblas_fill_18rocblas_operation_17rocblas_diagonal_iiT0_T1_lilT2_lili,"axG",@progbits,_ZL31rocblas_trsm_small_right_deviceIddPKdPdLi8EEv13rocblas_fill_18rocblas_operation_17rocblas_diagonal_iiT0_T1_lilT2_lili,comdat
	.globl	_ZL31rocblas_trsm_small_right_deviceIddPKdPdLi8EEv13rocblas_fill_18rocblas_operation_17rocblas_diagonal_iiT0_T1_lilT2_lili ; -- Begin function _ZL31rocblas_trsm_small_right_deviceIddPKdPdLi8EEv13rocblas_fill_18rocblas_operation_17rocblas_diagonal_iiT0_T1_lilT2_lili
	.p2align	8
	.type	_ZL31rocblas_trsm_small_right_deviceIddPKdPdLi8EEv13rocblas_fill_18rocblas_operation_17rocblas_diagonal_iiT0_T1_lilT2_lili,@function
_ZL31rocblas_trsm_small_right_deviceIddPKdPdLi8EEv13rocblas_fill_18rocblas_operation_17rocblas_diagonal_iiT0_T1_lilT2_lili: ; @_ZL31rocblas_trsm_small_right_deviceIddPKdPdLi8EEv13rocblas_fill_18rocblas_operation_17rocblas_diagonal_iiT0_T1_lilT2_lili
; %bb.0:
	s_load_dwordx4 s[8:11], s[4:5], 0x0
	s_load_dword s22, s[4:5], 0x10
	s_load_dwordx4 s[12:15], s[4:5], 0x18
	s_load_dwordx2 s[20:21], s[4:5], 0x28
	s_load_dwordx4 s[0:3], s[4:5], 0x38
	s_load_dwordx2 s[16:17], s[4:5], 0x48
	s_waitcnt lgkmcnt(0)
	s_min_i32 s23, s22, 8
	v_cmp_gt_i32_e32 vcc, s23, v0
	s_and_saveexec_b64 s[18:19], vcc
	s_cbranch_execz .LBB76_5
; %bb.1:
	s_load_dword s24, s[4:5], 0x30
	s_mul_i32 s1, s1, s7
	s_mul_hi_u32 s25, s0, s7
	s_mul_i32 s0, s0, s7
	s_add_i32 s1, s25, s1
	s_waitcnt lgkmcnt(0)
	s_ashr_i32 s25, s24, 31
	s_lshl_b64 s[0:1], s[0:1], 3
	s_add_u32 s14, s14, s0
	s_addc_u32 s15, s15, s1
	s_lshl_b64 s[0:1], s[20:21], 3
	s_add_u32 s0, s14, s0
	s_addc_u32 s1, s15, s1
	v_lshlrev_b32_e32 v3, 3, v0
	v_mov_b32_e32 v2, s1
	v_add_co_u32_e32 v1, vcc, s0, v3
	s_lshl_b64 s[0:1], s[24:25], 3
	v_addc_co_u32_e32 v2, vcc, 0, v2, vcc
	v_mov_b32_e32 v4, s1
	v_mov_b32_e32 v5, v3
	s_mov_b32 s1, s23
.LBB76_2:                               ; =>This Inner Loop Header: Depth=1
	global_load_dwordx2 v[6:7], v[1:2], off
	v_add_co_u32_e32 v1, vcc, s0, v1
	s_add_i32 s1, s1, -1
	v_addc_co_u32_e32 v2, vcc, v2, v4, vcc
	s_cmp_eq_u32 s1, 0
	s_waitcnt vmcnt(0)
	ds_write_b64 v5, v[6:7]
	v_add_u32_e32 v5, 64, v5
	s_cbranch_scc0 .LBB76_2
; %bb.3:
	s_cmpk_eq_i32 s10, 0x84
	s_cbranch_scc0 .LBB76_5
; %bb.4:
	v_lshl_or_b32 v3, v0, 6, v3
	v_mov_b32_e32 v1, 0
	v_mov_b32_e32 v2, 0x3ff00000
	ds_write_b64 v3, v[1:2]
.LBB76_5:
	s_or_b64 exec, exec, s[18:19]
	s_load_dword s0, s[4:5], 0x68
	s_load_dwordx2 s[14:15], s[4:5], 0x58
	s_load_dword s10, s[4:5], 0x50
	s_waitcnt lgkmcnt(0)
	s_mul_i32 s1, s15, s7
	s_mul_hi_u32 s5, s14, s7
	s_mul_i32 s4, s14, s7
	s_add_i32 s5, s5, s1
	s_lshl_b64 s[4:5], s[4:5], 3
	s_add_u32 s1, s2, s4
	s_addc_u32 s4, s3, s5
	s_lshl_b64 s[2:3], s[16:17], 3
	s_add_u32 s2, s1, s2
	s_addc_u32 s3, s4, s3
	s_lshl_b32 s1, s6, 3
	s_add_i32 s0, s0, -1
	s_sub_i32 s1, s11, s1
	s_cmp_ge_u32 s6, s0
	s_cselect_b32 s4, s1, 8
	s_ashr_i32 s7, s6, 31
	s_lshl_b64 s[0:1], s[6:7], 6
	s_add_u32 s14, s2, s0
	s_addc_u32 s15, s3, s1
	v_cmp_gt_i32_e64 s[0:1], s4, v0
	s_and_saveexec_b64 s[2:3], s[0:1]
	s_cbranch_execz .LBB76_9
; %bb.6:
	s_cmp_lt_i32 s22, 1
	s_cbranch_scc1 .LBB76_9
; %bb.7:
	s_ashr_i32 s11, s10, 31
	v_lshlrev_b32_e32 v3, 3, v0
	v_mov_b32_e32 v2, s15
	v_add_co_u32_e32 v1, vcc, s14, v3
	s_lshl_b64 s[4:5], s[10:11], 3
	v_addc_co_u32_e32 v2, vcc, 0, v2, vcc
	v_or_b32_e32 v3, 0x200, v3
	v_mov_b32_e32 v4, s5
	s_mov_b32 s5, s22
.LBB76_8:                               ; =>This Inner Loop Header: Depth=1
	global_load_dwordx2 v[5:6], v[1:2], off
	s_add_i32 s5, s5, -1
	v_add_co_u32_e32 v1, vcc, s4, v1
	v_addc_co_u32_e32 v2, vcc, v2, v4, vcc
	s_cmp_lg_u32 s5, 0
	s_waitcnt vmcnt(0)
	v_mul_f64 v[5:6], s[12:13], v[5:6]
	ds_write_b64 v3, v[5:6]
	v_add_u32_e32 v3, 64, v3
	s_cbranch_scc1 .LBB76_8
.LBB76_9:
	s_or_b64 exec, exec, s[2:3]
	s_cmpk_eq_i32 s9, 0x6f
	s_cselect_b64 s[2:3], -1, 0
	s_cmpk_lg_i32 s8, 0x79
	s_cselect_b64 s[4:5], -1, 0
	s_cmpk_eq_i32 s8, 0x79
	s_cselect_b64 s[6:7], -1, 0
	s_and_b64 s[6:7], s[6:7], s[2:3]
	s_andn2_b64 vcc, exec, s[6:7]
	s_mov_b64 s[6:7], -1
	s_waitcnt lgkmcnt(0)
	; wave barrier
	s_cbranch_vccz .LBB76_66
; %bb.10:
	s_cmpk_lg_i32 s8, 0x7a
	s_cselect_b64 s[12:13], -1, 0
	s_xor_b64 s[2:3], s[2:3], -1
	s_add_i32 s8, s23, -1
	s_or_b64 s[12:13], s[12:13], s[2:3]
	v_mov_b32_e32 v1, 0x200
	s_cmp_gt_i32 s22, 3
	v_lshl_or_b32 v9, v0, 3, v1
	s_cselect_b64 s[2:3], -1, 0
	s_and_b64 vcc, exec, s[12:13]
	s_cbranch_vccz .LBB76_45
; %bb.11:
	s_andn2_b64 vcc, exec, s[4:5]
	s_mov_b64 s[4:5], -1
	s_cbranch_vccnz .LBB76_24
; %bb.12:
	s_andn2_b64 vcc, exec, s[2:3]
	s_mov_b32 s6, 0
	s_cbranch_vccnz .LBB76_18
; %bb.13:
	v_mov_b32_e32 v1, 0x200
	v_lshl_or_b32 v10, v0, 3, v1
	s_mov_b32 s4, 0
	s_mov_b32 s5, 0
.LBB76_14:                              ; =>This Loop Header: Depth=1
                                        ;     Child Loop BB76_15 Depth 2
	s_lshl_b32 s9, s5, 6
	s_or_b32 s7, s5, 1
	v_add_u32_e32 v14, s9, v9
	v_lshl_add_u32 v13, s7, 6, v9
	s_or_b32 s6, s9, 0xc0
	ds_read2_b64 v[1:4], v14 offset1:16
	v_add_u32_e32 v11, s6, v9
	ds_read_b64 v[7:8], v13
	ds_read_b64 v[5:6], v11
	s_cmp_eq_u32 s5, 0
	v_mov_b32_e32 v12, v10
	s_mov_b32 s6, s4
	s_mov_b32 s11, s5
	s_cbranch_scc1 .LBB76_16
.LBB76_15:                              ;   Parent Loop BB76_14 Depth=1
                                        ; =>  This Inner Loop Header: Depth=2
	v_mov_b32_e32 v19, s6
	ds_read_b64 v[23:24], v12
	ds_read_b128 v[15:18], v19
	ds_read_b128 v[19:22], v19 offset:16
	s_add_i32 s11, s11, -1
	s_add_i32 s6, s6, 64
	s_cmp_eq_u32 s11, 0
	s_waitcnt lgkmcnt(1)
	v_fma_f64 v[1:2], -v[23:24], v[15:16], v[1:2]
	v_fma_f64 v[7:8], -v[23:24], v[17:18], v[7:8]
	s_waitcnt lgkmcnt(0)
	v_fma_f64 v[3:4], -v[23:24], v[19:20], v[3:4]
	v_fma_f64 v[5:6], -v[23:24], v[21:22], v[5:6]
	v_add_u32_e32 v12, 64, v12
	s_cbranch_scc0 .LBB76_15
.LBB76_16:                              ;   in Loop: Header=BB76_14 Depth=1
	s_lshl_b32 s6, s5, 3
	s_add_i32 s9, s6, s9
	v_mov_b32_e32 v15, s9
	ds_read_b128 v[15:18], v15
	s_sub_i32 s9, s9, s6
	s_add_i32 s9, s9, s6
	v_mov_b32_e32 v28, s9
	v_add_u32_e32 v12, 0x80, v14
	s_waitcnt lgkmcnt(0)
	v_div_scale_f64 v[19:20], s[12:13], v[15:16], v[15:16], v[1:2]
	s_lshl_b32 s7, s7, 3
	s_add_i32 s11, s9, 0x48
	s_sub_i32 s7, s11, s7
	s_add_i32 s9, s7, s6
	s_add_i32 s4, s4, 32
	v_rcp_f64_e32 v[21:22], v[19:20]
	v_fma_f64 v[23:24], -v[19:20], v[21:22], 1.0
	v_fma_f64 v[21:22], v[21:22], v[23:24], v[21:22]
	v_fma_f64 v[23:24], -v[19:20], v[21:22], 1.0
	v_fma_f64 v[21:22], v[21:22], v[23:24], v[21:22]
	v_div_scale_f64 v[23:24], vcc, v[1:2], v[15:16], v[1:2]
	v_mul_f64 v[25:26], v[23:24], v[21:22]
	v_fma_f64 v[19:20], -v[19:20], v[25:26], v[23:24]
	s_nop 1
	v_div_fmas_f64 v[19:20], v[19:20], v[21:22], v[25:26]
	v_div_fixup_f64 v[22:23], v[19:20], v[15:16], v[1:2]
	v_fma_f64 v[1:2], -v[22:23], v[17:18], v[7:8]
	ds_write_b64 v14, v[22:23]
	ds_read2_b64 v[14:17], v28 offset0:9 offset1:10
	s_waitcnt lgkmcnt(0)
	v_div_scale_f64 v[7:8], s[12:13], v[14:15], v[14:15], v[1:2]
	v_rcp_f64_e32 v[18:19], v[7:8]
	v_fma_f64 v[20:21], -v[7:8], v[18:19], 1.0
	v_fma_f64 v[18:19], v[18:19], v[20:21], v[18:19]
	v_fma_f64 v[20:21], -v[7:8], v[18:19], 1.0
	v_fma_f64 v[18:19], v[18:19], v[20:21], v[18:19]
	v_div_scale_f64 v[20:21], vcc, v[1:2], v[14:15], v[1:2]
	v_mul_f64 v[24:25], v[20:21], v[18:19]
	v_fma_f64 v[7:8], -v[7:8], v[24:25], v[20:21]
	s_nop 1
	v_div_fmas_f64 v[7:8], v[7:8], v[18:19], v[24:25]
	ds_read_b128 v[18:21], v28 offset:16
	s_waitcnt lgkmcnt(0)
	v_fma_f64 v[5:6], -v[22:23], v[20:21], v[5:6]
	v_div_fixup_f64 v[7:8], v[7:8], v[14:15], v[1:2]
	v_fma_f64 v[1:2], -v[22:23], v[18:19], v[3:4]
	ds_write_b64 v13, v[7:8]
	v_fma_f64 v[13:14], -v[7:8], v[16:17], v[1:2]
	ds_read_b128 v[1:4], v28 offset:144
	s_waitcnt lgkmcnt(0)
	v_div_scale_f64 v[15:16], s[6:7], v[1:2], v[1:2], v[13:14]
	v_rcp_f64_e32 v[17:18], v[15:16]
	v_fma_f64 v[24:25], -v[15:16], v[17:18], 1.0
	v_fma_f64 v[17:18], v[17:18], v[24:25], v[17:18]
	v_fma_f64 v[24:25], -v[15:16], v[17:18], 1.0
	v_fma_f64 v[17:18], v[17:18], v[24:25], v[17:18]
	v_div_scale_f64 v[24:25], vcc, v[13:14], v[1:2], v[13:14]
	v_mul_f64 v[26:27], v[24:25], v[17:18]
	v_fma_f64 v[15:16], -v[15:16], v[26:27], v[24:25]
	s_nop 1
	v_div_fmas_f64 v[15:16], v[15:16], v[17:18], v[26:27]
	v_div_fixup_f64 v[1:2], v[15:16], v[1:2], v[13:14]
	ds_write_b64 v12, v[1:2]
	v_mov_b32_e32 v12, s9
	ds_read_b64 v[12:13], v12 offset:24
	s_waitcnt lgkmcnt(0)
	v_fma_f64 v[5:6], -v[7:8], v[12:13], v[5:6]
	v_fma_f64 v[1:2], -v[1:2], v[3:4], v[5:6]
	ds_read_b64 v[3:4], v28 offset:216
	s_waitcnt lgkmcnt(0)
	v_div_scale_f64 v[5:6], s[6:7], v[3:4], v[3:4], v[1:2]
	s_add_i32 s6, s5, 4
	s_add_i32 s5, s5, 7
	s_cmp_ge_i32 s5, s23
	v_rcp_f64_e32 v[7:8], v[5:6]
	v_fma_f64 v[12:13], -v[5:6], v[7:8], 1.0
	v_fma_f64 v[7:8], v[7:8], v[12:13], v[7:8]
	v_fma_f64 v[12:13], -v[5:6], v[7:8], 1.0
	v_fma_f64 v[7:8], v[7:8], v[12:13], v[7:8]
	v_div_scale_f64 v[12:13], vcc, v[1:2], v[3:4], v[1:2]
	v_mul_f64 v[14:15], v[12:13], v[7:8]
	v_fma_f64 v[5:6], -v[5:6], v[14:15], v[12:13]
	s_nop 1
	v_div_fmas_f64 v[5:6], v[5:6], v[7:8], v[14:15]
	v_div_fixup_f64 v[1:2], v[5:6], v[3:4], v[1:2]
	ds_write_b64 v11, v[1:2]
	s_cbranch_scc1 .LBB76_18
; %bb.17:                               ;   in Loop: Header=BB76_14 Depth=1
	s_mov_b32 s5, s6
	s_branch .LBB76_14
.LBB76_18:
	s_cmp_ge_i32 s6, s23
	s_cbranch_scc1 .LBB76_23
; %bb.19:
	v_mov_b32_e32 v1, 0x200
	s_lshl_b32 s4, s6, 3
	v_lshl_or_b32 v3, v0, 3, v1
	s_branch .LBB76_21
.LBB76_20:                              ;   in Loop: Header=BB76_21 Depth=1
	s_lshl_b32 s7, s6, 3
	s_add_i32 s5, s7, s5
	v_mov_b32_e32 v5, s5
	ds_read_b64 v[5:6], v5
	s_add_i32 s6, s6, 1
	s_add_i32 s4, s4, 8
	s_cmp_ge_i32 s6, s23
	s_waitcnt lgkmcnt(0)
	v_div_scale_f64 v[7:8], s[12:13], v[5:6], v[5:6], v[1:2]
	v_div_scale_f64 v[14:15], vcc, v[1:2], v[5:6], v[1:2]
	v_rcp_f64_e32 v[10:11], v[7:8]
	v_fma_f64 v[12:13], -v[7:8], v[10:11], 1.0
	v_fma_f64 v[10:11], v[10:11], v[12:13], v[10:11]
	v_fma_f64 v[12:13], -v[7:8], v[10:11], 1.0
	v_fma_f64 v[10:11], v[10:11], v[12:13], v[10:11]
	v_mul_f64 v[12:13], v[14:15], v[10:11]
	v_fma_f64 v[7:8], -v[7:8], v[12:13], v[14:15]
	v_div_fmas_f64 v[7:8], v[7:8], v[10:11], v[12:13]
	v_div_fixup_f64 v[1:2], v[7:8], v[5:6], v[1:2]
	ds_write_b64 v4, v[1:2]
	s_cbranch_scc1 .LBB76_23
.LBB76_21:                              ; =>This Loop Header: Depth=1
                                        ;     Child Loop BB76_22 Depth 2
	s_lshl_b32 s5, s6, 6
	v_add_u32_e32 v4, s5, v9
	ds_read_b64 v[1:2], v4
	s_cmp_eq_u32 s6, 0
	v_mov_b32_e32 v5, v3
	s_mov_b32 s7, s4
	s_mov_b32 s9, s6
	s_cbranch_scc1 .LBB76_20
.LBB76_22:                              ;   Parent Loop BB76_21 Depth=1
                                        ; =>  This Inner Loop Header: Depth=2
	v_mov_b32_e32 v8, s7
	ds_read_b64 v[6:7], v5
	ds_read_b64 v[10:11], v8
	s_add_i32 s9, s9, -1
	s_add_i32 s7, s7, 64
	s_cmp_eq_u32 s9, 0
	v_add_u32_e32 v5, 64, v5
	s_waitcnt lgkmcnt(0)
	v_fma_f64 v[1:2], -v[6:7], v[10:11], v[1:2]
	s_cbranch_scc0 .LBB76_22
	s_branch .LBB76_20
.LBB76_23:
	s_mov_b64 s[4:5], 0
.LBB76_24:
	s_and_b64 vcc, exec, s[4:5]
	s_cbranch_vccz .LBB76_44
; %bb.25:
	s_andn2_b64 vcc, exec, s[2:3]
	s_mov_b32 s6, s8
	s_cbranch_vccnz .LBB76_31
; %bb.26:
	v_lshlrev_b32_e32 v1, 3, v0
	s_mul_i32 s4, s23, 0x48
	v_lshl_or_b32 v1, s23, 6, v1
	s_addk_i32 s4, 0xffa0
	v_add_u32_e32 v10, 0x1c0, v1
	s_mov_b32 s5, s8
.LBB76_27:                              ; =>This Loop Header: Depth=1
                                        ;     Child Loop BB76_28 Depth 2
	s_add_i32 s7, s5, -3
	v_lshl_add_u32 v14, s5, 6, v9
	s_add_i32 s6, s5, -1
	s_add_i32 s12, s5, -2
	s_lshl_b32 s13, s7, 6
	v_lshl_add_u32 v13, s6, 6, v9
	v_lshl_add_u32 v12, s12, 6, v9
	v_add_u32_e32 v11, s13, v9
	ds_read_b64 v[7:8], v14
	ds_read_b64 v[5:6], v13
	;; [unrolled: 1-line block ×4, first 2 shown]
	s_cmp_le_i32 s8, s5
	v_mov_b32_e32 v15, v10
	s_mov_b32 s9, s4
	s_mov_b32 s11, s8
	s_cbranch_scc1 .LBB76_29
.LBB76_28:                              ;   Parent Loop BB76_27 Depth=1
                                        ; =>  This Inner Loop Header: Depth=2
	v_mov_b32_e32 v20, s9
	ds_read_b64 v[24:25], v15
	ds_read2_b64 v[16:19], v20 offset0:2 offset1:3
	ds_read2_b64 v[20:23], v20 offset1:1
	s_add_i32 s11, s11, -1
	s_sub_i32 s9, s9, 64
	s_cmp_le_i32 s11, s5
	s_waitcnt lgkmcnt(1)
	v_fma_f64 v[7:8], -v[24:25], v[18:19], v[7:8]
	v_fma_f64 v[5:6], -v[24:25], v[16:17], v[5:6]
	s_waitcnt lgkmcnt(0)
	v_fma_f64 v[3:4], -v[24:25], v[22:23], v[3:4]
	v_fma_f64 v[1:2], -v[24:25], v[20:21], v[1:2]
	v_subrev_u32_e32 v15, 64, v15
	s_cbranch_scc0 .LBB76_28
.LBB76_29:                              ;   in Loop: Header=BB76_27 Depth=1
	s_lshl_b32 s11, s6, 3
	s_lshl_b32 s16, s5, 3
	;; [unrolled: 1-line block ×4, first 2 shown]
	s_add_i32 s17, s16, s6
	s_lshl_b32 s6, s12, 6
	s_lshl_b32 s12, s5, 6
	s_add_i32 s18, s16, s6
	s_add_i32 s6, s16, s13
	;; [unrolled: 1-line block ×3, first 2 shown]
	s_add_i32 s12, s16, -8
	v_mov_b32_e32 v15, s12
	ds_read2_b64 v[15:18], v15 offset1:1
	s_add_i32 s17, s17, -8
	s_sub_i32 s11, s17, s11
	s_lshl_b32 s7, s7, 3
	s_add_i32 s11, s11, s7
	s_waitcnt lgkmcnt(0)
	v_div_scale_f64 v[19:20], s[12:13], v[17:18], v[17:18], v[7:8]
	s_sub_i32 s9, s18, s9
	s_add_i32 s7, s9, s7
	s_add_i32 s7, s7, -16
	s_sub_i32 s6, s6, 24
	s_sub_i32 s4, s4, 32
	v_rcp_f64_e32 v[21:22], v[19:20]
	v_fma_f64 v[23:24], -v[19:20], v[21:22], 1.0
	v_fma_f64 v[21:22], v[21:22], v[23:24], v[21:22]
	v_fma_f64 v[23:24], -v[19:20], v[21:22], 1.0
	v_fma_f64 v[21:22], v[21:22], v[23:24], v[21:22]
	v_div_scale_f64 v[23:24], vcc, v[7:8], v[17:18], v[7:8]
	v_mul_f64 v[25:26], v[23:24], v[21:22]
	v_fma_f64 v[19:20], -v[19:20], v[25:26], v[23:24]
	s_nop 1
	v_div_fmas_f64 v[19:20], v[19:20], v[21:22], v[25:26]
	v_div_fixup_f64 v[19:20], v[19:20], v[17:18], v[7:8]
	v_mov_b32_e32 v7, s17
	ds_read_b64 v[7:8], v7
	v_fma_f64 v[5:6], -v[19:20], v[15:16], v[5:6]
	ds_write_b64 v14, v[19:20]
	s_waitcnt lgkmcnt(1)
	v_div_scale_f64 v[14:15], s[12:13], v[7:8], v[7:8], v[5:6]
	s_sub_i32 s12, s16, 24
	v_rcp_f64_e32 v[16:17], v[14:15]
	v_fma_f64 v[21:22], -v[14:15], v[16:17], 1.0
	v_fma_f64 v[16:17], v[16:17], v[21:22], v[16:17]
	v_fma_f64 v[21:22], -v[14:15], v[16:17], 1.0
	v_fma_f64 v[16:17], v[16:17], v[21:22], v[16:17]
	v_div_scale_f64 v[21:22], vcc, v[5:6], v[7:8], v[5:6]
	v_mul_f64 v[23:24], v[21:22], v[16:17]
	v_fma_f64 v[14:15], -v[14:15], v[23:24], v[21:22]
	s_nop 1
	v_div_fmas_f64 v[14:15], v[14:15], v[16:17], v[23:24]
	v_div_fixup_f64 v[21:22], v[14:15], v[7:8], v[5:6]
	v_mov_b32_e32 v5, s12
	ds_read2_b64 v[5:8], v5 offset1:1
	s_waitcnt lgkmcnt(0)
	v_fma_f64 v[3:4], -v[19:20], v[7:8], v[3:4]
	v_mov_b32_e32 v7, s11
	ds_write_b64 v13, v[21:22]
	ds_read2_b64 v[13:16], v7 offset1:1
	v_mov_b32_e32 v7, s7
	v_fma_f64 v[1:2], -v[19:20], v[5:6], v[1:2]
	s_waitcnt lgkmcnt(0)
	v_fma_f64 v[3:4], -v[21:22], v[15:16], v[3:4]
	ds_read2_b64 v[15:18], v7 offset1:1
	v_fma_f64 v[1:2], -v[21:22], v[13:14], v[1:2]
	s_waitcnt lgkmcnt(0)
	v_div_scale_f64 v[7:8], s[12:13], v[17:18], v[17:18], v[3:4]
	v_rcp_f64_e32 v[23:24], v[7:8]
	v_fma_f64 v[25:26], -v[7:8], v[23:24], 1.0
	v_fma_f64 v[23:24], v[23:24], v[25:26], v[23:24]
	v_fma_f64 v[25:26], -v[7:8], v[23:24], 1.0
	v_fma_f64 v[23:24], v[23:24], v[25:26], v[23:24]
	v_div_scale_f64 v[25:26], vcc, v[3:4], v[17:18], v[3:4]
	v_mul_f64 v[27:28], v[25:26], v[23:24]
	v_fma_f64 v[7:8], -v[7:8], v[27:28], v[25:26]
	s_nop 1
	v_div_fmas_f64 v[7:8], v[7:8], v[23:24], v[27:28]
	v_div_fixup_f64 v[3:4], v[7:8], v[17:18], v[3:4]
	v_fma_f64 v[1:2], -v[3:4], v[15:16], v[1:2]
	ds_write_b64 v12, v[3:4]
	v_mov_b32_e32 v3, s6
	ds_read_b64 v[3:4], v3
	s_waitcnt lgkmcnt(0)
	v_div_scale_f64 v[5:6], s[6:7], v[3:4], v[3:4], v[1:2]
	s_add_i32 s6, s5, -4
	s_cmp_lt_i32 s5, 7
	v_rcp_f64_e32 v[7:8], v[5:6]
	v_fma_f64 v[12:13], -v[5:6], v[7:8], 1.0
	v_fma_f64 v[7:8], v[7:8], v[12:13], v[7:8]
	v_fma_f64 v[12:13], -v[5:6], v[7:8], 1.0
	v_fma_f64 v[7:8], v[7:8], v[12:13], v[7:8]
	v_div_scale_f64 v[12:13], vcc, v[1:2], v[3:4], v[1:2]
	v_mul_f64 v[14:15], v[12:13], v[7:8]
	v_fma_f64 v[5:6], -v[5:6], v[14:15], v[12:13]
	s_nop 1
	v_div_fmas_f64 v[5:6], v[5:6], v[7:8], v[14:15]
	v_div_fixup_f64 v[1:2], v[5:6], v[3:4], v[1:2]
	ds_write_b64 v11, v[1:2]
	s_cbranch_scc1 .LBB76_31
; %bb.30:                               ;   in Loop: Header=BB76_27 Depth=1
	s_mov_b32 s5, s6
	s_branch .LBB76_27
.LBB76_31:
	s_cmp_lt_i32 s6, 0
	s_cbranch_scc1 .LBB76_44
; %bb.32:
	s_bitcmp1_b32 s6, 0
	s_cselect_b64 s[4:5], -1, 0
	s_and_b64 vcc, exec, s[4:5]
	s_mov_b32 s4, s6
	s_cbranch_vccnz .LBB76_37
; %bb.33:
	s_lshl_b32 s4, s6, 6
	v_add_u32_e32 v3, s4, v9
	ds_read_b64 v[1:2], v3
	s_cmp_le_i32 s8, s6
	s_cbranch_scc1 .LBB76_36
; %bb.34:
	s_lshl_b32 s7, s23, 6
	s_lshl_b32 s5, s6, 3
	s_add_i32 s5, s7, s5
	v_lshl_or_b32 v4, v0, 3, s7
	s_sub_i32 s5, s5, 64
	v_add_u32_e32 v4, 0x1c0, v4
	s_mov_b32 s7, s8
.LBB76_35:                              ; =>This Inner Loop Header: Depth=1
	v_mov_b32_e32 v7, s5
	ds_read_b64 v[5:6], v4
	ds_read_b64 v[7:8], v7
	s_add_i32 s7, s7, -1
	s_sub_i32 s5, s5, 64
	s_cmp_gt_u32 s7, s6
	v_subrev_u32_e32 v4, 64, v4
	s_waitcnt lgkmcnt(0)
	v_fma_f64 v[1:2], -v[5:6], v[7:8], v[1:2]
	s_cbranch_scc1 .LBB76_35
.LBB76_36:
	s_lshl_b32 s5, s6, 3
	s_add_i32 s4, s5, s4
	v_mov_b32_e32 v4, s4
	ds_read_b64 v[4:5], v4
	s_waitcnt lgkmcnt(0)
	v_div_scale_f64 v[6:7], s[4:5], v[4:5], v[4:5], v[1:2]
	s_add_i32 s4, s6, -1
	v_rcp_f64_e32 v[10:11], v[6:7]
	v_fma_f64 v[12:13], -v[6:7], v[10:11], 1.0
	v_fma_f64 v[10:11], v[10:11], v[12:13], v[10:11]
	v_div_scale_f64 v[12:13], vcc, v[1:2], v[4:5], v[1:2]
	v_fma_f64 v[14:15], -v[6:7], v[10:11], 1.0
	v_fma_f64 v[10:11], v[10:11], v[14:15], v[10:11]
	v_mul_f64 v[14:15], v[12:13], v[10:11]
	v_fma_f64 v[6:7], -v[6:7], v[14:15], v[12:13]
	v_div_fmas_f64 v[6:7], v[6:7], v[10:11], v[14:15]
	v_div_fixup_f64 v[1:2], v[6:7], v[4:5], v[1:2]
	ds_write_b64 v3, v[1:2]
.LBB76_37:
	s_cmp_eq_u32 s6, 0
	s_cbranch_scc1 .LBB76_44
; %bb.38:
	s_lshl_b32 s6, s23, 6
	s_lshl_b32 s5, s4, 3
	s_add_i32 s7, s6, s5
	v_lshl_or_b32 v1, v0, 3, s6
	s_sub_i32 s5, s7, 64
	v_add_u32_e32 v5, 0x1c0, v1
	s_add_i32 s6, s7, 0xffffffb8
	s_branch .LBB76_40
.LBB76_39:                              ;   in Loop: Header=BB76_40 Depth=1
	s_add_i32 s9, s9, s11
	s_add_i32 s9, s9, -8
	v_mov_b32_e32 v1, s9
	ds_read_b64 v[1:2], v1
	s_add_i32 s4, s4, -2
	s_add_i32 s5, s5, -16
	s_add_i32 s6, s6, -16
	s_cmp_eq_u32 s7, 0
	s_waitcnt lgkmcnt(0)
	v_div_scale_f64 v[10:11], s[12:13], v[1:2], v[1:2], v[3:4]
	v_div_scale_f64 v[16:17], vcc, v[3:4], v[1:2], v[3:4]
	v_rcp_f64_e32 v[12:13], v[10:11]
	v_fma_f64 v[14:15], -v[10:11], v[12:13], 1.0
	v_fma_f64 v[12:13], v[12:13], v[14:15], v[12:13]
	v_fma_f64 v[14:15], -v[10:11], v[12:13], 1.0
	v_fma_f64 v[12:13], v[12:13], v[14:15], v[12:13]
	v_mul_f64 v[14:15], v[16:17], v[12:13]
	v_fma_f64 v[10:11], -v[10:11], v[14:15], v[16:17]
	v_div_fmas_f64 v[10:11], v[10:11], v[12:13], v[14:15]
	v_div_fixup_f64 v[1:2], v[10:11], v[1:2], v[3:4]
	ds_write_b64 v7, v[1:2]
	s_cbranch_scc1 .LBB76_44
.LBB76_40:                              ; =>This Loop Header: Depth=1
                                        ;     Child Loop BB76_41 Depth 2
                                        ;     Child Loop BB76_43 Depth 2
	s_lshl_b32 s7, s4, 6
	v_add_u32_e32 v6, s7, v9
	ds_read_b64 v[1:2], v6
	s_cmp_le_i32 s8, s4
	v_mov_b32_e32 v3, v5
	s_mov_b32 s9, s5
	s_mov_b32 s11, s8
	s_cbranch_scc1 .LBB76_42
.LBB76_41:                              ;   Parent Loop BB76_40 Depth=1
                                        ; =>  This Inner Loop Header: Depth=2
	v_mov_b32_e32 v4, s9
	ds_read_b64 v[7:8], v3
	ds_read_b64 v[10:11], v4
	s_add_i32 s11, s11, -1
	s_sub_i32 s9, s9, 64
	s_cmp_le_u32 s11, s4
	v_subrev_u32_e32 v3, 64, v3
	s_waitcnt lgkmcnt(0)
	v_fma_f64 v[1:2], -v[7:8], v[10:11], v[1:2]
	s_cbranch_scc0 .LBB76_41
.LBB76_42:                              ;   in Loop: Header=BB76_40 Depth=1
	s_lshl_b32 s9, s4, 3
	s_add_i32 s7, s9, s7
	v_mov_b32_e32 v3, s7
	ds_read_b64 v[10:11], v3
	s_add_i32 s7, s4, -1
	s_lshl_b32 s11, s7, 6
	v_add_u32_e32 v7, s11, v9
	ds_read_b64 v[3:4], v7
	s_waitcnt lgkmcnt(1)
	v_div_scale_f64 v[12:13], s[12:13], v[10:11], v[10:11], v[1:2]
	s_mov_b32 s12, s6
	s_cmp_le_i32 s23, s4
	s_mov_b32 s13, s8
	v_rcp_f64_e32 v[14:15], v[12:13]
	v_fma_f64 v[16:17], -v[12:13], v[14:15], 1.0
	v_fma_f64 v[14:15], v[14:15], v[16:17], v[14:15]
	v_div_scale_f64 v[16:17], vcc, v[1:2], v[10:11], v[1:2]
	v_fma_f64 v[18:19], -v[12:13], v[14:15], 1.0
	v_fma_f64 v[14:15], v[14:15], v[18:19], v[14:15]
	v_mul_f64 v[18:19], v[16:17], v[14:15]
	v_fma_f64 v[12:13], -v[12:13], v[18:19], v[16:17]
	v_div_fmas_f64 v[12:13], v[12:13], v[14:15], v[18:19]
	v_div_fixup_f64 v[10:11], v[12:13], v[10:11], v[1:2]
	v_mov_b32_e32 v1, v5
	ds_write_b64 v6, v[10:11]
	s_cbranch_scc1 .LBB76_39
.LBB76_43:                              ;   Parent Loop BB76_40 Depth=1
                                        ; =>  This Inner Loop Header: Depth=2
	v_mov_b32_e32 v2, s12
	ds_read_b64 v[10:11], v1
	ds_read_b64 v[12:13], v2
	s_add_i32 s13, s13, -1
	s_sub_i32 s12, s12, 64
	s_cmp_gt_u32 s13, s7
	v_subrev_u32_e32 v1, 64, v1
	s_waitcnt lgkmcnt(0)
	v_fma_f64 v[3:4], -v[10:11], v[12:13], v[3:4]
	s_cbranch_scc1 .LBB76_43
	s_branch .LBB76_39
.LBB76_44:
	s_mov_b64 s[6:7], 0
.LBB76_45:
	s_andn2_b64 vcc, exec, s[6:7]
	s_cbranch_vccnz .LBB76_65
; %bb.46:
	s_andn2_b64 vcc, exec, s[2:3]
	s_mov_b32 s4, s8
	s_cbranch_vccnz .LBB76_52
; %bb.47:
	v_lshlrev_b32_e32 v1, 3, v0
	v_lshl_or_b32 v1, s23, 6, v1
	s_mul_i32 s2, s23, 0x48
	v_add_u32_e32 v10, 0x1c0, v1
	s_addk_i32 s2, 0xfef8
	s_mov_b32 s3, s8
.LBB76_48:                              ; =>This Loop Header: Depth=1
                                        ;     Child Loop BB76_49 Depth 2
	v_lshl_add_u32 v12, s3, 6, v9
	s_add_i32 s4, s3, -1
	s_add_i32 s5, s3, -2
	;; [unrolled: 1-line block ×3, first 2 shown]
	v_lshl_add_u32 v13, s4, 6, v9
	v_lshl_add_u32 v14, s5, 6, v9
	;; [unrolled: 1-line block ×3, first 2 shown]
	ds_read_b64 v[7:8], v12
	ds_read_b64 v[5:6], v13
	;; [unrolled: 1-line block ×4, first 2 shown]
	s_cmp_le_i32 s8, s3
	s_mov_b32 s7, s2
	v_mov_b32_e32 v15, v10
	s_mov_b32 s9, s8
	s_cbranch_scc1 .LBB76_50
.LBB76_49:                              ;   Parent Loop BB76_48 Depth=1
                                        ; =>  This Inner Loop Header: Depth=2
	v_mov_b32_e32 v20, s7
	ds_read_b64 v[24:25], v15
	ds_read2_b64 v[16:19], v20 offset0:16 offset1:24
	ds_read2_b64 v[20:23], v20 offset1:8
	s_add_i32 s9, s9, -1
	s_add_i32 s7, s7, -8
	s_cmp_le_i32 s9, s3
	s_waitcnt lgkmcnt(1)
	v_fma_f64 v[7:8], -v[24:25], v[18:19], v[7:8]
	v_fma_f64 v[5:6], -v[24:25], v[16:17], v[5:6]
	s_waitcnt lgkmcnt(0)
	v_fma_f64 v[3:4], -v[24:25], v[22:23], v[3:4]
	v_fma_f64 v[1:2], -v[24:25], v[20:21], v[1:2]
	v_subrev_u32_e32 v15, 64, v15
	s_cbranch_scc0 .LBB76_49
.LBB76_50:                              ;   in Loop: Header=BB76_48 Depth=1
	s_lshl_b32 s7, s4, 3
	s_lshl_b32 s4, s6, 3
	s_mul_i32 s6, s3, 0x48
	v_mov_b32_e32 v15, s6
	ds_read_b64 v[19:20], v15
	s_lshl_b32 s6, s7, 3
	s_add_i32 s6, s6, s7
	v_mov_b32_e32 v15, s6
	ds_read2_b64 v[15:18], v15 offset1:1
	s_waitcnt lgkmcnt(1)
	v_div_scale_f64 v[21:22], s[6:7], v[19:20], v[19:20], v[7:8]
	s_lshl_b32 s5, s5, 3
	s_lshl_b32 s9, s3, 3
	s_addk_i32 s2, 0xff00
	v_rcp_f64_e32 v[23:24], v[21:22]
	v_fma_f64 v[25:26], -v[21:22], v[23:24], 1.0
	v_fma_f64 v[23:24], v[23:24], v[25:26], v[23:24]
	v_div_scale_f64 v[25:26], vcc, v[7:8], v[19:20], v[7:8]
	v_fma_f64 v[27:28], -v[21:22], v[23:24], 1.0
	v_fma_f64 v[23:24], v[23:24], v[27:28], v[23:24]
	v_mul_f64 v[27:28], v[25:26], v[23:24]
	v_fma_f64 v[21:22], -v[21:22], v[27:28], v[25:26]
	v_div_fmas_f64 v[21:22], v[21:22], v[23:24], v[27:28]
	v_div_fixup_f64 v[23:24], v[21:22], v[19:20], v[7:8]
	s_waitcnt lgkmcnt(0)
	v_fma_f64 v[17:18], -v[23:24], v[17:18], v[5:6]
	v_div_scale_f64 v[5:6], s[6:7], v[15:16], v[15:16], v[17:18]
	s_lshl_b32 s6, s5, 3
	s_add_i32 s7, s6, s9
	s_add_i32 s5, s6, s5
	v_rcp_f64_e32 v[7:8], v[5:6]
	v_fma_f64 v[19:20], -v[5:6], v[7:8], 1.0
	v_fma_f64 v[7:8], v[7:8], v[19:20], v[7:8]
	v_div_scale_f64 v[19:20], vcc, v[17:18], v[15:16], v[17:18]
	v_fma_f64 v[21:22], -v[5:6], v[7:8], 1.0
	v_fma_f64 v[7:8], v[7:8], v[21:22], v[7:8]
	v_mul_f64 v[21:22], v[19:20], v[7:8]
	v_fma_f64 v[5:6], -v[5:6], v[21:22], v[19:20]
	v_div_fmas_f64 v[19:20], v[5:6], v[7:8], v[21:22]
	v_mov_b32_e32 v5, s7
	ds_read_b64 v[21:22], v5
	v_mov_b32_e32 v5, s5
	ds_read2_b64 v[5:8], v5 offset1:1
	s_lshl_b32 s5, s4, 3
	s_add_i32 s4, s5, s4
	s_waitcnt lgkmcnt(1)
	v_fma_f64 v[3:4], -v[23:24], v[21:22], v[3:4]
	v_div_fixup_f64 v[25:26], v[19:20], v[15:16], v[17:18]
	s_waitcnt lgkmcnt(0)
	v_fma_f64 v[3:4], -v[25:26], v[7:8], v[3:4]
	v_div_scale_f64 v[7:8], s[6:7], v[5:6], v[5:6], v[3:4]
	s_add_i32 s6, s5, s9
	s_add_i32 s6, s6, -8
	v_rcp_f64_e32 v[15:16], v[7:8]
	v_fma_f64 v[17:18], -v[7:8], v[15:16], 1.0
	v_fma_f64 v[15:16], v[15:16], v[17:18], v[15:16]
	v_div_scale_f64 v[17:18], vcc, v[3:4], v[5:6], v[3:4]
	v_fma_f64 v[19:20], -v[7:8], v[15:16], 1.0
	v_fma_f64 v[15:16], v[15:16], v[19:20], v[15:16]
	v_mul_f64 v[19:20], v[17:18], v[15:16]
	v_fma_f64 v[7:8], -v[7:8], v[19:20], v[17:18]
	v_div_fmas_f64 v[7:8], v[7:8], v[15:16], v[19:20]
	v_mov_b32_e32 v15, s6
	ds_read2_b64 v[15:18], v15 offset1:1
	v_mov_b32_e32 v19, s4
	ds_read2_b64 v[19:22], v19 offset1:1
	s_waitcnt lgkmcnt(1)
	v_fma_f64 v[1:2], -v[23:24], v[17:18], v[1:2]
	v_fma_f64 v[1:2], -v[25:26], v[15:16], v[1:2]
	v_div_fixup_f64 v[3:4], v[7:8], v[5:6], v[3:4]
	ds_write_b64 v12, v[23:24]
	ds_write_b64 v13, v[25:26]
	;; [unrolled: 1-line block ×3, first 2 shown]
	s_waitcnt lgkmcnt(3)
	v_fma_f64 v[1:2], -v[3:4], v[21:22], v[1:2]
	v_div_scale_f64 v[5:6], s[4:5], v[19:20], v[19:20], v[1:2]
	v_div_scale_f64 v[17:18], vcc, v[1:2], v[19:20], v[1:2]
	s_add_i32 s4, s3, -4
	s_cmp_lt_i32 s3, 7
	v_rcp_f64_e32 v[7:8], v[5:6]
	v_fma_f64 v[15:16], -v[5:6], v[7:8], 1.0
	v_fma_f64 v[7:8], v[7:8], v[15:16], v[7:8]
	v_fma_f64 v[15:16], -v[5:6], v[7:8], 1.0
	v_fma_f64 v[7:8], v[7:8], v[15:16], v[7:8]
	v_mul_f64 v[15:16], v[17:18], v[7:8]
	v_fma_f64 v[5:6], -v[5:6], v[15:16], v[17:18]
	v_div_fmas_f64 v[5:6], v[5:6], v[7:8], v[15:16]
	v_div_fixup_f64 v[1:2], v[5:6], v[19:20], v[1:2]
	ds_write_b64 v11, v[1:2]
	s_cbranch_scc1 .LBB76_52
; %bb.51:                               ;   in Loop: Header=BB76_48 Depth=1
	s_mov_b32 s3, s4
	s_branch .LBB76_48
.LBB76_52:
	s_cmp_lt_i32 s4, 0
	s_cbranch_scc1 .LBB76_65
; %bb.53:
	s_bitcmp1_b32 s4, 0
	s_cselect_b64 s[2:3], -1, 0
	s_and_b64 vcc, exec, s[2:3]
	s_mov_b32 s2, s4
	s_cbranch_vccnz .LBB76_58
; %bb.54:
	v_lshl_add_u32 v3, s4, 6, v9
	ds_read_b64 v[1:2], v3
	s_cmp_le_i32 s8, s4
	s_cbranch_scc1 .LBB76_57
; %bb.55:
	s_lshl_b32 s2, s4, 6
	s_lshl_b32 s3, s23, 3
	v_lshlrev_b32_e32 v4, 3, v0
	s_add_i32 s2, s2, s3
	v_lshl_or_b32 v4, s23, 6, v4
	s_add_i32 s2, s2, -8
	v_add_u32_e32 v4, 0x1c0, v4
	s_mov_b32 s3, s8
.LBB76_56:                              ; =>This Inner Loop Header: Depth=1
	v_mov_b32_e32 v7, s2
	ds_read_b64 v[5:6], v4
	ds_read_b64 v[7:8], v7
	s_add_i32 s3, s3, -1
	s_add_i32 s2, s2, -8
	s_cmp_gt_u32 s3, s4
	v_subrev_u32_e32 v4, 64, v4
	s_waitcnt lgkmcnt(0)
	v_fma_f64 v[1:2], -v[5:6], v[7:8], v[1:2]
	s_cbranch_scc1 .LBB76_56
.LBB76_57:
	s_mul_i32 s2, s4, 0x48
	v_mov_b32_e32 v4, s2
	ds_read_b64 v[4:5], v4
	s_waitcnt lgkmcnt(0)
	v_div_scale_f64 v[6:7], s[2:3], v[4:5], v[4:5], v[1:2]
	s_add_i32 s2, s4, -1
	v_rcp_f64_e32 v[10:11], v[6:7]
	v_fma_f64 v[12:13], -v[6:7], v[10:11], 1.0
	v_fma_f64 v[10:11], v[10:11], v[12:13], v[10:11]
	v_div_scale_f64 v[12:13], vcc, v[1:2], v[4:5], v[1:2]
	v_fma_f64 v[14:15], -v[6:7], v[10:11], 1.0
	v_fma_f64 v[10:11], v[10:11], v[14:15], v[10:11]
	v_mul_f64 v[14:15], v[12:13], v[10:11]
	v_fma_f64 v[6:7], -v[6:7], v[14:15], v[12:13]
	v_div_fmas_f64 v[6:7], v[6:7], v[10:11], v[14:15]
	v_div_fixup_f64 v[1:2], v[6:7], v[4:5], v[1:2]
	ds_write_b64 v3, v[1:2]
.LBB76_58:
	s_cmp_eq_u32 s4, 0
	s_cbranch_scc1 .LBB76_65
; %bb.59:
	v_lshlrev_b32_e32 v1, 3, v0
	s_lshl_b32 s3, s2, 6
	s_lshl_b32 s4, s23, 3
	v_lshl_or_b32 v1, s23, 6, v1
	s_add_i32 s4, s3, s4
	v_add_u32_e32 v5, 0x1c0, v1
	s_add_i32 s3, s4, -8
	s_addk_i32 s4, 0xffb8
	s_branch .LBB76_61
.LBB76_60:                              ;   in Loop: Header=BB76_61 Depth=1
	s_addk_i32 s6, 0xffb8
	v_mov_b32_e32 v1, s6
	ds_read_b64 v[1:2], v1
	s_add_i32 s2, s2, -2
	s_addk_i32 s3, 0xff80
	s_addk_i32 s4, 0xff80
	s_cmp_eq_u32 s5, 0
	s_waitcnt lgkmcnt(0)
	v_div_scale_f64 v[10:11], s[6:7], v[1:2], v[1:2], v[3:4]
	v_div_scale_f64 v[16:17], vcc, v[3:4], v[1:2], v[3:4]
	v_rcp_f64_e32 v[12:13], v[10:11]
	v_fma_f64 v[14:15], -v[10:11], v[12:13], 1.0
	v_fma_f64 v[12:13], v[12:13], v[14:15], v[12:13]
	v_fma_f64 v[14:15], -v[10:11], v[12:13], 1.0
	v_fma_f64 v[12:13], v[12:13], v[14:15], v[12:13]
	v_mul_f64 v[14:15], v[16:17], v[12:13]
	v_fma_f64 v[10:11], -v[10:11], v[14:15], v[16:17]
	v_div_fmas_f64 v[10:11], v[10:11], v[12:13], v[14:15]
	v_div_fixup_f64 v[1:2], v[10:11], v[1:2], v[3:4]
	ds_write_b64 v7, v[1:2]
	s_cbranch_scc1 .LBB76_65
.LBB76_61:                              ; =>This Loop Header: Depth=1
                                        ;     Child Loop BB76_62 Depth 2
                                        ;     Child Loop BB76_64 Depth 2
	v_lshl_add_u32 v6, s2, 6, v9
	ds_read_b64 v[1:2], v6
	s_cmp_le_i32 s8, s2
	s_mov_b32 s5, s3
	v_mov_b32_e32 v3, v5
	s_mov_b32 s6, s8
	s_cbranch_scc1 .LBB76_63
.LBB76_62:                              ;   Parent Loop BB76_61 Depth=1
                                        ; =>  This Inner Loop Header: Depth=2
	v_mov_b32_e32 v4, s5
	ds_read_b64 v[7:8], v3
	ds_read_b64 v[10:11], v4
	s_add_i32 s6, s6, -1
	s_add_i32 s5, s5, -8
	s_cmp_le_u32 s6, s2
	v_subrev_u32_e32 v3, 64, v3
	s_waitcnt lgkmcnt(0)
	v_fma_f64 v[1:2], -v[7:8], v[10:11], v[1:2]
	s_cbranch_scc0 .LBB76_62
.LBB76_63:                              ;   in Loop: Header=BB76_61 Depth=1
	s_mul_i32 s6, s2, 0x48
	v_mov_b32_e32 v3, s6
	ds_read_b64 v[10:11], v3
	s_add_i32 s5, s2, -1
	v_lshl_add_u32 v7, s5, 6, v9
	ds_read_b64 v[3:4], v7
	s_mov_b32 s7, s4
	s_waitcnt lgkmcnt(1)
	v_div_scale_f64 v[12:13], s[12:13], v[10:11], v[10:11], v[1:2]
	s_cmp_le_i32 s23, s2
	s_mov_b32 s9, s8
	v_rcp_f64_e32 v[14:15], v[12:13]
	v_fma_f64 v[16:17], -v[12:13], v[14:15], 1.0
	v_fma_f64 v[14:15], v[14:15], v[16:17], v[14:15]
	v_div_scale_f64 v[16:17], vcc, v[1:2], v[10:11], v[1:2]
	v_fma_f64 v[18:19], -v[12:13], v[14:15], 1.0
	v_fma_f64 v[14:15], v[14:15], v[18:19], v[14:15]
	v_mul_f64 v[18:19], v[16:17], v[14:15]
	v_fma_f64 v[12:13], -v[12:13], v[18:19], v[16:17]
	v_div_fmas_f64 v[12:13], v[12:13], v[14:15], v[18:19]
	v_div_fixup_f64 v[10:11], v[12:13], v[10:11], v[1:2]
	v_mov_b32_e32 v1, v5
	ds_write_b64 v6, v[10:11]
	s_cbranch_scc1 .LBB76_60
.LBB76_64:                              ;   Parent Loop BB76_61 Depth=1
                                        ; =>  This Inner Loop Header: Depth=2
	v_mov_b32_e32 v2, s7
	ds_read_b64 v[10:11], v1
	ds_read_b64 v[12:13], v2
	s_add_i32 s9, s9, -1
	s_add_i32 s7, s7, -8
	s_cmp_gt_u32 s9, s5
	v_subrev_u32_e32 v1, 64, v1
	s_waitcnt lgkmcnt(0)
	v_fma_f64 v[3:4], -v[10:11], v[12:13], v[3:4]
	s_cbranch_scc1 .LBB76_64
	s_branch .LBB76_60
.LBB76_65:
	s_mov_b64 s[6:7], 0
.LBB76_66:
	s_andn2_b64 vcc, exec, s[6:7]
	s_cbranch_vccnz .LBB76_78
; %bb.67:
	v_mov_b32_e32 v1, 0x200
	v_lshl_or_b32 v9, v0, 3, v1
	s_cmp_lt_i32 s22, 4
	s_mov_b32 s4, 0
	s_cbranch_scc1 .LBB76_73
; %bb.68:
	s_mov_b32 s2, 0
	s_mov_b32 s3, 0
.LBB76_69:                              ; =>This Loop Header: Depth=1
                                        ;     Child Loop BB76_70 Depth 2
	s_or_b32 s4, s3, 3
	v_lshl_add_u32 v11, s3, 6, v9
	s_or_b32 s5, s3, 1
	s_or_b32 s6, s3, 2
	v_lshl_add_u32 v12, s5, 6, v9
	v_lshl_add_u32 v13, s6, 6, v9
	;; [unrolled: 1-line block ×3, first 2 shown]
	ds_read_b64 v[7:8], v11
	ds_read_b64 v[5:6], v12
	;; [unrolled: 1-line block ×4, first 2 shown]
	s_cmp_eq_u32 s3, 0
	s_mov_b32 s7, s2
	v_mov_b32_e32 v14, v9
	s_mov_b32 s8, s3
	s_cbranch_scc1 .LBB76_71
.LBB76_70:                              ;   Parent Loop BB76_69 Depth=1
                                        ; =>  This Inner Loop Header: Depth=2
	v_mov_b32_e32 v19, s7
	ds_read_b64 v[23:24], v14
	ds_read2_b64 v[15:18], v19 offset1:8
	ds_read2_b64 v[19:22], v19 offset0:16 offset1:24
	s_add_i32 s8, s8, -1
	s_add_i32 s7, s7, 8
	s_cmp_eq_u32 s8, 0
	s_waitcnt lgkmcnt(1)
	v_fma_f64 v[7:8], -v[23:24], v[15:16], v[7:8]
	v_fma_f64 v[5:6], -v[23:24], v[17:18], v[5:6]
	s_waitcnt lgkmcnt(0)
	v_fma_f64 v[3:4], -v[23:24], v[19:20], v[3:4]
	v_fma_f64 v[1:2], -v[23:24], v[21:22], v[1:2]
	v_add_u32_e32 v14, 64, v14
	s_cbranch_scc0 .LBB76_70
.LBB76_71:                              ;   in Loop: Header=BB76_69 Depth=1
	s_lshl_b32 s7, s5, 3
	s_lshl_b32 s5, s6, 3
	s_mul_i32 s6, s3, 0x48
	v_mov_b32_e32 v14, s6
	ds_read_b64 v[18:19], v14
	s_lshl_b32 s6, s7, 3
	s_lshl_b32 s8, s3, 3
	s_add_i32 s6, s6, s8
	v_mov_b32_e32 v14, s6
	s_waitcnt lgkmcnt(0)
	v_div_scale_f64 v[20:21], s[6:7], v[18:19], v[18:19], v[7:8]
	ds_read_b128 v[14:17], v14
	s_lshl_b32 s4, s4, 3
	s_lshl_b32 s4, s4, 3
	s_add_i32 s4, s4, s8
	s_addk_i32 s2, 0x100
	v_rcp_f64_e32 v[22:23], v[20:21]
	v_fma_f64 v[24:25], -v[20:21], v[22:23], 1.0
	v_fma_f64 v[22:23], v[22:23], v[24:25], v[22:23]
	v_div_scale_f64 v[24:25], vcc, v[7:8], v[18:19], v[7:8]
	v_fma_f64 v[26:27], -v[20:21], v[22:23], 1.0
	v_fma_f64 v[22:23], v[22:23], v[26:27], v[22:23]
	v_mul_f64 v[26:27], v[24:25], v[22:23]
	v_fma_f64 v[20:21], -v[20:21], v[26:27], v[24:25]
	v_div_fmas_f64 v[20:21], v[20:21], v[22:23], v[26:27]
	v_div_fixup_f64 v[18:19], v[20:21], v[18:19], v[7:8]
	s_waitcnt lgkmcnt(0)
	v_fma_f64 v[14:15], -v[18:19], v[14:15], v[5:6]
	v_div_scale_f64 v[5:6], s[6:7], v[16:17], v[16:17], v[14:15]
	s_lshl_b32 s6, s5, 3
	s_add_i32 s7, s6, s8
	s_add_i32 s5, s6, s5
	v_rcp_f64_e32 v[7:8], v[5:6]
	v_fma_f64 v[20:21], -v[5:6], v[7:8], 1.0
	v_fma_f64 v[7:8], v[7:8], v[20:21], v[7:8]
	v_div_scale_f64 v[20:21], vcc, v[14:15], v[16:17], v[14:15]
	v_fma_f64 v[22:23], -v[5:6], v[7:8], 1.0
	v_fma_f64 v[7:8], v[7:8], v[22:23], v[7:8]
	v_mul_f64 v[22:23], v[20:21], v[7:8]
	v_fma_f64 v[5:6], -v[5:6], v[22:23], v[20:21]
	v_div_fmas_f64 v[20:21], v[5:6], v[7:8], v[22:23]
	v_mov_b32_e32 v5, s7
	ds_read_b128 v[5:8], v5
	v_mov_b32_e32 v22, s5
	ds_read_b64 v[22:23], v22
	s_waitcnt lgkmcnt(1)
	v_fma_f64 v[3:4], -v[18:19], v[5:6], v[3:4]
	v_div_fixup_f64 v[20:21], v[20:21], v[16:17], v[14:15]
	v_fma_f64 v[7:8], -v[20:21], v[7:8], v[3:4]
	s_waitcnt lgkmcnt(0)
	v_div_scale_f64 v[3:4], s[6:7], v[22:23], v[22:23], v[7:8]
	v_rcp_f64_e32 v[5:6], v[3:4]
	v_fma_f64 v[14:15], -v[3:4], v[5:6], 1.0
	v_fma_f64 v[5:6], v[5:6], v[14:15], v[5:6]
	v_div_scale_f64 v[14:15], vcc, v[7:8], v[22:23], v[7:8]
	v_fma_f64 v[16:17], -v[3:4], v[5:6], 1.0
	v_fma_f64 v[5:6], v[5:6], v[16:17], v[5:6]
	v_mul_f64 v[16:17], v[14:15], v[5:6]
	v_fma_f64 v[3:4], -v[3:4], v[16:17], v[14:15]
	v_mov_b32_e32 v14, s4
	v_div_fmas_f64 v[24:25], v[3:4], v[5:6], v[16:17]
	ds_read_b128 v[3:6], v14
	ds_read_b128 v[14:17], v14 offset:16
	s_waitcnt lgkmcnt(1)
	v_fma_f64 v[1:2], -v[18:19], v[3:4], v[1:2]
	v_fma_f64 v[1:2], -v[20:21], v[5:6], v[1:2]
	v_div_fixup_f64 v[3:4], v[24:25], v[22:23], v[7:8]
	ds_write_b64 v11, v[18:19]
	ds_write_b64 v12, v[20:21]
	;; [unrolled: 1-line block ×3, first 2 shown]
	s_waitcnt lgkmcnt(3)
	v_fma_f64 v[1:2], -v[3:4], v[14:15], v[1:2]
	v_div_scale_f64 v[5:6], s[4:5], v[16:17], v[16:17], v[1:2]
	v_div_scale_f64 v[22:23], vcc, v[1:2], v[16:17], v[1:2]
	s_add_i32 s4, s3, 4
	s_add_i32 s3, s3, 7
	s_cmp_ge_i32 s3, s23
	v_rcp_f64_e32 v[7:8], v[5:6]
	v_fma_f64 v[14:15], -v[5:6], v[7:8], 1.0
	v_fma_f64 v[7:8], v[7:8], v[14:15], v[7:8]
	v_fma_f64 v[14:15], -v[5:6], v[7:8], 1.0
	v_fma_f64 v[7:8], v[7:8], v[14:15], v[7:8]
	v_mul_f64 v[14:15], v[22:23], v[7:8]
	v_fma_f64 v[5:6], -v[5:6], v[14:15], v[22:23]
	v_div_fmas_f64 v[5:6], v[5:6], v[7:8], v[14:15]
	v_div_fixup_f64 v[1:2], v[5:6], v[16:17], v[1:2]
	ds_write_b64 v10, v[1:2]
	s_cbranch_scc1 .LBB76_73
; %bb.72:                               ;   in Loop: Header=BB76_69 Depth=1
	s_mov_b32 s3, s4
	s_branch .LBB76_69
.LBB76_73:
	s_cmp_ge_i32 s4, s23
	s_cbranch_scc1 .LBB76_78
; %bb.74:
	v_mov_b32_e32 v1, 0x200
	v_lshl_or_b32 v3, v0, 3, v1
	s_lshl_b32 s2, s4, 6
	s_branch .LBB76_76
.LBB76_75:                              ;   in Loop: Header=BB76_76 Depth=1
	s_mul_i32 s3, s4, 0x48
	v_mov_b32_e32 v5, s3
	ds_read_b64 v[5:6], v5
	s_add_i32 s4, s4, 1
	s_add_i32 s2, s2, 64
	s_cmp_ge_i32 s4, s23
	s_waitcnt lgkmcnt(0)
	v_div_scale_f64 v[7:8], s[6:7], v[5:6], v[5:6], v[1:2]
	v_div_scale_f64 v[14:15], vcc, v[1:2], v[5:6], v[1:2]
	v_rcp_f64_e32 v[10:11], v[7:8]
	v_fma_f64 v[12:13], -v[7:8], v[10:11], 1.0
	v_fma_f64 v[10:11], v[10:11], v[12:13], v[10:11]
	v_fma_f64 v[12:13], -v[7:8], v[10:11], 1.0
	v_fma_f64 v[10:11], v[10:11], v[12:13], v[10:11]
	v_mul_f64 v[12:13], v[14:15], v[10:11]
	v_fma_f64 v[7:8], -v[7:8], v[12:13], v[14:15]
	v_div_fmas_f64 v[7:8], v[7:8], v[10:11], v[12:13]
	v_div_fixup_f64 v[1:2], v[7:8], v[5:6], v[1:2]
	ds_write_b64 v4, v[1:2]
	s_cbranch_scc1 .LBB76_78
.LBB76_76:                              ; =>This Loop Header: Depth=1
                                        ;     Child Loop BB76_77 Depth 2
	v_lshl_add_u32 v4, s4, 6, v9
	ds_read_b64 v[1:2], v4
	s_cmp_eq_u32 s4, 0
	s_mov_b32 s3, s2
	v_mov_b32_e32 v5, v3
	s_mov_b32 s5, s4
	s_cbranch_scc1 .LBB76_75
.LBB76_77:                              ;   Parent Loop BB76_76 Depth=1
                                        ; =>  This Inner Loop Header: Depth=2
	v_mov_b32_e32 v8, s3
	ds_read_b64 v[6:7], v5
	ds_read_b64 v[10:11], v8
	s_add_i32 s5, s5, -1
	s_add_i32 s3, s3, 8
	s_cmp_eq_u32 s5, 0
	v_add_u32_e32 v5, 64, v5
	s_waitcnt lgkmcnt(0)
	v_fma_f64 v[1:2], -v[6:7], v[10:11], v[1:2]
	s_cbranch_scc0 .LBB76_77
	s_branch .LBB76_75
.LBB76_78:
	s_and_saveexec_b64 s[2:3], s[0:1]
	s_cbranch_execz .LBB76_82
; %bb.79:
	s_cmp_lt_i32 s22, 1
	s_cbranch_scc1 .LBB76_82
; %bb.80:
	s_ashr_i32 s11, s10, 31
	v_lshlrev_b32_e32 v2, 3, v0
	v_mov_b32_e32 v1, s15
	v_add_co_u32_e32 v0, vcc, s14, v2
	s_lshl_b64 s[0:1], s[10:11], 3
	v_addc_co_u32_e32 v1, vcc, 0, v1, vcc
	v_or_b32_e32 v2, 0x200, v2
	v_mov_b32_e32 v3, s1
.LBB76_81:                              ; =>This Inner Loop Header: Depth=1
	ds_read_b64 v[4:5], v2
	s_add_i32 s22, s22, -1
	v_add_u32_e32 v2, 64, v2
	s_cmp_lg_u32 s22, 0
	s_waitcnt lgkmcnt(0)
	global_store_dwordx2 v[0:1], v[4:5], off
	v_add_co_u32_e32 v0, vcc, s0, v0
	v_addc_co_u32_e32 v1, vcc, v1, v3, vcc
	s_cbranch_scc1 .LBB76_81
.LBB76_82:
	s_endpgm
	.section	.rodata,"a",@progbits
	.p2align	6, 0x0
	.amdhsa_kernel _ZL31rocblas_trsm_small_right_deviceIddPKdPdLi8EEv13rocblas_fill_18rocblas_operation_17rocblas_diagonal_iiT0_T1_lilT2_lili
		.amdhsa_group_segment_fixed_size 1024
		.amdhsa_private_segment_fixed_size 0
		.amdhsa_kernarg_size 360
		.amdhsa_user_sgpr_count 6
		.amdhsa_user_sgpr_private_segment_buffer 1
		.amdhsa_user_sgpr_dispatch_ptr 0
		.amdhsa_user_sgpr_queue_ptr 0
		.amdhsa_user_sgpr_kernarg_segment_ptr 1
		.amdhsa_user_sgpr_dispatch_id 0
		.amdhsa_user_sgpr_flat_scratch_init 0
		.amdhsa_user_sgpr_private_segment_size 0
		.amdhsa_uses_dynamic_stack 0
		.amdhsa_system_sgpr_private_segment_wavefront_offset 0
		.amdhsa_system_sgpr_workgroup_id_x 1
		.amdhsa_system_sgpr_workgroup_id_y 0
		.amdhsa_system_sgpr_workgroup_id_z 1
		.amdhsa_system_sgpr_workgroup_info 0
		.amdhsa_system_vgpr_workitem_id 0
		.amdhsa_next_free_vgpr 29
		.amdhsa_next_free_sgpr 26
		.amdhsa_reserve_vcc 1
		.amdhsa_reserve_flat_scratch 0
		.amdhsa_float_round_mode_32 0
		.amdhsa_float_round_mode_16_64 0
		.amdhsa_float_denorm_mode_32 3
		.amdhsa_float_denorm_mode_16_64 3
		.amdhsa_dx10_clamp 1
		.amdhsa_ieee_mode 1
		.amdhsa_fp16_overflow 0
		.amdhsa_exception_fp_ieee_invalid_op 0
		.amdhsa_exception_fp_denorm_src 0
		.amdhsa_exception_fp_ieee_div_zero 0
		.amdhsa_exception_fp_ieee_overflow 0
		.amdhsa_exception_fp_ieee_underflow 0
		.amdhsa_exception_fp_ieee_inexact 0
		.amdhsa_exception_int_div_zero 0
	.end_amdhsa_kernel
	.section	.text._ZL31rocblas_trsm_small_right_deviceIddPKdPdLi8EEv13rocblas_fill_18rocblas_operation_17rocblas_diagonal_iiT0_T1_lilT2_lili,"axG",@progbits,_ZL31rocblas_trsm_small_right_deviceIddPKdPdLi8EEv13rocblas_fill_18rocblas_operation_17rocblas_diagonal_iiT0_T1_lilT2_lili,comdat
.Lfunc_end76:
	.size	_ZL31rocblas_trsm_small_right_deviceIddPKdPdLi8EEv13rocblas_fill_18rocblas_operation_17rocblas_diagonal_iiT0_T1_lilT2_lili, .Lfunc_end76-_ZL31rocblas_trsm_small_right_deviceIddPKdPdLi8EEv13rocblas_fill_18rocblas_operation_17rocblas_diagonal_iiT0_T1_lilT2_lili
                                        ; -- End function
	.set _ZL31rocblas_trsm_small_right_deviceIddPKdPdLi8EEv13rocblas_fill_18rocblas_operation_17rocblas_diagonal_iiT0_T1_lilT2_lili.num_vgpr, 29
	.set _ZL31rocblas_trsm_small_right_deviceIddPKdPdLi8EEv13rocblas_fill_18rocblas_operation_17rocblas_diagonal_iiT0_T1_lilT2_lili.num_agpr, 0
	.set _ZL31rocblas_trsm_small_right_deviceIddPKdPdLi8EEv13rocblas_fill_18rocblas_operation_17rocblas_diagonal_iiT0_T1_lilT2_lili.numbered_sgpr, 26
	.set _ZL31rocblas_trsm_small_right_deviceIddPKdPdLi8EEv13rocblas_fill_18rocblas_operation_17rocblas_diagonal_iiT0_T1_lilT2_lili.num_named_barrier, 0
	.set _ZL31rocblas_trsm_small_right_deviceIddPKdPdLi8EEv13rocblas_fill_18rocblas_operation_17rocblas_diagonal_iiT0_T1_lilT2_lili.private_seg_size, 0
	.set _ZL31rocblas_trsm_small_right_deviceIddPKdPdLi8EEv13rocblas_fill_18rocblas_operation_17rocblas_diagonal_iiT0_T1_lilT2_lili.uses_vcc, 1
	.set _ZL31rocblas_trsm_small_right_deviceIddPKdPdLi8EEv13rocblas_fill_18rocblas_operation_17rocblas_diagonal_iiT0_T1_lilT2_lili.uses_flat_scratch, 0
	.set _ZL31rocblas_trsm_small_right_deviceIddPKdPdLi8EEv13rocblas_fill_18rocblas_operation_17rocblas_diagonal_iiT0_T1_lilT2_lili.has_dyn_sized_stack, 0
	.set _ZL31rocblas_trsm_small_right_deviceIddPKdPdLi8EEv13rocblas_fill_18rocblas_operation_17rocblas_diagonal_iiT0_T1_lilT2_lili.has_recursion, 0
	.set _ZL31rocblas_trsm_small_right_deviceIddPKdPdLi8EEv13rocblas_fill_18rocblas_operation_17rocblas_diagonal_iiT0_T1_lilT2_lili.has_indirect_call, 0
	.section	.AMDGPU.csdata,"",@progbits
; Kernel info:
; codeLenInByte = 6004
; TotalNumSgprs: 30
; NumVgprs: 29
; ScratchSize: 0
; MemoryBound: 0
; FloatMode: 240
; IeeeMode: 1
; LDSByteSize: 1024 bytes/workgroup (compile time only)
; SGPRBlocks: 3
; VGPRBlocks: 7
; NumSGPRsForWavesPerEU: 30
; NumVGPRsForWavesPerEU: 29
; Occupancy: 8
; WaveLimiterHint : 0
; COMPUTE_PGM_RSRC2:SCRATCH_EN: 0
; COMPUTE_PGM_RSRC2:USER_SGPR: 6
; COMPUTE_PGM_RSRC2:TRAP_HANDLER: 0
; COMPUTE_PGM_RSRC2:TGID_X_EN: 1
; COMPUTE_PGM_RSRC2:TGID_Y_EN: 0
; COMPUTE_PGM_RSRC2:TGID_Z_EN: 1
; COMPUTE_PGM_RSRC2:TIDIG_COMP_CNT: 0
	.section	.text._ZL38rocblas_trsm_small_left_device_sharedBILi12ELi12ELb0EddPKdPdEv13rocblas_fill_18rocblas_operation_17rocblas_diagonal_iiT3_T4_lilT5_lili,"axG",@progbits,_ZL38rocblas_trsm_small_left_device_sharedBILi12ELi12ELb0EddPKdPdEv13rocblas_fill_18rocblas_operation_17rocblas_diagonal_iiT3_T4_lilT5_lili,comdat
	.globl	_ZL38rocblas_trsm_small_left_device_sharedBILi12ELi12ELb0EddPKdPdEv13rocblas_fill_18rocblas_operation_17rocblas_diagonal_iiT3_T4_lilT5_lili ; -- Begin function _ZL38rocblas_trsm_small_left_device_sharedBILi12ELi12ELb0EddPKdPdEv13rocblas_fill_18rocblas_operation_17rocblas_diagonal_iiT3_T4_lilT5_lili
	.p2align	8
	.type	_ZL38rocblas_trsm_small_left_device_sharedBILi12ELi12ELb0EddPKdPdEv13rocblas_fill_18rocblas_operation_17rocblas_diagonal_iiT3_T4_lilT5_lili,@function
_ZL38rocblas_trsm_small_left_device_sharedBILi12ELi12ELb0EddPKdPdEv13rocblas_fill_18rocblas_operation_17rocblas_diagonal_iiT3_T4_lilT5_lili: ; @_ZL38rocblas_trsm_small_left_device_sharedBILi12ELi12ELb0EddPKdPdEv13rocblas_fill_18rocblas_operation_17rocblas_diagonal_iiT3_T4_lilT5_lili
; %bb.0:
	s_load_dwordx4 s[8:11], s[4:5], 0x4
	s_load_dwordx4 s[12:15], s[4:5], 0x18
	s_load_dwordx2 s[20:21], s[4:5], 0x28
	s_load_dwordx4 s[0:3], s[4:5], 0x38
	s_load_dwordx2 s[16:17], s[4:5], 0x48
	s_waitcnt lgkmcnt(0)
	s_min_i32 s22, s10, 12
	v_cmp_gt_i32_e32 vcc, s22, v0
	s_and_saveexec_b64 s[18:19], vcc
	s_cbranch_execz .LBB77_6
; %bb.1:
	s_load_dword s24, s[4:5], 0x30
	s_mul_i32 s1, s1, s7
	s_mul_hi_u32 s23, s0, s7
	s_mul_i32 s0, s0, s7
	s_add_i32 s1, s23, s1
	s_waitcnt lgkmcnt(0)
	s_ashr_i32 s25, s24, 31
	s_lshl_b64 s[0:1], s[0:1], 3
	s_add_u32 s14, s14, s0
	s_addc_u32 s15, s15, s1
	s_lshl_b64 s[0:1], s[20:21], 3
	s_add_u32 s0, s14, s0
	s_addc_u32 s1, s15, s1
	v_lshlrev_b32_e32 v3, 3, v0
	v_mov_b32_e32 v2, s1
	v_add_co_u32_e32 v1, vcc, s0, v3
	s_lshl_b64 s[0:1], s[24:25], 3
	v_addc_co_u32_e32 v2, vcc, 0, v2, vcc
	v_mov_b32_e32 v4, s1
	v_mov_b32_e32 v5, v3
	s_mov_b32 s1, s22
.LBB77_2:                               ; =>This Inner Loop Header: Depth=1
	global_load_dwordx2 v[6:7], v[1:2], off
	v_add_co_u32_e32 v1, vcc, s0, v1
	s_add_i32 s1, s1, -1
	v_addc_co_u32_e32 v2, vcc, v2, v4, vcc
	s_cmp_eq_u32 s1, 0
	s_waitcnt vmcnt(0)
	ds_write_b64 v5, v[6:7]
	v_add_u32_e32 v5, 0x60, v5
	s_cbranch_scc0 .LBB77_2
; %bb.3:
	v_mul_u32_u24_e32 v4, 0x60, v0
	v_mov_b32_e32 v1, 0
	s_cmpk_lg_i32 s9, 0x84
	v_mov_b32_e32 v2, 0x3ff00000
	v_add_u32_e32 v3, v3, v4
	s_cbranch_scc0 .LBB77_5
; %bb.4:
	ds_read_b64 v[1:2], v3
	s_waitcnt lgkmcnt(0)
	v_div_scale_f64 v[4:5], s[0:1], v[1:2], v[1:2], 1.0
	v_div_scale_f64 v[10:11], vcc, 1.0, v[1:2], 1.0
	v_rcp_f64_e32 v[6:7], v[4:5]
	v_fma_f64 v[8:9], -v[4:5], v[6:7], 1.0
	v_fma_f64 v[6:7], v[6:7], v[8:9], v[6:7]
	v_fma_f64 v[8:9], -v[4:5], v[6:7], 1.0
	v_fma_f64 v[6:7], v[6:7], v[8:9], v[6:7]
	v_mul_f64 v[8:9], v[10:11], v[6:7]
	v_fma_f64 v[4:5], -v[4:5], v[8:9], v[10:11]
	v_div_fmas_f64 v[4:5], v[4:5], v[6:7], v[8:9]
	v_div_fixup_f64 v[1:2], v[4:5], v[1:2], 1.0
.LBB77_5:
	ds_write_b64 v3, v[1:2]
.LBB77_6:
	s_or_b64 exec, exec, s[18:19]
	s_load_dword s0, s[4:5], 0x68
	s_load_dwordx2 s[14:15], s[4:5], 0x58
	s_load_dword s9, s[4:5], 0x50
	s_waitcnt lgkmcnt(0)
	s_mul_i32 s1, s15, s7
	s_mul_hi_u32 s5, s14, s7
	s_mul_i32 s4, s14, s7
	s_add_i32 s5, s5, s1
	s_lshl_b64 s[4:5], s[4:5], 3
	s_add_u32 s1, s2, s4
	s_addc_u32 s4, s3, s5
	s_lshl_b64 s[2:3], s[16:17], 3
	s_add_u32 s2, s1, s2
	s_mul_i32 s1, s6, -12
	s_addc_u32 s3, s4, s3
	s_add_i32 s0, s0, -1
	s_add_i32 s1, s11, s1
	s_cmp_ge_u32 s6, s0
	s_mul_i32 s6, s6, 12
	s_cselect_b32 s4, s1, 12
	s_mul_hi_i32 s1, s9, s6
	s_mul_i32 s0, s9, s6
	s_lshl_b64 s[0:1], s[0:1], 3
	s_add_u32 s6, s2, s0
	s_addc_u32 s7, s3, s1
	s_cmp_gt_i32 s10, 0
	v_cmp_gt_i32_e64 s[0:1], s4, v0
	s_cselect_b64 s[2:3], -1, 0
	s_and_b64 s[14:15], s[0:1], s[2:3]
	s_and_saveexec_b64 s[4:5], s[14:15]
	s_cbranch_execz .LBB77_9
; %bb.7:
	v_mad_i64_i32 v[1:2], s[14:15], s9, v0, 0
	v_mov_b32_e32 v3, s7
	s_mov_b32 s11, s22
	v_lshlrev_b64 v[1:2], 3, v[1:2]
	v_add_co_u32_e32 v1, vcc, s6, v1
	v_addc_co_u32_e32 v2, vcc, v3, v2, vcc
	v_mov_b32_e32 v3, 0x480
	v_lshl_or_b32 v3, v0, 3, v3
.LBB77_8:                               ; =>This Inner Loop Header: Depth=1
	global_load_dwordx2 v[4:5], v[1:2], off
	s_add_i32 s11, s11, -1
	v_add_co_u32_e32 v1, vcc, 8, v1
	v_addc_co_u32_e32 v2, vcc, 0, v2, vcc
	s_cmp_lg_u32 s11, 0
	s_waitcnt vmcnt(0)
	v_mul_f64 v[4:5], s[12:13], v[4:5]
	ds_write_b64 v3, v[4:5]
	v_add_u32_e32 v3, 0x60, v3
	s_cbranch_scc1 .LBB77_8
.LBB77_9:
	s_or_b64 exec, exec, s[4:5]
	v_mov_b32_e32 v1, 0x480
	s_cmpk_eq_i32 s8, 0x6f
	v_lshl_or_b32 v17, v0, 3, v1
	s_mov_b64 s[4:5], -1
	s_waitcnt lgkmcnt(0)
	; wave barrier
	s_cbranch_scc1 .LBB77_24
; %bb.10:
	s_cmp_gt_i32 s10, 11
	s_cselect_b64 s[4:5], -1, 0
	s_and_b64 vcc, exec, s[4:5]
	s_cbranch_vccz .LBB77_12
; %bb.11:
	v_mov_b32_e32 v7, 0
	ds_read2_b64 v[1:4], v17 offset1:12
	ds_read2_b64 v[8:11], v7 offset1:26
	ds_read_b128 v[12:15], v7 offset:96
	s_mov_b32 s8, 12
	s_waitcnt lgkmcnt(1)
	v_mul_f64 v[1:2], v[1:2], v[8:9]
	s_waitcnt lgkmcnt(0)
	v_fma_f64 v[8:9], -v[1:2], v[12:13], v[3:4]
	ds_read2_b64 v[3:6], v17 offset0:24 offset1:36
	ds_read_b128 v[18:21], v7 offset:192
	ds_read_b128 v[22:25], v7 offset:288
	s_waitcnt lgkmcnt(1)
	v_fma_f64 v[18:19], -v[1:2], v[18:19], v[3:4]
	s_waitcnt lgkmcnt(0)
	v_fma_f64 v[5:6], -v[1:2], v[22:23], v[5:6]
	v_mul_f64 v[3:4], v[8:9], v[14:15]
	ds_read2_b64 v[12:15], v17 offset0:48 offset1:60
	ds_read2_b64 v[26:29], v17 offset0:72 offset1:84
	ds_read_b128 v[30:33], v7 offset:384
	v_fma_f64 v[8:9], -v[3:4], v[20:21], v[18:19]
	ds_read_b128 v[18:21], v7 offset:480
	v_fma_f64 v[34:35], -v[3:4], v[24:25], v[5:6]
	s_waitcnt lgkmcnt(1)
	v_fma_f64 v[5:6], -v[1:2], v[30:31], v[12:13]
	ds_read_b128 v[22:25], v7 offset:576
	s_waitcnt lgkmcnt(1)
	v_fma_f64 v[18:19], -v[1:2], v[18:19], v[14:15]
	ds_read_b128 v[12:15], v7 offset:672
	s_waitcnt lgkmcnt(1)
	v_fma_f64 v[22:23], -v[1:2], v[22:23], v[26:27]
	v_fma_f64 v[26:27], -v[3:4], v[32:33], v[5:6]
	s_waitcnt lgkmcnt(0)
	v_fma_f64 v[5:6], -v[1:2], v[12:13], v[28:29]
	v_fma_f64 v[30:31], -v[3:4], v[20:21], v[18:19]
	ds_read2_b64 v[18:21], v17 offset0:96 offset1:108
	v_fma_f64 v[32:33], -v[3:4], v[24:25], v[22:23]
	ds_read_b128 v[22:25], v7 offset:768
	v_fma_f64 v[28:29], -v[3:4], v[14:15], v[5:6]
	ds_read_b128 v[12:15], v7 offset:864
	v_mul_f64 v[5:6], v[8:9], v[10:11]
	ds_read_b128 v[8:11], v7 offset:960
	s_waitcnt lgkmcnt(1)
	v_fma_f64 v[12:13], -v[1:2], v[12:13], v[20:21]
	v_fma_f64 v[20:21], -v[3:4], v[14:15], v[12:13]
	ds_read_b128 v[12:15], v7 offset:304
	v_fma_f64 v[18:19], -v[1:2], v[22:23], v[18:19]
	s_waitcnt lgkmcnt(0)
	v_fma_f64 v[12:13], -v[5:6], v[12:13], v[34:35]
	v_fma_f64 v[18:19], -v[3:4], v[24:25], v[18:19]
	ds_read2_b64 v[22:25], v17 offset0:120 offset1:132
	s_waitcnt lgkmcnt(0)
	v_fma_f64 v[8:9], -v[1:2], v[8:9], v[22:23]
	v_fma_f64 v[22:23], -v[3:4], v[10:11], v[8:9]
	ds_read_b128 v[8:11], v7 offset:1056
	s_waitcnt lgkmcnt(0)
	v_fma_f64 v[8:9], -v[1:2], v[8:9], v[24:25]
	v_mul_f64 v[24:25], v[12:13], v[14:15]
	ds_read_b128 v[12:15], v7 offset:400
	s_waitcnt lgkmcnt(0)
	v_fma_f64 v[12:13], -v[5:6], v[12:13], v[26:27]
	v_fma_f64 v[26:27], -v[3:4], v[10:11], v[8:9]
	ds_read_b128 v[8:11], v7 offset:496
	s_waitcnt lgkmcnt(0)
	v_fma_f64 v[8:9], -v[5:6], v[8:9], v[30:31]
	v_fma_f64 v[30:31], -v[24:25], v[14:15], v[12:13]
	;; [unrolled: 4-line block ×8, first 2 shown]
	ds_read2_b64 v[12:15], v7 offset0:52 offset1:78
	s_waitcnt lgkmcnt(0)
	v_mul_f64 v[30:31], v[30:31], v[12:13]
	v_fma_f64 v[34:35], -v[24:25], v[10:11], v[8:9]
	ds_read_b128 v[8:11], v7 offset:512
	s_waitcnt lgkmcnt(0)
	v_fma_f64 v[8:9], -v[30:31], v[8:9], v[32:33]
	v_mul_f64 v[32:33], v[8:9], v[10:11]
	ds_read_b128 v[8:11], v7 offset:608
	s_waitcnt lgkmcnt(0)
	v_fma_f64 v[8:9], -v[30:31], v[8:9], v[28:29]
	v_fma_f64 v[12:13], -v[32:33], v[10:11], v[8:9]
	ds_read_b128 v[8:11], v7 offset:704
	s_waitcnt lgkmcnt(0)
	v_fma_f64 v[8:9], -v[30:31], v[8:9], v[18:19]
	v_fma_f64 v[18:19], -v[32:33], v[10:11], v[8:9]
	ds_read_b128 v[8:11], v7 offset:800
	s_waitcnt lgkmcnt(0)
	v_fma_f64 v[8:9], -v[30:31], v[8:9], v[20:21]
	v_fma_f64 v[20:21], -v[32:33], v[10:11], v[8:9]
	ds_read_b128 v[8:11], v7 offset:896
	s_waitcnt lgkmcnt(0)
	v_fma_f64 v[8:9], -v[30:31], v[8:9], v[22:23]
	v_mul_f64 v[22:23], v[12:13], v[14:15]
	ds_read_b128 v[12:15], v7 offset:992
	s_waitcnt lgkmcnt(0)
	v_fma_f64 v[12:13], -v[30:31], v[12:13], v[26:27]
	v_fma_f64 v[26:27], -v[32:33], v[10:11], v[8:9]
	ds_read_b128 v[8:11], v7 offset:720
	s_waitcnt lgkmcnt(0)
	v_fma_f64 v[8:9], -v[22:23], v[8:9], v[18:19]
	v_fma_f64 v[18:19], -v[32:33], v[14:15], v[12:13]
	ds_read_b128 v[12:15], v7 offset:1088
	v_mul_f64 v[28:29], v[8:9], v[10:11]
	ds_read_b128 v[8:11], v7 offset:816
	s_waitcnt lgkmcnt(1)
	v_fma_f64 v[12:13], -v[30:31], v[12:13], v[34:35]
	s_waitcnt lgkmcnt(0)
	v_fma_f64 v[8:9], -v[22:23], v[8:9], v[20:21]
	v_fma_f64 v[20:21], -v[32:33], v[14:15], v[12:13]
	ds_read_b128 v[12:15], v7 offset:912
	s_waitcnt lgkmcnt(0)
	v_fma_f64 v[12:13], -v[22:23], v[12:13], v[26:27]
	v_fma_f64 v[26:27], -v[28:29], v[10:11], v[8:9]
	ds_read_b128 v[8:11], v7 offset:1008
	;; [unrolled: 4-line block ×3, first 2 shown]
	s_waitcnt lgkmcnt(0)
	v_fma_f64 v[12:13], -v[22:23], v[12:13], v[20:21]
	v_fma_f64 v[20:21], -v[28:29], v[10:11], v[8:9]
	ds_read2_b64 v[8:11], v7 offset0:104 offset1:130
	s_waitcnt lgkmcnt(0)
	v_mul_f64 v[26:27], v[26:27], v[8:9]
	v_fma_f64 v[8:9], -v[28:29], v[14:15], v[12:13]
	ds_read_b128 v[12:15], v7 offset:928
	s_waitcnt lgkmcnt(0)
	v_fma_f64 v[12:13], -v[26:27], v[12:13], v[18:19]
	v_mul_f64 v[18:19], v[12:13], v[14:15]
	ds_read_b128 v[12:15], v7 offset:1024
	s_waitcnt lgkmcnt(0)
	v_fma_f64 v[12:13], -v[26:27], v[12:13], v[20:21]
	v_fma_f64 v[20:21], -v[18:19], v[14:15], v[12:13]
	ds_read_b128 v[12:15], v7 offset:1120
	s_waitcnt lgkmcnt(0)
	v_fma_f64 v[8:9], -v[26:27], v[12:13], v[8:9]
	v_fma_f64 v[12:13], -v[18:19], v[14:15], v[8:9]
	v_mul_f64 v[14:15], v[20:21], v[10:11]
	ds_read_b128 v[7:10], v7 offset:1136
	s_waitcnt lgkmcnt(0)
	v_fma_f64 v[7:8], -v[14:15], v[7:8], v[12:13]
	v_mul_f64 v[7:8], v[7:8], v[9:10]
	ds_write2_b64 v17, v[1:2], v[3:4] offset1:12
	ds_write2_b64 v17, v[5:6], v[24:25] offset0:24 offset1:36
	ds_write2_b64 v17, v[30:31], v[32:33] offset0:48 offset1:60
	;; [unrolled: 1-line block ×5, first 2 shown]
	s_cmp_lt_i32 s8, s22
	s_cbranch_scc1 .LBB77_13
	s_branch .LBB77_23
.LBB77_12:
	s_mov_b32 s8, 0
	s_cmp_lt_i32 s8, s22
	s_cbranch_scc0 .LBB77_23
.LBB77_13:
	s_add_i32 s11, s8, 7
	s_cmp_ge_u32 s11, s22
	s_cbranch_scc1 .LBB77_18
; %bb.14:
	s_mul_i32 s11, s8, 0x60
	v_add_u32_e32 v18, s11, v17
	ds_read2_b64 v[13:16], v18 offset1:12
	ds_read2_b64 v[9:12], v18 offset0:24 offset1:36
	ds_read2_b64 v[5:8], v18 offset0:48 offset1:60
	;; [unrolled: 1-line block ×3, first 2 shown]
	s_andn2_b64 vcc, exec, s[4:5]
	s_cbranch_vccnz .LBB77_17
; %bb.15:
	v_mov_b32_e32 v19, 0x480
	v_lshl_or_b32 v19, v0, 3, v19
	s_mov_b32 s4, s8
	s_mov_b32 s5, s11
.LBB77_16:                              ; =>This Inner Loop Header: Depth=1
	ds_read2_b64 v[20:23], v19 offset1:12
	v_mov_b32_e32 v48, s5
	ds_read2_b64 v[24:27], v19 offset0:24 offset1:36
	ds_read_b128 v[28:31], v48
	ds_read_b128 v[32:35], v48 offset:96
	s_add_i32 s5, s5, 32
	s_add_i32 s4, s4, -4
	s_cmp_lg_u32 s4, 0
	s_waitcnt lgkmcnt(1)
	v_fma_f64 v[13:14], -v[20:21], v[28:29], v[13:14]
	v_add_u32_e32 v19, 0x180, v19
	v_fma_f64 v[36:37], -v[22:23], v[30:31], v[13:14]
	s_waitcnt lgkmcnt(0)
	v_fma_f64 v[13:14], -v[20:21], v[32:33], v[15:16]
	ds_read_b128 v[28:31], v48 offset:192
	v_fma_f64 v[32:33], -v[22:23], v[34:35], v[13:14]
	ds_read_b128 v[13:16], v48 offset:288
	s_waitcnt lgkmcnt(1)
	v_fma_f64 v[9:10], -v[20:21], v[28:29], v[9:10]
	v_fma_f64 v[34:35], -v[22:23], v[30:31], v[9:10]
	s_waitcnt lgkmcnt(0)
	v_fma_f64 v[9:10], -v[20:21], v[13:14], v[11:12]
	ds_read_b128 v[28:31], v48 offset:384
	v_fma_f64 v[38:39], -v[22:23], v[15:16], v[9:10]
	ds_read_b128 v[9:12], v48 offset:480
	s_waitcnt lgkmcnt(1)
	v_fma_f64 v[5:6], -v[20:21], v[28:29], v[5:6]
	ds_read_b128 v[13:16], v48 offset:576
	v_fma_f64 v[40:41], -v[22:23], v[30:31], v[5:6]
	s_waitcnt lgkmcnt(1)
	v_fma_f64 v[5:6], -v[20:21], v[9:10], v[7:8]
	v_fma_f64 v[42:43], -v[22:23], v[11:12], v[5:6]
	ds_read_b128 v[9:12], v48 offset:16
	s_waitcnt lgkmcnt(1)
	v_fma_f64 v[1:2], -v[20:21], v[13:14], v[1:2]
	ds_read_b128 v[5:8], v48 offset:672
	s_waitcnt lgkmcnt(1)
	v_fma_f64 v[9:10], -v[24:25], v[9:10], v[36:37]
	v_fma_f64 v[44:45], -v[22:23], v[15:16], v[1:2]
	s_waitcnt lgkmcnt(0)
	v_fma_f64 v[1:2], -v[20:21], v[5:6], v[3:4]
	v_fma_f64 v[13:14], -v[26:27], v[11:12], v[9:10]
	;; [unrolled: 1-line block ×3, first 2 shown]
	ds_read_b128 v[1:4], v48 offset:112
	ds_read_b128 v[5:8], v48 offset:208
	;; [unrolled: 1-line block ×3, first 2 shown]
	s_waitcnt lgkmcnt(2)
	v_fma_f64 v[1:2], -v[24:25], v[1:2], v[32:33]
	s_waitcnt lgkmcnt(1)
	v_fma_f64 v[5:6], -v[24:25], v[5:6], v[34:35]
	v_fma_f64 v[15:16], -v[26:27], v[3:4], v[1:2]
	ds_read_b128 v[1:4], v48 offset:400
	s_waitcnt lgkmcnt(1)
	v_fma_f64 v[11:12], -v[24:25], v[20:21], v[38:39]
	v_fma_f64 v[9:10], -v[26:27], v[7:8], v[5:6]
	ds_read_b128 v[5:8], v48 offset:496
	s_waitcnt lgkmcnt(1)
	v_fma_f64 v[1:2], -v[24:25], v[1:2], v[40:41]
	s_waitcnt lgkmcnt(0)
	v_fma_f64 v[32:33], -v[24:25], v[5:6], v[42:43]
	v_fma_f64 v[11:12], -v[26:27], v[22:23], v[11:12]
	ds_read_b128 v[20:23], v48 offset:592
	ds_read_b128 v[28:31], v48 offset:688
	v_fma_f64 v[5:6], -v[26:27], v[3:4], v[1:2]
	s_waitcnt lgkmcnt(1)
	v_fma_f64 v[20:21], -v[24:25], v[20:21], v[44:45]
	s_waitcnt lgkmcnt(0)
	v_fma_f64 v[24:25], -v[24:25], v[28:29], v[46:47]
	v_fma_f64 v[7:8], -v[26:27], v[7:8], v[32:33]
	;; [unrolled: 1-line block ×4, first 2 shown]
	s_cbranch_scc1 .LBB77_16
.LBB77_17:
	s_lshl_b32 s5, s8, 3
	s_add_i32 s4, s5, s11
	v_mov_b32_e32 v41, s4
	ds_read2_b64 v[19:22], v41 offset1:26
	s_add_i32 s4, s11, 0x60
	s_add_i32 s12, s5, s4
	;; [unrolled: 1-line block ×4, first 2 shown]
	s_waitcnt lgkmcnt(0)
	v_mul_f64 v[35:36], v[13:14], v[19:20]
	v_mov_b32_e32 v13, s12
	ds_read_b128 v[23:26], v13
	s_add_i32 s12, s11, 0xc0
	s_add_i32 s13, s5, s12
	v_mov_b32_e32 v13, s13
	ds_read_b128 v[27:30], v13
	s_add_i32 s13, s11, 0x120
	s_waitcnt lgkmcnt(1)
	v_fma_f64 v[13:14], -v[35:36], v[23:24], v[15:16]
	s_add_i32 s15, s5, s13
	v_mov_b32_e32 v19, s15
	s_waitcnt lgkmcnt(0)
	v_fma_f64 v[9:10], -v[35:36], v[27:28], v[9:10]
	v_mov_b32_e32 v27, s16
	s_add_i32 s15, s11, 0x1e0
	s_add_i32 s17, s5, s15
	v_mov_b32_e32 v42, s17
	v_mul_f64 v[37:38], v[13:14], v[25:26]
	ds_read_b128 v[13:16], v19
	ds_read_b128 v[23:26], v19 offset:16
	s_add_i32 s16, s11, 0x240
	s_add_i32 s17, s5, s16
	v_mov_b32_e32 v43, s17
	s_waitcnt lgkmcnt(1)
	v_fma_f64 v[13:14], -v[35:36], v[13:14], v[11:12]
	s_addk_i32 s11, 0x2a0
	v_fma_f64 v[19:20], -v[37:38], v[29:30], v[9:10]
	ds_read_b128 v[9:12], v27
	ds_read_b128 v[27:30], v27 offset:16
	s_add_i32 s5, s5, s11
	v_mov_b32_e32 v44, s5
	s_add_i32 s8, s8, 8
	s_waitcnt lgkmcnt(1)
	v_fma_f64 v[5:6], -v[35:36], v[9:10], v[5:6]
	v_fma_f64 v[9:10], -v[37:38], v[15:16], v[13:14]
	v_mul_f64 v[39:40], v[19:20], v[21:22]
	ds_read_b128 v[13:16], v42
	ds_read_b128 v[19:22], v42 offset:16
	ds_read_b128 v[31:34], v43
	s_waitcnt lgkmcnt(2)
	v_fma_f64 v[7:8], -v[35:36], v[13:14], v[7:8]
	v_fma_f64 v[5:6], -v[37:38], v[11:12], v[5:6]
	;; [unrolled: 1-line block ×3, first 2 shown]
	s_waitcnt lgkmcnt(0)
	v_fma_f64 v[1:2], -v[35:36], v[31:32], v[1:2]
	v_fma_f64 v[13:14], -v[37:38], v[15:16], v[7:8]
	;; [unrolled: 1-line block ×3, first 2 shown]
	v_mul_f64 v[27:28], v[9:10], v[25:26]
	ds_read_b128 v[5:8], v44
	ds_read_b128 v[9:12], v44 offset:16
	v_fma_f64 v[31:32], -v[37:38], v[33:34], v[1:2]
	s_waitcnt lgkmcnt(1)
	v_fma_f64 v[5:6], -v[35:36], v[5:6], v[3:4]
	v_fma_f64 v[19:20], -v[39:40], v[19:20], v[13:14]
	;; [unrolled: 1-line block ×3, first 2 shown]
	ds_read_b128 v[1:4], v43 offset:16
	ds_read2_b64 v[13:16], v41 offset0:52 offset1:78
	ds_read_b128 v[23:26], v43 offset:32
	s_waitcnt lgkmcnt(2)
	v_fma_f64 v[1:2], -v[39:40], v[1:2], v[31:32]
	v_fma_f64 v[33:34], -v[37:38], v[7:8], v[5:6]
	;; [unrolled: 1-line block ×3, first 2 shown]
	ds_read_b128 v[5:8], v42 offset:32
	s_waitcnt lgkmcnt(2)
	v_mul_f64 v[13:14], v[29:30], v[13:14]
	v_fma_f64 v[1:2], -v[27:28], v[3:4], v[1:2]
	v_fma_f64 v[9:10], -v[39:40], v[9:10], v[33:34]
	s_waitcnt lgkmcnt(0)
	v_fma_f64 v[3:4], -v[13:14], v[5:6], v[19:20]
	v_fma_f64 v[9:10], -v[27:28], v[11:12], v[9:10]
	;; [unrolled: 1-line block ×3, first 2 shown]
	v_mul_f64 v[19:20], v[3:4], v[7:8]
	ds_read_b128 v[1:4], v44 offset:32
	ds_read_b128 v[5:8], v44 offset:48
	s_waitcnt lgkmcnt(1)
	v_fma_f64 v[1:2], -v[13:14], v[1:2], v[9:10]
	v_fma_f64 v[9:10], -v[19:20], v[25:26], v[11:12]
	v_add_u32_e32 v11, s15, v17
	v_add_u32_e32 v12, s16, v17
	v_fma_f64 v[1:2], -v[19:20], v[3:4], v[1:2]
	v_mul_f64 v[3:4], v[9:10], v[15:16]
	v_add_u32_e32 v9, s13, v17
	v_add_u32_e32 v10, s14, v17
	;; [unrolled: 1-line block ×3, first 2 shown]
	s_waitcnt lgkmcnt(0)
	v_fma_f64 v[1:2], -v[3:4], v[5:6], v[1:2]
	v_add_u32_e32 v5, s4, v17
	v_add_u32_e32 v6, s12, v17
	v_mul_f64 v[1:2], v[1:2], v[7:8]
	ds_write_b64 v18, v[35:36]
	ds_write_b64 v5, v[37:38]
	;; [unrolled: 1-line block ×8, first 2 shown]
.LBB77_18:
	s_cmp_ge_i32 s8, s22
	s_cbranch_scc1 .LBB77_23
; %bb.19:
	v_mov_b32_e32 v1, 0x480
	s_mul_i32 s4, s8, 0x60
	v_lshl_or_b32 v3, v0, 3, v1
	s_branch .LBB77_21
.LBB77_20:                              ;   in Loop: Header=BB77_21 Depth=1
	s_mul_i32 s5, s8, 0x68
	v_mov_b32_e32 v5, s5
	ds_read_b64 v[5:6], v5
	s_add_i32 s8, s8, 1
	s_addk_i32 s4, 0x60
	s_cmp_ge_i32 s8, s22
	s_waitcnt lgkmcnt(0)
	v_mul_f64 v[1:2], v[1:2], v[5:6]
	ds_write_b64 v4, v[1:2]
	s_cbranch_scc1 .LBB77_23
.LBB77_21:                              ; =>This Loop Header: Depth=1
                                        ;     Child Loop BB77_22 Depth 2
	s_mul_i32 s5, s8, 0x60
	v_add_u32_e32 v4, s5, v17
	ds_read_b64 v[1:2], v4
	s_cmp_eq_u32 s8, 0
	v_mov_b32_e32 v5, v3
	s_mov_b32 s5, s8
	s_mov_b32 s11, s4
	s_cbranch_scc1 .LBB77_20
.LBB77_22:                              ;   Parent Loop BB77_21 Depth=1
                                        ; =>  This Inner Loop Header: Depth=2
	v_mov_b32_e32 v8, s11
	ds_read_b64 v[6:7], v5
	ds_read_b64 v[8:9], v8
	s_add_i32 s11, s11, 8
	s_add_i32 s5, s5, -1
	s_cmp_lg_u32 s5, 0
	v_add_u32_e32 v5, 0x60, v5
	s_waitcnt lgkmcnt(0)
	v_fma_f64 v[1:2], -v[6:7], v[8:9], v[1:2]
	s_cbranch_scc1 .LBB77_22
	s_branch .LBB77_20
.LBB77_23:
	s_mov_b64 s[4:5], 0
.LBB77_24:
	s_and_b64 vcc, exec, s[4:5]
	s_cbranch_vccz .LBB77_46
; %bb.25:
	s_add_i32 s4, s22, -1
	s_cmp_gt_i32 s10, 11
	s_mov_b32 s5, -1
	s_cbranch_scc0 .LBB77_27
; %bb.26:
	ds_read2_b64 v[1:4], v17 offset0:120 offset1:132
	v_mov_b32_e32 v50, 0
	ds_read_b128 v[5:8], v50 offset:1136
	ds_read_b128 v[9:12], v50 offset:1120
	ds_read2_b64 v[13:16], v17 offset0:96 offset1:108
	ds_read2_b64 v[18:21], v17 offset0:72 offset1:84
	;; [unrolled: 1-line block ×4, first 2 shown]
	ds_read2_b64 v[30:33], v17 offset1:12
	ds_read_b128 v[34:37], v50 offset:1104
	ds_read_b128 v[38:41], v50 offset:1088
	s_waitcnt lgkmcnt(8)
	v_mul_f64 v[42:43], v[3:4], v[7:8]
	v_fma_f64 v[44:45], -v[42:43], v[5:6], v[1:2]
	ds_read2_b64 v[1:4], v50 offset0:104 offset1:130
	s_waitcnt lgkmcnt(7)
	v_fma_f64 v[46:47], -v[42:43], v[11:12], v[15:16]
	s_waitcnt lgkmcnt(2)
	v_fma_f64 v[18:19], -v[42:43], v[34:35], v[18:19]
	v_fma_f64 v[48:49], -v[42:43], v[9:10], v[13:14]
	ds_read_b128 v[5:8], v50 offset:1072
	ds_read_b128 v[9:12], v50 offset:1056
	;; [unrolled: 1-line block ×3, first 2 shown]
	v_fma_f64 v[20:21], -v[42:43], v[36:37], v[20:21]
	s_waitcnt lgkmcnt(3)
	v_mul_f64 v[34:35], v[44:45], v[3:4]
	s_waitcnt lgkmcnt(2)
	v_fma_f64 v[28:29], -v[42:43], v[7:8], v[28:29]
	v_fma_f64 v[26:27], -v[42:43], v[5:6], v[26:27]
	ds_read_b128 v[3:6], v50 offset:1008
	s_waitcnt lgkmcnt(2)
	v_fma_f64 v[30:31], -v[42:43], v[9:10], v[30:31]
	ds_read_b128 v[7:10], v50 offset:928
	v_fma_f64 v[22:23], -v[42:43], v[38:39], v[22:23]
	v_fma_f64 v[32:33], -v[42:43], v[11:12], v[32:33]
	s_waitcnt lgkmcnt(2)
	v_fma_f64 v[15:16], -v[34:35], v[15:16], v[46:47]
	v_fma_f64 v[36:37], -v[34:35], v[13:14], v[48:49]
	ds_read_b128 v[11:14], v50 offset:992
	s_waitcnt lgkmcnt(2)
	v_fma_f64 v[20:21], -v[34:35], v[5:6], v[20:21]
	v_fma_f64 v[18:19], -v[34:35], v[3:4], v[18:19]
	ds_read_b128 v[3:6], v50 offset:976
	v_fma_f64 v[24:25], -v[42:43], v[40:41], v[24:25]
	s_waitcnt lgkmcnt(1)
	v_fma_f64 v[22:23], -v[34:35], v[11:12], v[22:23]
	v_mul_f64 v[38:39], v[15:16], v[9:10]
	ds_read_b128 v[9:12], v50 offset:960
	s_waitcnt lgkmcnt(1)
	v_fma_f64 v[28:29], -v[34:35], v[5:6], v[28:29]
	v_fma_f64 v[26:27], -v[34:35], v[3:4], v[26:27]
	ds_read_b128 v[3:6], v50 offset:912
	v_fma_f64 v[24:25], -v[34:35], v[13:14], v[24:25]
	ds_read_b128 v[13:16], v50 offset:896
	v_fma_f64 v[36:37], -v[38:39], v[7:8], v[36:37]
	s_waitcnt lgkmcnt(1)
	v_fma_f64 v[40:41], -v[38:39], v[5:6], v[20:21]
	v_fma_f64 v[44:45], -v[38:39], v[3:4], v[18:19]
	;; [unrolled: 1-line block ×4, first 2 shown]
	ds_read_b128 v[3:6], v50 offset:880
	ds_read_b128 v[7:10], v50 offset:864
	s_waitcnt lgkmcnt(2)
	v_fma_f64 v[22:23], -v[38:39], v[13:14], v[22:23]
	ds_read_b128 v[11:14], v50 offset:816
	ds_read_b128 v[18:21], v50 offset:800
	v_mul_f64 v[36:37], v[36:37], v[1:2]
	v_fma_f64 v[15:16], -v[38:39], v[15:16], v[24:25]
	s_waitcnt lgkmcnt(3)
	v_fma_f64 v[5:6], -v[38:39], v[5:6], v[28:29]
	v_fma_f64 v[24:25], -v[38:39], v[3:4], v[26:27]
	ds_read_b128 v[1:4], v50 offset:784
	s_waitcnt lgkmcnt(3)
	v_fma_f64 v[30:31], -v[38:39], v[7:8], v[30:31]
	v_fma_f64 v[9:10], -v[38:39], v[9:10], v[32:33]
	s_waitcnt lgkmcnt(2)
	v_fma_f64 v[26:27], -v[36:37], v[13:14], v[40:41]
	v_fma_f64 v[28:29], -v[36:37], v[11:12], v[44:45]
	ds_read_b128 v[11:14], v50 offset:720
	s_waitcnt lgkmcnt(2)
	v_fma_f64 v[15:16], -v[36:37], v[20:21], v[15:16]
	v_fma_f64 v[22:23], -v[36:37], v[18:19], v[22:23]
	ds_read_b128 v[18:21], v50 offset:768
	;; [unrolled: 4-line block ×3, first 2 shown]
	s_waitcnt lgkmcnt(2)
	v_mul_f64 v[26:27], v[26:27], v[13:14]
	ds_read_b128 v[5:8], v50 offset:688
	s_waitcnt lgkmcnt(2)
	v_fma_f64 v[9:10], -v[36:37], v[20:21], v[9:10]
	v_fma_f64 v[18:19], -v[36:37], v[18:19], v[30:31]
	;; [unrolled: 1-line block ×3, first 2 shown]
	ds_read2_b64 v[11:14], v50 offset0:52 offset1:78
	s_waitcnt lgkmcnt(2)
	v_fma_f64 v[32:33], -v[26:27], v[3:4], v[15:16]
	v_fma_f64 v[22:23], -v[26:27], v[1:2], v[22:23]
	ds_read_b128 v[1:4], v50 offset:672
	s_waitcnt lgkmcnt(2)
	v_fma_f64 v[40:41], -v[26:27], v[7:8], v[40:41]
	v_fma_f64 v[24:25], -v[26:27], v[5:6], v[24:25]
	s_waitcnt lgkmcnt(1)
	v_mul_f64 v[28:29], v[28:29], v[13:14]
	ds_read_b128 v[5:8], v50 offset:608
	ds_read_b128 v[13:16], v50 offset:592
	s_waitcnt lgkmcnt(2)
	v_fma_f64 v[30:31], -v[26:27], v[3:4], v[9:10]
	v_fma_f64 v[18:19], -v[26:27], v[1:2], v[18:19]
	ds_read_b128 v[1:4], v50 offset:400
	s_waitcnt lgkmcnt(2)
	v_fma_f64 v[32:33], -v[28:29], v[7:8], v[32:33]
	v_fma_f64 v[22:23], -v[28:29], v[5:6], v[22:23]
	;; [unrolled: 4-line block ×3, first 2 shown]
	ds_read_b128 v[13:16], v50 offset:576
	s_waitcnt lgkmcnt(1)
	v_mul_f64 v[32:33], v[32:33], v[7:8]
	s_waitcnt lgkmcnt(0)
	v_fma_f64 v[30:31], -v[28:29], v[15:16], v[30:31]
	v_fma_f64 v[18:19], -v[28:29], v[13:14], v[18:19]
	ds_read_b128 v[13:16], v50 offset:304
	v_fma_f64 v[22:23], -v[32:33], v[5:6], v[22:23]
	ds_read_b128 v[5:8], v50 offset:496
	v_mul_f64 v[22:23], v[22:23], v[11:12]
	ds_read_b128 v[9:12], v50 offset:480
	s_waitcnt lgkmcnt(1)
	v_fma_f64 v[20:21], -v[32:33], v[7:8], v[20:21]
	v_fma_f64 v[24:25], -v[32:33], v[5:6], v[24:25]
	ds_read_b128 v[5:8], v50 offset:384
	s_waitcnt lgkmcnt(1)
	v_fma_f64 v[11:12], -v[32:33], v[11:12], v[30:31]
	v_fma_f64 v[18:19], -v[32:33], v[9:10], v[18:19]
	;; [unrolled: 1-line block ×4, first 2 shown]
	ds_read_b128 v[1:4], v50 offset:288
	s_waitcnt lgkmcnt(1)
	v_fma_f64 v[11:12], -v[22:23], v[7:8], v[11:12]
	ds_read2_b64 v[7:10], v50 offset1:26
	v_fma_f64 v[18:19], -v[22:23], v[5:6], v[18:19]
	v_mul_f64 v[15:16], v[20:21], v[15:16]
	v_fma_f64 v[13:14], -v[15:16], v[13:14], v[24:25]
	s_waitcnt lgkmcnt(1)
	v_fma_f64 v[20:21], -v[15:16], v[3:4], v[11:12]
	ds_read_b128 v[3:6], v50 offset:192
	v_fma_f64 v[1:2], -v[15:16], v[1:2], v[18:19]
	s_waitcnt lgkmcnt(1)
	v_mul_f64 v[13:14], v[13:14], v[9:10]
	ds_read_b128 v[9:12], v50 offset:96
	s_waitcnt lgkmcnt(1)
	v_fma_f64 v[5:6], -v[13:14], v[5:6], v[20:21]
	v_fma_f64 v[1:2], -v[13:14], v[3:4], v[1:2]
	s_waitcnt lgkmcnt(0)
	v_mul_f64 v[3:4], v[5:6], v[11:12]
	v_fma_f64 v[1:2], -v[3:4], v[9:10], v[1:2]
	v_mul_f64 v[1:2], v[1:2], v[7:8]
	ds_write2_b64 v17, v[34:35], v[42:43] offset0:120 offset1:132
	ds_write2_b64 v17, v[36:37], v[38:39] offset0:96 offset1:108
	;; [unrolled: 1-line block ×5, first 2 shown]
	ds_write2_b64 v17, v[1:2], v[3:4] offset1:12
	s_cmp_gt_i32 s5, -1
	s_cbranch_scc1 .LBB77_28
	s_branch .LBB77_46
.LBB77_27:
	s_mov_b32 s5, s4
	s_cmp_gt_i32 s5, -1
	s_cbranch_scc0 .LBB77_46
.LBB77_28:
	s_cmp_lt_u32 s5, 7
	s_cbranch_scc1 .LBB77_33
; %bb.29:
	s_mul_i32 s8, s5, 0x60
	v_add_u32_e32 v18, s8, v17
	v_add_u32_e32 v1, 0xffffffa0, v18
	;; [unrolled: 1-line block ×4, first 2 shown]
	ds_read_b64 v[15:16], v18
	ds_read_b64 v[13:14], v1
	;; [unrolled: 1-line block ×4, first 2 shown]
	v_add_u32_e32 v1, 0xfffffe80, v18
	v_add_u32_e32 v2, 0xfffffe20, v18
	;; [unrolled: 1-line block ×4, first 2 shown]
	ds_read_b64 v[7:8], v1
	ds_read_b64 v[5:6], v2
	;; [unrolled: 1-line block ×4, first 2 shown]
	s_cmp_le_i32 s4, s5
	s_cbranch_scc1 .LBB77_32
; %bb.30:
	s_mul_i32 s10, s22, 0x60
	s_lshl_b32 s11, s5, 3
	v_lshl_add_u32 v19, v0, 3, s10
	s_add_i32 s10, s10, s11
	v_add_u32_e32 v19, 0x420, v19
	s_addk_i32 s10, 0xff68
	s_mov_b32 s11, s4
.LBB77_31:                              ; =>This Inner Loop Header: Depth=1
	v_mov_b32_e32 v32, s10
	ds_read_b64 v[36:37], v19
	ds_read2_b64 v[20:23], v32 offset0:6 offset1:7
	ds_read2_b64 v[24:27], v32 offset0:4 offset1:5
	;; [unrolled: 1-line block ×3, first 2 shown]
	ds_read2_b64 v[32:35], v32 offset1:1
	s_add_i32 s11, s11, -1
	s_addk_i32 s10, 0xffa0
	s_cmp_gt_i32 s11, s5
	s_waitcnt lgkmcnt(3)
	v_fma_f64 v[15:16], -v[36:37], v[22:23], v[15:16]
	v_fma_f64 v[13:14], -v[36:37], v[20:21], v[13:14]
	s_waitcnt lgkmcnt(2)
	v_fma_f64 v[11:12], -v[36:37], v[26:27], v[11:12]
	v_fma_f64 v[9:10], -v[36:37], v[24:25], v[9:10]
	;; [unrolled: 3-line block ×4, first 2 shown]
	v_add_u32_e32 v19, 0xffffffa0, v19
	s_cbranch_scc1 .LBB77_31
.LBB77_32:
	s_lshl_b32 s13, s5, 3
	s_add_i32 s10, s13, -8
	s_add_i32 s11, s10, s8
	v_mov_b32_e32 v19, s11
	ds_read2_b64 v[19:22], v19 offset1:1
	s_addk_i32 s11, 0xffa0
	v_mov_b32_e32 v23, s11
	ds_read_b64 v[23:24], v23
	s_sub_i32 s15, s13, 24
	s_waitcnt lgkmcnt(1)
	v_mul_f64 v[25:26], v[15:16], v[21:22]
	s_add_i32 s17, s15, s8
	s_add_i32 s10, s8, 0xffffffa0
	;; [unrolled: 1-line block ×4, first 2 shown]
	s_sub_i32 s16, s13, 40
	s_add_i32 s15, s15, s11
	s_add_i32 s19, s16, s10
	v_fma_f64 v[27:28], -v[25:26], v[19:20], v[13:14]
	v_mov_b32_e32 v13, s17
	ds_read2_b64 v[13:16], v13 offset1:1
	v_mov_b32_e32 v19, s18
	ds_read2_b64 v[19:22], v19 offset1:1
	s_add_i32 s18, s16, s8
	s_sub_i32 s13, s13, 56
	s_waitcnt lgkmcnt(1)
	v_fma_f64 v[11:12], -v[25:26], v[15:16], v[11:12]
	v_mul_f64 v[27:28], v[27:28], v[23:24]
	v_fma_f64 v[29:30], -v[25:26], v[13:14], v[9:10]
	v_mov_b32_e32 v15, s15
	v_mov_b32_e32 v16, s18
	s_add_i32 s15, s17, 0xfffffee0
	v_mov_b32_e32 v23, s19
	v_mov_b32_e32 v33, s15
	s_add_i32 s15, s16, s11
	s_waitcnt lgkmcnt(0)
	v_fma_f64 v[31:32], -v[27:28], v[21:22], v[11:12]
	ds_read2_b64 v[9:12], v16 offset1:1
	ds_read2_b64 v[13:16], v15 offset1:1
	;; [unrolled: 1-line block ×3, first 2 shown]
	ds_read_b64 v[33:34], v33
	s_add_i32 s19, s13, s8
	v_mov_b32_e32 v35, s19
	s_waitcnt lgkmcnt(3)
	v_fma_f64 v[7:8], -v[25:26], v[11:12], v[7:8]
	v_fma_f64 v[11:12], -v[27:28], v[19:20], v[29:30]
	s_add_i32 s12, s8, 0xfffffee0
	s_waitcnt lgkmcnt(2)
	v_mul_f64 v[29:30], v[31:32], v[15:16]
	v_fma_f64 v[15:16], -v[25:26], v[9:10], v[5:6]
	v_mov_b32_e32 v5, s15
	s_add_i32 s17, s16, s12
	s_add_i32 s20, s13, s10
	s_waitcnt lgkmcnt(1)
	v_fma_f64 v[19:20], -v[27:28], v[23:24], v[7:8]
	ds_read2_b64 v[5:8], v5 offset1:1
	v_mov_b32_e32 v9, s17
	v_fma_f64 v[13:14], -v[29:30], v[13:14], v[11:12]
	v_fma_f64 v[23:24], -v[27:28], v[21:22], v[15:16]
	ds_read2_b64 v[9:12], v9 offset1:1
	s_add_i32 s14, s8, 0xfffffe80
	s_add_i32 s16, s16, s14
	s_waitcnt lgkmcnt(1)
	v_fma_f64 v[7:8], -v[29:30], v[7:8], v[19:20]
	v_mov_b32_e32 v19, s20
	s_add_i32 s15, s13, s11
	v_mul_f64 v[31:32], v[13:14], v[33:34]
	ds_read2_b64 v[13:16], v35 offset1:1
	ds_read2_b64 v[19:22], v19 offset1:1
	v_fma_f64 v[5:6], -v[29:30], v[5:6], v[23:24]
	v_mov_b32_e32 v33, s16
	s_add_i32 s16, s18, 0xfffffe20
	s_waitcnt lgkmcnt(1)
	v_fma_f64 v[15:16], -v[25:26], v[15:16], v[3:4]
	v_fma_f64 v[13:14], -v[25:26], v[13:14], v[1:2]
	;; [unrolled: 1-line block ×3, first 2 shown]
	v_mov_b32_e32 v7, s16
	ds_read2_b64 v[1:4], v33 offset1:1
	ds_read_b64 v[23:24], v7
	s_add_i32 s5, s5, -8
	s_waitcnt lgkmcnt(2)
	v_fma_f64 v[15:16], -v[27:28], v[21:22], v[15:16]
	v_fma_f64 v[21:22], -v[31:32], v[9:10], v[5:6]
	v_mov_b32_e32 v5, s15
	ds_read2_b64 v[5:8], v5 offset1:1
	s_add_i32 s15, s13, s12
	s_waitcnt lgkmcnt(2)
	v_mul_f64 v[33:34], v[11:12], v[3:4]
	v_mov_b32_e32 v3, s15
	ds_read2_b64 v[9:12], v3 offset1:1
	s_waitcnt lgkmcnt(1)
	v_fma_f64 v[3:4], -v[29:30], v[7:8], v[15:16]
	v_fma_f64 v[7:8], -v[27:28], v[19:20], v[13:14]
	s_add_i32 s15, s13, s14
	v_fma_f64 v[13:14], -v[33:34], v[1:2], v[21:22]
	v_mov_b32_e32 v1, s15
	s_add_i32 s15, s8, 0xfffffe20
	s_waitcnt lgkmcnt(0)
	v_fma_f64 v[11:12], -v[31:32], v[11:12], v[3:4]
	v_fma_f64 v[15:16], -v[29:30], v[5:6], v[7:8]
	ds_read2_b64 v[1:4], v1 offset1:1
	s_add_i32 s16, s13, s15
	v_mov_b32_e32 v5, s16
	ds_read2_b64 v[5:8], v5 offset1:1
	s_addk_i32 s8, 0xfdc0
	s_add_i32 s13, s13, s8
	s_waitcnt lgkmcnt(1)
	v_fma_f64 v[3:4], -v[33:34], v[3:4], v[11:12]
	v_fma_f64 v[9:10], -v[31:32], v[9:10], v[15:16]
	v_mul_f64 v[11:12], v[13:14], v[23:24]
	v_fma_f64 v[9:10], -v[33:34], v[1:2], v[9:10]
	s_waitcnt lgkmcnt(0)
	v_fma_f64 v[7:8], -v[11:12], v[7:8], v[3:4]
	v_mov_b32_e32 v1, s13
	ds_read2_b64 v[1:4], v1 offset1:1
	s_add_i32 s13, s19, 0xfffffd60
	v_mov_b32_e32 v13, s13
	ds_read_b64 v[13:14], v13
	v_fma_f64 v[5:6], -v[11:12], v[5:6], v[9:10]
	s_waitcnt lgkmcnt(1)
	v_mul_f64 v[3:4], v[7:8], v[3:4]
	v_add_u32_e32 v10, s8, v17
	v_add_u32_e32 v7, s12, v17
	;; [unrolled: 1-line block ×5, first 2 shown]
	v_fma_f64 v[1:2], -v[3:4], v[1:2], v[5:6]
	v_add_u32_e32 v5, s10, v17
	v_add_u32_e32 v6, s11, v17
	s_waitcnt lgkmcnt(0)
	v_mul_f64 v[1:2], v[1:2], v[13:14]
	ds_write_b64 v18, v[25:26]
	ds_write_b64 v5, v[27:28]
	;; [unrolled: 1-line block ×8, first 2 shown]
.LBB77_33:
	s_cmp_lt_i32 s5, 0
	s_cbranch_scc1 .LBB77_46
; %bb.34:
	s_bitcmp1_b32 s5, 0
	s_cselect_b64 s[10:11], -1, 0
	s_and_b64 vcc, exec, s[10:11]
	s_mov_b32 s8, s5
	s_cbranch_vccnz .LBB77_39
; %bb.35:
	s_mul_i32 s8, s5, 0x60
	v_add_u32_e32 v3, s8, v17
	ds_read_b64 v[1:2], v3
	s_cmp_le_i32 s4, s5
	s_cbranch_scc1 .LBB77_38
; %bb.36:
	s_mul_i32 s10, s22, 0x60
	s_lshl_b32 s8, s5, 3
	s_add_i32 s8, s10, s8
	v_lshl_add_u32 v4, v0, 3, s10
	s_addk_i32 s8, 0xffa0
	v_add_u32_e32 v4, 0x420, v4
	s_mov_b32 s10, s4
.LBB77_37:                              ; =>This Inner Loop Header: Depth=1
	v_mov_b32_e32 v7, s8
	ds_read_b64 v[5:6], v4
	ds_read_b64 v[7:8], v7
	s_add_i32 s10, s10, -1
	s_addk_i32 s8, 0xffa0
	s_cmp_gt_i32 s10, s5
	v_add_u32_e32 v4, 0xffffffa0, v4
	s_waitcnt lgkmcnt(0)
	v_fma_f64 v[1:2], -v[5:6], v[7:8], v[1:2]
	s_cbranch_scc1 .LBB77_37
.LBB77_38:
	s_mul_i32 s8, s5, 0x68
	v_mov_b32_e32 v4, s8
	ds_read_b64 v[4:5], v4
	s_add_i32 s8, s5, -1
	s_waitcnt lgkmcnt(0)
	v_mul_f64 v[1:2], v[1:2], v[4:5]
	ds_write_b64 v3, v[1:2]
.LBB77_39:
	s_cmp_eq_u32 s5, 0
	s_cbranch_scc1 .LBB77_46
; %bb.40:
	s_mul_i32 s10, s22, 0x60
	s_lshl_b32 s5, s8, 3
	s_add_i32 s11, s10, s5
	v_lshl_add_u32 v1, v0, 3, s10
	s_add_i32 s5, s11, 0xffffffa0
	v_add_u32_e32 v5, 0x420, v1
	s_add_i32 s10, s11, 0xffffff98
	s_branch .LBB77_42
.LBB77_41:                              ;   in Loop: Header=BB77_42 Depth=1
	s_addk_i32 s11, 0xff98
	v_mov_b32_e32 v1, s11
	ds_read_b64 v[1:2], v1
	s_add_i32 s11, s8, -2
	s_add_i32 s5, s5, -16
	;; [unrolled: 1-line block ×3, first 2 shown]
	s_cmp_lt_i32 s8, 2
	s_waitcnt lgkmcnt(0)
	v_mul_f64 v[1:2], v[3:4], v[1:2]
	s_mov_b32 s8, s11
	ds_write_b64 v7, v[1:2]
	s_cbranch_scc1 .LBB77_46
.LBB77_42:                              ; =>This Loop Header: Depth=1
                                        ;     Child Loop BB77_43 Depth 2
                                        ;     Child Loop BB77_45 Depth 2
	s_mul_i32 s12, s8, 0x60
	v_add_u32_e32 v6, s12, v17
	ds_read_b64 v[1:2], v6
	s_cmp_le_i32 s4, s8
	v_mov_b32_e32 v3, v5
	s_mov_b32 s11, s5
	s_mov_b32 s13, s4
	s_cbranch_scc1 .LBB77_44
.LBB77_43:                              ;   Parent Loop BB77_42 Depth=1
                                        ; =>  This Inner Loop Header: Depth=2
	v_mov_b32_e32 v4, s11
	ds_read_b64 v[7:8], v3
	ds_read_b64 v[9:10], v4
	s_add_i32 s13, s13, -1
	s_addk_i32 s11, 0xffa0
	s_cmp_gt_i32 s13, s8
	v_add_u32_e32 v3, 0xffffffa0, v3
	s_waitcnt lgkmcnt(0)
	v_fma_f64 v[1:2], -v[7:8], v[9:10], v[1:2]
	s_cbranch_scc1 .LBB77_43
.LBB77_44:                              ;   in Loop: Header=BB77_42 Depth=1
	s_mul_i32 s11, s8, 0x68
	v_mov_b32_e32 v3, s11
	ds_read_b64 v[8:9], v3
	s_addk_i32 s12, 0xffa0
	v_add_u32_e32 v7, s12, v17
	ds_read_b64 v[3:4], v7
	s_mov_b32 s12, s10
	s_waitcnt lgkmcnt(1)
	v_mul_f64 v[8:9], v[1:2], v[8:9]
	v_mov_b32_e32 v1, v5
	s_cmp_le_i32 s22, s8
	s_mov_b32 s13, s22
	ds_write_b64 v6, v[8:9]
	s_cbranch_scc1 .LBB77_41
.LBB77_45:                              ;   Parent Loop BB77_42 Depth=1
                                        ; =>  This Inner Loop Header: Depth=2
	v_mov_b32_e32 v2, s12
	ds_read_b64 v[8:9], v1
	ds_read_b64 v[10:11], v2
	s_add_i32 s13, s13, -1
	s_addk_i32 s12, 0xffa0
	s_cmp_gt_i32 s13, s8
	v_add_u32_e32 v1, 0xffffffa0, v1
	s_waitcnt lgkmcnt(0)
	v_fma_f64 v[3:4], -v[8:9], v[10:11], v[3:4]
	s_cbranch_scc1 .LBB77_45
	s_branch .LBB77_41
.LBB77_46:
	s_waitcnt lgkmcnt(0)
	; wave barrier
	s_and_saveexec_b64 s[4:5], s[0:1]
	s_cbranch_execz .LBB77_50
; %bb.47:
	s_andn2_b64 vcc, exec, s[2:3]
	s_cbranch_vccnz .LBB77_50
; %bb.48:
	v_mad_i64_i32 v[1:2], s[0:1], s9, v0, 0
	v_mov_b32_e32 v3, s7
	v_lshlrev_b64 v[1:2], 3, v[1:2]
	v_add_co_u32_e32 v1, vcc, s6, v1
	v_addc_co_u32_e32 v2, vcc, v3, v2, vcc
	v_mov_b32_e32 v3, 0x480
	v_lshl_or_b32 v0, v0, 3, v3
.LBB77_49:                              ; =>This Inner Loop Header: Depth=1
	ds_read_b64 v[3:4], v0
	s_add_i32 s22, s22, -1
	v_add_u32_e32 v0, 0x60, v0
	s_cmp_lg_u32 s22, 0
	s_waitcnt lgkmcnt(0)
	global_store_dwordx2 v[1:2], v[3:4], off
	v_add_co_u32_e32 v1, vcc, 8, v1
	v_addc_co_u32_e32 v2, vcc, 0, v2, vcc
	s_cbranch_scc1 .LBB77_49
.LBB77_50:
	s_endpgm
	.section	.rodata,"a",@progbits
	.p2align	6, 0x0
	.amdhsa_kernel _ZL38rocblas_trsm_small_left_device_sharedBILi12ELi12ELb0EddPKdPdEv13rocblas_fill_18rocblas_operation_17rocblas_diagonal_iiT3_T4_lilT5_lili
		.amdhsa_group_segment_fixed_size 2304
		.amdhsa_private_segment_fixed_size 0
		.amdhsa_kernarg_size 360
		.amdhsa_user_sgpr_count 6
		.amdhsa_user_sgpr_private_segment_buffer 1
		.amdhsa_user_sgpr_dispatch_ptr 0
		.amdhsa_user_sgpr_queue_ptr 0
		.amdhsa_user_sgpr_kernarg_segment_ptr 1
		.amdhsa_user_sgpr_dispatch_id 0
		.amdhsa_user_sgpr_flat_scratch_init 0
		.amdhsa_user_sgpr_private_segment_size 0
		.amdhsa_uses_dynamic_stack 0
		.amdhsa_system_sgpr_private_segment_wavefront_offset 0
		.amdhsa_system_sgpr_workgroup_id_x 1
		.amdhsa_system_sgpr_workgroup_id_y 0
		.amdhsa_system_sgpr_workgroup_id_z 1
		.amdhsa_system_sgpr_workgroup_info 0
		.amdhsa_system_vgpr_workitem_id 0
		.amdhsa_next_free_vgpr 51
		.amdhsa_next_free_sgpr 77
		.amdhsa_reserve_vcc 1
		.amdhsa_reserve_flat_scratch 0
		.amdhsa_float_round_mode_32 0
		.amdhsa_float_round_mode_16_64 0
		.amdhsa_float_denorm_mode_32 3
		.amdhsa_float_denorm_mode_16_64 3
		.amdhsa_dx10_clamp 1
		.amdhsa_ieee_mode 1
		.amdhsa_fp16_overflow 0
		.amdhsa_exception_fp_ieee_invalid_op 0
		.amdhsa_exception_fp_denorm_src 0
		.amdhsa_exception_fp_ieee_div_zero 0
		.amdhsa_exception_fp_ieee_overflow 0
		.amdhsa_exception_fp_ieee_underflow 0
		.amdhsa_exception_fp_ieee_inexact 0
		.amdhsa_exception_int_div_zero 0
	.end_amdhsa_kernel
	.section	.text._ZL38rocblas_trsm_small_left_device_sharedBILi12ELi12ELb0EddPKdPdEv13rocblas_fill_18rocblas_operation_17rocblas_diagonal_iiT3_T4_lilT5_lili,"axG",@progbits,_ZL38rocblas_trsm_small_left_device_sharedBILi12ELi12ELb0EddPKdPdEv13rocblas_fill_18rocblas_operation_17rocblas_diagonal_iiT3_T4_lilT5_lili,comdat
.Lfunc_end77:
	.size	_ZL38rocblas_trsm_small_left_device_sharedBILi12ELi12ELb0EddPKdPdEv13rocblas_fill_18rocblas_operation_17rocblas_diagonal_iiT3_T4_lilT5_lili, .Lfunc_end77-_ZL38rocblas_trsm_small_left_device_sharedBILi12ELi12ELb0EddPKdPdEv13rocblas_fill_18rocblas_operation_17rocblas_diagonal_iiT3_T4_lilT5_lili
                                        ; -- End function
	.set _ZL38rocblas_trsm_small_left_device_sharedBILi12ELi12ELb0EddPKdPdEv13rocblas_fill_18rocblas_operation_17rocblas_diagonal_iiT3_T4_lilT5_lili.num_vgpr, 51
	.set _ZL38rocblas_trsm_small_left_device_sharedBILi12ELi12ELb0EddPKdPdEv13rocblas_fill_18rocblas_operation_17rocblas_diagonal_iiT3_T4_lilT5_lili.num_agpr, 0
	.set _ZL38rocblas_trsm_small_left_device_sharedBILi12ELi12ELb0EddPKdPdEv13rocblas_fill_18rocblas_operation_17rocblas_diagonal_iiT3_T4_lilT5_lili.numbered_sgpr, 26
	.set _ZL38rocblas_trsm_small_left_device_sharedBILi12ELi12ELb0EddPKdPdEv13rocblas_fill_18rocblas_operation_17rocblas_diagonal_iiT3_T4_lilT5_lili.num_named_barrier, 0
	.set _ZL38rocblas_trsm_small_left_device_sharedBILi12ELi12ELb0EddPKdPdEv13rocblas_fill_18rocblas_operation_17rocblas_diagonal_iiT3_T4_lilT5_lili.private_seg_size, 0
	.set _ZL38rocblas_trsm_small_left_device_sharedBILi12ELi12ELb0EddPKdPdEv13rocblas_fill_18rocblas_operation_17rocblas_diagonal_iiT3_T4_lilT5_lili.uses_vcc, 1
	.set _ZL38rocblas_trsm_small_left_device_sharedBILi12ELi12ELb0EddPKdPdEv13rocblas_fill_18rocblas_operation_17rocblas_diagonal_iiT3_T4_lilT5_lili.uses_flat_scratch, 0
	.set _ZL38rocblas_trsm_small_left_device_sharedBILi12ELi12ELb0EddPKdPdEv13rocblas_fill_18rocblas_operation_17rocblas_diagonal_iiT3_T4_lilT5_lili.has_dyn_sized_stack, 0
	.set _ZL38rocblas_trsm_small_left_device_sharedBILi12ELi12ELb0EddPKdPdEv13rocblas_fill_18rocblas_operation_17rocblas_diagonal_iiT3_T4_lilT5_lili.has_recursion, 0
	.set _ZL38rocblas_trsm_small_left_device_sharedBILi12ELi12ELb0EddPKdPdEv13rocblas_fill_18rocblas_operation_17rocblas_diagonal_iiT3_T4_lilT5_lili.has_indirect_call, 0
	.section	.AMDGPU.csdata,"",@progbits
; Kernel info:
; codeLenInByte = 6392
; TotalNumSgprs: 30
; NumVgprs: 51
; ScratchSize: 0
; MemoryBound: 0
; FloatMode: 240
; IeeeMode: 1
; LDSByteSize: 2304 bytes/workgroup (compile time only)
; SGPRBlocks: 10
; VGPRBlocks: 12
; NumSGPRsForWavesPerEU: 81
; NumVGPRsForWavesPerEU: 51
; Occupancy: 4
; WaveLimiterHint : 0
; COMPUTE_PGM_RSRC2:SCRATCH_EN: 0
; COMPUTE_PGM_RSRC2:USER_SGPR: 6
; COMPUTE_PGM_RSRC2:TRAP_HANDLER: 0
; COMPUTE_PGM_RSRC2:TGID_X_EN: 1
; COMPUTE_PGM_RSRC2:TGID_Y_EN: 0
; COMPUTE_PGM_RSRC2:TGID_Z_EN: 1
; COMPUTE_PGM_RSRC2:TIDIG_COMP_CNT: 0
	.section	.text._ZL30rocblas_trsm_small_left_deviceILi12ELi12ELb0EddPKdPdEv13rocblas_fill_18rocblas_operation_17rocblas_diagonal_iiT3_T4_lilT5_lili,"axG",@progbits,_ZL30rocblas_trsm_small_left_deviceILi12ELi12ELb0EddPKdPdEv13rocblas_fill_18rocblas_operation_17rocblas_diagonal_iiT3_T4_lilT5_lili,comdat
	.globl	_ZL30rocblas_trsm_small_left_deviceILi12ELi12ELb0EddPKdPdEv13rocblas_fill_18rocblas_operation_17rocblas_diagonal_iiT3_T4_lilT5_lili ; -- Begin function _ZL30rocblas_trsm_small_left_deviceILi12ELi12ELb0EddPKdPdEv13rocblas_fill_18rocblas_operation_17rocblas_diagonal_iiT3_T4_lilT5_lili
	.p2align	8
	.type	_ZL30rocblas_trsm_small_left_deviceILi12ELi12ELb0EddPKdPdEv13rocblas_fill_18rocblas_operation_17rocblas_diagonal_iiT3_T4_lilT5_lili,@function
_ZL30rocblas_trsm_small_left_deviceILi12ELi12ELb0EddPKdPdEv13rocblas_fill_18rocblas_operation_17rocblas_diagonal_iiT3_T4_lilT5_lili: ; @_ZL30rocblas_trsm_small_left_deviceILi12ELi12ELb0EddPKdPdEv13rocblas_fill_18rocblas_operation_17rocblas_diagonal_iiT3_T4_lilT5_lili
; %bb.0:
	s_load_dwordx4 s[8:11], s[4:5], 0x4
	s_load_dwordx4 s[0:3], s[4:5], 0x18
	s_load_dwordx2 s[20:21], s[4:5], 0x28
	s_load_dwordx4 s[12:15], s[4:5], 0x38
	s_load_dwordx2 s[16:17], s[4:5], 0x48
	s_waitcnt lgkmcnt(0)
	s_min_i32 s22, s10, 12
	v_cmp_gt_i32_e32 vcc, s22, v0
	s_and_saveexec_b64 s[18:19], vcc
	s_cbranch_execz .LBB78_6
; %bb.1:
	s_load_dword s24, s[4:5], 0x30
	s_mul_i32 s13, s13, s7
	s_mul_hi_u32 s23, s12, s7
	s_mul_i32 s12, s12, s7
	s_add_i32 s13, s23, s13
	s_waitcnt lgkmcnt(0)
	s_ashr_i32 s25, s24, 31
	s_lshl_b64 s[12:13], s[12:13], 3
	s_add_u32 s12, s2, s12
	s_addc_u32 s13, s3, s13
	s_lshl_b64 s[2:3], s[20:21], 3
	s_add_u32 s2, s12, s2
	s_addc_u32 s3, s13, s3
	v_lshlrev_b32_e32 v3, 3, v0
	v_mov_b32_e32 v2, s3
	v_add_co_u32_e32 v1, vcc, s2, v3
	s_lshl_b64 s[2:3], s[24:25], 3
	v_addc_co_u32_e32 v2, vcc, 0, v2, vcc
	v_mov_b32_e32 v4, s3
	v_mov_b32_e32 v5, v3
	s_mov_b32 s3, s22
.LBB78_2:                               ; =>This Inner Loop Header: Depth=1
	global_load_dwordx2 v[6:7], v[1:2], off
	v_add_co_u32_e32 v1, vcc, s2, v1
	s_add_i32 s3, s3, -1
	v_addc_co_u32_e32 v2, vcc, v2, v4, vcc
	s_cmp_eq_u32 s3, 0
	s_waitcnt vmcnt(0)
	ds_write_b64 v5, v[6:7]
	v_add_u32_e32 v5, 0x60, v5
	s_cbranch_scc0 .LBB78_2
; %bb.3:
	v_mul_u32_u24_e32 v4, 0x60, v0
	v_mov_b32_e32 v1, 0
	s_cmpk_lg_i32 s9, 0x84
	v_mov_b32_e32 v2, 0x3ff00000
	v_add_u32_e32 v3, v3, v4
	s_cbranch_scc0 .LBB78_5
; %bb.4:
	ds_read_b64 v[1:2], v3
	s_waitcnt lgkmcnt(0)
	v_div_scale_f64 v[4:5], s[2:3], v[1:2], v[1:2], 1.0
	v_div_scale_f64 v[10:11], vcc, 1.0, v[1:2], 1.0
	v_rcp_f64_e32 v[6:7], v[4:5]
	v_fma_f64 v[8:9], -v[4:5], v[6:7], 1.0
	v_fma_f64 v[6:7], v[6:7], v[8:9], v[6:7]
	v_fma_f64 v[8:9], -v[4:5], v[6:7], 1.0
	v_fma_f64 v[6:7], v[6:7], v[8:9], v[6:7]
	v_mul_f64 v[8:9], v[10:11], v[6:7]
	v_fma_f64 v[4:5], -v[4:5], v[8:9], v[10:11]
	v_div_fmas_f64 v[4:5], v[4:5], v[6:7], v[8:9]
	v_div_fixup_f64 v[1:2], v[4:5], v[1:2], 1.0
.LBB78_5:
	ds_write_b64 v3, v[1:2]
.LBB78_6:
	s_or_b64 exec, exec, s[18:19]
	s_load_dword s2, s[4:5], 0x68
	s_mul_i32 s3, s6, -12
	s_add_i32 s3, s11, s3
	s_waitcnt lgkmcnt(0)
	; wave barrier
	s_add_i32 s2, s2, -1
	s_cmp_ge_u32 s6, s2
	s_cselect_b32 s2, s3, 12
	v_cmp_gt_i32_e32 vcc, s2, v0
	s_and_saveexec_b64 s[2:3], vcc
	s_cbranch_execz .LBB78_47
; %bb.7:
	s_load_dwordx2 s[2:3], s[4:5], 0x58
	s_load_dword s9, s[4:5], 0x50
	s_waitcnt lgkmcnt(0)
	s_mul_i32 s3, s3, s7
	s_mul_hi_u32 s4, s2, s7
	s_add_i32 s3, s4, s3
	v_mad_u64_u32 v[0:1], s[4:5], s6, 12, v[0:1]
	s_mul_i32 s2, s2, s7
	s_lshl_b64 s[2:3], s[2:3], 3
	v_mad_i64_i32 v[0:1], s[4:5], s9, v0, 0
	s_add_u32 s6, s14, s2
	s_addc_u32 s7, s15, s3
	s_lshl_b64 s[4:5], s[16:17], 3
	s_add_u32 s6, s6, s4
	v_lshlrev_b64 v[14:15], 3, v[0:1]
	s_addc_u32 s7, s7, s5
	v_mov_b32_e32 v0, s7
	v_add_co_u32_e32 v12, vcc, s6, v14
	v_addc_co_u32_e32 v13, vcc, v0, v15, vcc
	s_cmpk_eq_i32 s8, 0x6f
	s_mov_b64 s[6:7], -1
	s_cbranch_scc1 .LBB78_25
; %bb.8:
	s_cmp_lt_i32 s10, 12
	s_cselect_b64 s[6:7], -1, 0
	s_cmp_gt_i32 s10, 11
	s_cbranch_scc0 .LBB78_10
; %bb.9:
	global_load_dwordx4 v[0:3], v[12:13], off
	global_load_dwordx4 v[4:7], v[12:13], off offset:16
	global_load_dwordx4 v[8:11], v[12:13], off offset:32
	v_mov_b32_e32 v16, 0
	ds_read2_b64 v[17:20], v16 offset1:26
	ds_read_b128 v[21:24], v16 offset:96
	ds_read_b128 v[25:28], v16 offset:192
	global_load_dwordx4 v[29:32], v[12:13], off offset:48
	global_load_dwordx4 v[37:40], v[12:13], off offset:64
	ds_read_b128 v[33:36], v16 offset:288
	ds_read_b128 v[41:44], v16 offset:304
	s_mov_b32 s8, 12
	s_waitcnt vmcnt(4)
	v_mul_f64 v[0:1], s[0:1], v[0:1]
	s_waitcnt lgkmcnt(4)
	v_mul_f64 v[0:1], v[0:1], v[17:18]
	s_waitcnt lgkmcnt(3)
	;; [unrolled: 2-line block ×3, first 2 shown]
	v_mul_f64 v[21:22], v[0:1], v[25:26]
	v_fma_f64 v[2:3], s[0:1], v[2:3], -v[17:18]
	s_waitcnt lgkmcnt(1)
	v_mul_f64 v[17:18], v[0:1], v[33:34]
	s_waitcnt vmcnt(3)
	v_fma_f64 v[4:5], s[0:1], v[4:5], -v[21:22]
	v_mul_f64 v[2:3], v[2:3], v[23:24]
	ds_read_b128 v[21:24], v16 offset:384
	ds_read_b128 v[45:48], v16 offset:400
	v_fma_f64 v[17:18], s[0:1], v[6:7], -v[17:18]
	s_waitcnt lgkmcnt(1)
	v_mul_f64 v[21:22], v[0:1], v[21:22]
	v_fma_f64 v[33:34], -v[2:3], v[27:28], v[4:5]
	ds_read_b128 v[4:7], v16 offset:480
	ds_read_b128 v[25:28], v16 offset:496
	v_fma_f64 v[17:18], -v[2:3], v[35:36], v[17:18]
	s_waitcnt lgkmcnt(1)
	v_mul_f64 v[49:50], v[0:1], v[4:5]
	s_waitcnt vmcnt(2)
	v_fma_f64 v[8:9], s[0:1], v[8:9], -v[21:22]
	v_mul_f64 v[4:5], v[33:34], v[19:20]
	v_fma_f64 v[10:11], s[0:1], v[10:11], -v[49:50]
	v_fma_f64 v[8:9], -v[2:3], v[23:24], v[8:9]
	v_fma_f64 v[17:18], -v[4:5], v[41:42], v[17:18]
	;; [unrolled: 1-line block ×4, first 2 shown]
	v_mul_f64 v[6:7], v[17:18], v[43:44]
	ds_read2_b64 v[17:20], v16 offset0:52 offset1:78
	s_waitcnt lgkmcnt(1)
	v_fma_f64 v[10:11], -v[4:5], v[25:26], v[10:11]
	v_fma_f64 v[8:9], -v[6:7], v[47:48], v[8:9]
	;; [unrolled: 1-line block ×3, first 2 shown]
	ds_read_b128 v[21:24], v16 offset:512
	ds_read_b128 v[25:28], v16 offset:576
	;; [unrolled: 1-line block ×4, first 2 shown]
	s_waitcnt lgkmcnt(4)
	v_mul_f64 v[8:9], v[8:9], v[17:18]
	ds_read_b128 v[45:48], v16 offset:768
	ds_read_b128 v[49:52], v16 offset:784
	s_waitcnt lgkmcnt(4)
	v_mul_f64 v[17:18], v[0:1], v[25:26]
	s_waitcnt lgkmcnt(3)
	v_mul_f64 v[25:26], v[0:1], v[33:34]
	v_fma_f64 v[10:11], -v[8:9], v[21:22], v[10:11]
	s_waitcnt vmcnt(1)
	v_fma_f64 v[17:18], s[0:1], v[29:30], -v[17:18]
	s_waitcnt lgkmcnt(1)
	v_mul_f64 v[29:30], v[0:1], v[45:46]
	v_fma_f64 v[25:26], s[0:1], v[31:32], -v[25:26]
	v_mul_f64 v[10:11], v[10:11], v[23:24]
	ds_read_b128 v[21:24], v16 offset:864
	ds_read_b128 v[53:56], v16 offset:880
	v_fma_f64 v[17:18], -v[2:3], v[27:28], v[17:18]
	s_waitcnt vmcnt(0)
	v_fma_f64 v[33:34], s[0:1], v[37:38], -v[29:30]
	ds_read_b128 v[29:32], v16 offset:960
	s_waitcnt lgkmcnt(2)
	v_mul_f64 v[21:22], v[0:1], v[21:22]
	v_fma_f64 v[35:36], -v[2:3], v[35:36], v[25:26]
	s_waitcnt lgkmcnt(0)
	v_mul_f64 v[29:30], v[0:1], v[29:30]
	v_fma_f64 v[33:34], -v[2:3], v[47:48], v[33:34]
	v_fma_f64 v[21:22], s[0:1], v[39:40], -v[21:22]
	global_load_dwordx4 v[37:40], v[12:13], off offset:80
	ds_read_b128 v[57:60], v16 offset:1056
	ds_read_b128 v[61:64], v16 offset:1072
	v_fma_f64 v[33:34], -v[4:5], v[49:50], v[33:34]
	v_fma_f64 v[47:48], -v[6:7], v[51:52], v[33:34]
	s_waitcnt vmcnt(0)
	v_fma_f64 v[29:30], s[0:1], v[37:38], -v[29:30]
	s_waitcnt lgkmcnt(1)
	v_mul_f64 v[37:38], v[0:1], v[57:58]
	v_fma_f64 v[37:38], s[0:1], v[39:40], -v[37:38]
	v_fma_f64 v[39:40], -v[2:3], v[23:24], v[21:22]
	ds_read_b128 v[21:24], v16 offset:592
	ds_read_b128 v[25:28], v16 offset:608
	s_waitcnt lgkmcnt(1)
	v_fma_f64 v[17:18], -v[4:5], v[21:22], v[17:18]
	v_fma_f64 v[21:22], -v[4:5], v[41:42], v[35:36]
	;; [unrolled: 1-line block ×7, first 2 shown]
	ds_read_b128 v[21:24], v16 offset:704
	ds_read_b128 v[29:32], v16 offset:720
	;; [unrolled: 1-line block ×4, first 2 shown]
	v_fma_f64 v[45:46], -v[6:7], v[55:56], v[45:46]
	v_fma_f64 v[49:50], -v[4:5], v[61:62], v[49:50]
	s_waitcnt lgkmcnt(4)
	v_fma_f64 v[17:18], -v[8:9], v[25:26], v[17:18]
	s_waitcnt lgkmcnt(3)
	;; [unrolled: 2-line block ×3, first 2 shown]
	v_fma_f64 v[33:34], -v[4:5], v[33:34], v[43:44]
	ds_read_b128 v[41:44], v16 offset:816
	v_fma_f64 v[17:18], -v[10:11], v[27:28], v[17:18]
	ds_read_b128 v[25:28], v16 offset:800
	v_fma_f64 v[51:52], -v[10:11], v[23:24], v[21:22]
	v_fma_f64 v[33:34], -v[6:7], v[35:36], v[33:34]
	v_fma_f64 v[35:36], -v[6:7], v[63:64], v[49:50]
	s_waitcnt lgkmcnt(0)
	v_fma_f64 v[47:48], -v[8:9], v[25:26], v[47:48]
	ds_read_b128 v[23:26], v16 offset:912
	v_mul_f64 v[17:18], v[17:18], v[19:20]
	ds_read_b128 v[19:22], v16 offset:896
	v_fma_f64 v[37:38], -v[8:9], v[37:38], v[33:34]
	s_waitcnt lgkmcnt(0)
	v_fma_f64 v[19:20], -v[8:9], v[19:20], v[45:46]
	v_fma_f64 v[27:28], -v[10:11], v[27:28], v[47:48]
	;; [unrolled: 1-line block ×6, first 2 shown]
	v_mul_f64 v[19:20], v[29:30], v[31:32]
	ds_read_b128 v[27:30], v16 offset:1088
	ds_read_b128 v[31:34], v16 offset:1104
	s_waitcnt lgkmcnt(1)
	v_fma_f64 v[27:28], -v[8:9], v[27:28], v[35:36]
	v_fma_f64 v[47:48], -v[17:18], v[23:24], v[21:22]
	;; [unrolled: 1-line block ×3, first 2 shown]
	ds_read_b128 v[21:24], v16 offset:1008
	ds_read2_b64 v[35:38], v16 offset0:104 offset1:130
	ds_read_b128 v[39:42], v16 offset:1024
	s_waitcnt lgkmcnt(2)
	v_fma_f64 v[45:46], -v[17:18], v[21:22], v[45:46]
	v_fma_f64 v[29:30], -v[10:11], v[29:30], v[27:28]
	;; [unrolled: 1-line block ×3, first 2 shown]
	ds_read_b128 v[25:28], v16 offset:928
	s_waitcnt lgkmcnt(2)
	v_mul_f64 v[21:22], v[43:44], v[35:36]
	v_fma_f64 v[23:24], -v[19:20], v[23:24], v[45:46]
	v_fma_f64 v[29:30], -v[17:18], v[31:32], v[29:30]
	s_waitcnt lgkmcnt(0)
	v_fma_f64 v[25:26], -v[21:22], v[25:26], v[47:48]
	v_fma_f64 v[35:36], -v[21:22], v[39:40], v[23:24]
	;; [unrolled: 1-line block ×3, first 2 shown]
	v_mul_f64 v[23:24], v[25:26], v[27:28]
	ds_read_b128 v[25:28], v16 offset:1120
	ds_read_b128 v[29:32], v16 offset:1136
	s_waitcnt lgkmcnt(1)
	v_fma_f64 v[25:26], -v[21:22], v[25:26], v[33:34]
	v_fma_f64 v[33:34], -v[23:24], v[41:42], v[35:36]
	;; [unrolled: 1-line block ×3, first 2 shown]
	v_mul_f64 v[25:26], v[33:34], v[37:38]
	s_waitcnt lgkmcnt(0)
	v_fma_f64 v[27:28], -v[25:26], v[29:30], v[27:28]
	v_mul_f64 v[27:28], v[27:28], v[31:32]
	global_store_dwordx4 v[12:13], v[0:3], off
	global_store_dwordx4 v[12:13], v[4:7], off offset:16
	global_store_dwordx4 v[12:13], v[8:11], off offset:32
	;; [unrolled: 1-line block ×5, first 2 shown]
	s_cmp_lt_i32 s8, s22
	s_cbranch_scc1 .LBB78_11
	s_branch .LBB78_24
.LBB78_10:
	s_mov_b32 s8, 0
	s_cmp_lt_i32 s8, s22
	s_cbranch_scc0 .LBB78_24
.LBB78_11:
	s_add_i32 s9, s8, 7
	s_cmp_ge_u32 s9, s22
	s_cbranch_scc1 .LBB78_19
; %bb.12:
	s_lshl_b32 s9, s8, 3
	v_add_co_u32_e32 v0, vcc, s9, v12
	v_addc_co_u32_e32 v1, vcc, 0, v13, vcc
	global_load_dwordx4 v[2:5], v[0:1], off
	global_load_dwordx4 v[6:9], v[0:1], off offset:16
	global_load_dwordx4 v[24:27], v[0:1], off offset:32
	;; [unrolled: 1-line block ×3, first 2 shown]
	s_andn2_b64 vcc, exec, s[6:7]
	s_waitcnt vmcnt(3)
	v_mul_f64 v[22:23], s[0:1], v[2:3]
	v_mul_f64 v[20:21], s[0:1], v[4:5]
	s_waitcnt vmcnt(2)
	v_mul_f64 v[18:19], s[0:1], v[6:7]
	v_mul_f64 v[16:17], s[0:1], v[8:9]
	;; [unrolled: 3-line block ×4, first 2 shown]
	s_cbranch_vccnz .LBB78_14
; %bb.13:
	s_mul_i32 s11, s8, 0x60
	s_mov_b64 s[6:7], 0
	s_branch .LBB78_15
.LBB78_14:
	s_mov_b64 s[6:7], -1
                                        ; implicit-def: $sgpr11
.LBB78_15:
	s_andn2_b64 vcc, exec, s[6:7]
	s_cbranch_vccnz .LBB78_18
; %bb.16:
	s_add_u32 s4, s14, s4
	s_addc_u32 s5, s15, s5
	s_add_u32 s2, s4, s2
	s_addc_u32 s3, s5, s3
	v_mov_b32_e32 v8, s3
	v_add_co_u32_e32 v9, vcc, s2, v14
	v_addc_co_u32_e32 v14, vcc, v8, v15, vcc
	s_mul_i32 s11, s8, 0x60
	v_add_co_u32_e32 v8, vcc, 16, v9
	v_addc_co_u32_e32 v9, vcc, 0, v14, vcc
	s_mov_b32 s2, s8
	s_mov_b32 s3, s11
.LBB78_17:                              ; =>This Inner Loop Header: Depth=1
	global_load_dwordx4 v[24:27], v[8:9], off offset:-16
	global_load_dwordx4 v[28:31], v[8:9], off
	v_mov_b32_e32 v50, s3
	ds_read_b128 v[32:35], v50
	ds_read_b128 v[36:39], v50 offset:96
	s_add_i32 s3, s3, 32
	s_add_i32 s2, s2, -4
	v_add_co_u32_e32 v8, vcc, 32, v8
	s_cmp_lg_u32 s2, 0
	v_addc_co_u32_e32 v9, vcc, 0, v9, vcc
	s_waitcnt vmcnt(1) lgkmcnt(1)
	v_fma_f64 v[14:15], -v[24:25], v[32:33], v[22:23]
	v_fma_f64 v[40:41], -v[26:27], v[34:35], v[14:15]
	s_waitcnt lgkmcnt(0)
	v_fma_f64 v[14:15], -v[24:25], v[36:37], v[20:21]
	ds_read_b128 v[32:35], v50 offset:192
	ds_read_b128 v[20:23], v50 offset:288
	v_fma_f64 v[36:37], -v[26:27], v[38:39], v[14:15]
	s_waitcnt lgkmcnt(1)
	v_fma_f64 v[14:15], -v[24:25], v[32:33], v[18:19]
	v_fma_f64 v[38:39], -v[26:27], v[34:35], v[14:15]
	s_waitcnt lgkmcnt(0)
	v_fma_f64 v[14:15], -v[24:25], v[20:21], v[16:17]
	ds_read_b128 v[32:35], v50 offset:384
	ds_read_b128 v[18:21], v50 offset:576
	s_waitcnt lgkmcnt(0)
	v_fma_f64 v[4:5], -v[24:25], v[18:19], v[4:5]
	v_fma_f64 v[42:43], -v[26:27], v[22:23], v[14:15]
	ds_read_b128 v[14:17], v50 offset:480
	s_waitcnt lgkmcnt(0)
	v_fma_f64 v[6:7], -v[24:25], v[14:15], v[6:7]
	v_fma_f64 v[46:47], -v[26:27], v[20:21], v[4:5]
	;; [unrolled: 1-line block ×3, first 2 shown]
	ds_read_b128 v[14:17], v50 offset:672
	ds_read_b128 v[4:7], v50 offset:16
	v_fma_f64 v[10:11], -v[24:25], v[32:33], v[10:11]
	s_waitcnt lgkmcnt(1)
	v_fma_f64 v[2:3], -v[24:25], v[14:15], v[2:3]
	v_fma_f64 v[10:11], -v[26:27], v[34:35], v[10:11]
	;; [unrolled: 1-line block ×3, first 2 shown]
	s_waitcnt vmcnt(0) lgkmcnt(0)
	v_fma_f64 v[2:3], -v[28:29], v[4:5], v[40:41]
	ds_read_b128 v[14:17], v50 offset:112
	ds_read_b128 v[24:27], v50 offset:208
	;; [unrolled: 1-line block ×3, first 2 shown]
	v_fma_f64 v[22:23], -v[30:31], v[6:7], v[2:3]
	s_waitcnt lgkmcnt(2)
	v_fma_f64 v[6:7], -v[28:29], v[14:15], v[36:37]
	ds_read_b128 v[2:5], v50 offset:304
	s_waitcnt lgkmcnt(0)
	v_fma_f64 v[2:3], -v[28:29], v[2:3], v[42:43]
	v_fma_f64 v[20:21], -v[30:31], v[16:17], v[6:7]
	;; [unrolled: 1-line block ×4, first 2 shown]
	ds_read_b128 v[2:5], v50 offset:592
	v_fma_f64 v[18:19], -v[30:31], v[26:27], v[6:7]
	v_fma_f64 v[6:7], -v[28:29], v[32:33], v[10:11]
	ds_read_b128 v[24:27], v50 offset:496
	s_waitcnt lgkmcnt(1)
	v_fma_f64 v[2:3], -v[28:29], v[2:3], v[46:47]
	v_fma_f64 v[10:11], -v[30:31], v[34:35], v[6:7]
	ds_read_b128 v[32:35], v50 offset:688
	s_waitcnt lgkmcnt(1)
	v_fma_f64 v[6:7], -v[28:29], v[24:25], v[44:45]
	v_fma_f64 v[4:5], -v[30:31], v[4:5], v[2:3]
	s_waitcnt lgkmcnt(0)
	v_fma_f64 v[14:15], -v[28:29], v[32:33], v[48:49]
	v_fma_f64 v[6:7], -v[30:31], v[26:27], v[6:7]
	;; [unrolled: 1-line block ×3, first 2 shown]
	s_cbranch_scc1 .LBB78_17
.LBB78_18:
	s_add_i32 s2, s9, s11
	v_mov_b32_e32 v40, s2
	ds_read2_b64 v[24:27], v40 offset1:26
	s_or_b32 s2, s8, 1
	s_mulk_i32 s2, 0x60
	s_add_i32 s2, s9, s2
	v_mov_b32_e32 v42, s2
	s_waitcnt lgkmcnt(0)
	v_mul_f64 v[22:23], v[22:23], v[24:25]
	ds_read_b128 v[28:31], v42
	ds_read_b128 v[32:35], v42 offset:96
	s_add_i32 s8, s8, 8
	s_waitcnt lgkmcnt(1)
	v_fma_f64 v[8:9], -v[22:23], v[28:29], v[20:21]
	s_waitcnt lgkmcnt(0)
	v_fma_f64 v[14:15], -v[22:23], v[32:33], v[18:19]
	v_mul_f64 v[24:25], v[8:9], v[30:31]
	ds_read_b128 v[18:21], v42 offset:192
	ds_read_b128 v[28:31], v42 offset:208
	s_waitcnt lgkmcnt(1)
	v_fma_f64 v[8:9], -v[22:23], v[18:19], v[16:17]
	v_fma_f64 v[18:19], -v[24:25], v[34:35], v[14:15]
	ds_read_b128 v[14:17], v42 offset:288
	ds_read_b128 v[32:35], v42 offset:304
	s_waitcnt lgkmcnt(1)
	v_fma_f64 v[10:11], -v[22:23], v[14:15], v[10:11]
	v_fma_f64 v[14:15], -v[24:25], v[20:21], v[8:9]
	v_mul_f64 v[8:9], v[18:19], v[26:27]
	ds_read_b128 v[18:21], v42 offset:384
	ds_read_b128 v[36:39], v42 offset:400
	s_waitcnt lgkmcnt(1)
	v_fma_f64 v[6:7], -v[22:23], v[18:19], v[6:7]
	v_fma_f64 v[10:11], -v[24:25], v[16:17], v[10:11]
	v_fma_f64 v[18:19], -v[8:9], v[28:29], v[14:15]
	ds_read_b128 v[14:17], v42 offset:480
	v_fma_f64 v[26:27], -v[24:25], v[20:21], v[6:7]
	s_waitcnt lgkmcnt(0)
	v_fma_f64 v[14:15], -v[22:23], v[14:15], v[4:5]
	v_fma_f64 v[28:29], -v[8:9], v[32:33], v[10:11]
	v_mul_f64 v[10:11], v[18:19], v[30:31]
	ds_read_b128 v[4:7], v42 offset:576
	ds_read_b128 v[18:21], v42 offset:592
	s_waitcnt lgkmcnt(1)
	v_fma_f64 v[30:31], -v[22:23], v[4:5], v[2:3]
	v_fma_f64 v[32:33], -v[24:25], v[16:17], v[14:15]
	;; [unrolled: 1-line block ×4, first 2 shown]
	ds_read_b128 v[2:5], v42 offset:496
	ds_read2_b64 v[14:17], v40 offset0:52 offset1:78
	ds_read_b128 v[26:29], v42 offset:512
	v_fma_f64 v[6:7], -v[24:25], v[6:7], v[30:31]
	s_waitcnt lgkmcnt(2)
	v_fma_f64 v[40:41], -v[8:9], v[2:3], v[32:33]
	v_fma_f64 v[36:37], -v[10:11], v[38:39], v[36:37]
	s_waitcnt lgkmcnt(1)
	v_mul_f64 v[2:3], v[34:35], v[14:15]
	ds_read_b128 v[30:33], v42 offset:416
	v_fma_f64 v[6:7], -v[8:9], v[18:19], v[6:7]
	v_fma_f64 v[4:5], -v[10:11], v[4:5], v[40:41]
	s_waitcnt lgkmcnt(0)
	v_fma_f64 v[14:15], -v[2:3], v[30:31], v[36:37]
	v_fma_f64 v[6:7], -v[10:11], v[20:21], v[6:7]
	;; [unrolled: 1-line block ×3, first 2 shown]
	v_mul_f64 v[4:5], v[14:15], v[32:33]
	ds_read_b128 v[18:21], v42 offset:608
	ds_read_b128 v[30:33], v42 offset:624
	s_waitcnt lgkmcnt(1)
	v_fma_f64 v[6:7], -v[2:3], v[18:19], v[6:7]
	v_fma_f64 v[14:15], -v[4:5], v[28:29], v[26:27]
	;; [unrolled: 1-line block ×3, first 2 shown]
	v_mul_f64 v[14:15], v[14:15], v[16:17]
	s_waitcnt lgkmcnt(0)
	v_fma_f64 v[6:7], -v[14:15], v[30:31], v[6:7]
	v_mul_f64 v[16:17], v[6:7], v[32:33]
	global_store_dwordx4 v[0:1], v[22:25], off
	global_store_dwordx4 v[0:1], v[8:11], off offset:16
	global_store_dwordx4 v[0:1], v[2:5], off offset:32
	;; [unrolled: 1-line block ×3, first 2 shown]
.LBB78_19:
	s_cmp_ge_i32 s8, s22
	s_cbranch_scc1 .LBB78_24
; %bb.20:
	s_mul_i32 s2, s8, 0x60
	s_mov_b32 s9, 0
	s_branch .LBB78_22
.LBB78_21:                              ;   in Loop: Header=BB78_22 Depth=1
	s_mul_i32 s3, s8, 0x68
	v_mov_b32_e32 v4, s3
	ds_read_b64 v[4:5], v4
	s_add_i32 s8, s8, 1
	s_addk_i32 s2, 0x60
	s_cmp_ge_i32 s8, s22
	s_waitcnt lgkmcnt(0)
	v_mul_f64 v[2:3], v[2:3], v[4:5]
	global_store_dwordx2 v[0:1], v[2:3], off
	s_cbranch_scc1 .LBB78_24
.LBB78_22:                              ; =>This Loop Header: Depth=1
                                        ;     Child Loop BB78_23 Depth 2
	s_lshl_b64 s[4:5], s[8:9], 3
	v_mov_b32_e32 v1, s5
	v_add_co_u32_e32 v0, vcc, s4, v12
	v_addc_co_u32_e32 v1, vcc, v13, v1, vcc
	global_load_dwordx2 v[2:3], v[0:1], off
	v_mov_b32_e32 v4, v12
	s_cmp_eq_u32 s8, 0
	v_mov_b32_e32 v5, v13
	s_mov_b32 s3, s8
	s_mov_b32 s4, s2
	s_waitcnt vmcnt(0)
	v_mul_f64 v[2:3], s[0:1], v[2:3]
	s_cbranch_scc1 .LBB78_21
.LBB78_23:                              ;   Parent Loop BB78_22 Depth=1
                                        ; =>  This Inner Loop Header: Depth=2
	global_load_dwordx2 v[6:7], v[4:5], off
	v_mov_b32_e32 v8, s4
	ds_read_b64 v[8:9], v8
	s_add_i32 s4, s4, 8
	s_add_i32 s3, s3, -1
	v_add_co_u32_e32 v4, vcc, 8, v4
	s_cmp_lg_u32 s3, 0
	v_addc_co_u32_e32 v5, vcc, 0, v5, vcc
	s_waitcnt vmcnt(0) lgkmcnt(0)
	v_fma_f64 v[2:3], -v[6:7], v[8:9], v[2:3]
	s_cbranch_scc1 .LBB78_23
	s_branch .LBB78_21
.LBB78_24:
	s_mov_b64 s[6:7], 0
.LBB78_25:
	s_and_b64 vcc, exec, s[6:7]
	s_cbranch_vccz .LBB78_47
; %bb.26:
	s_add_i32 s12, s22, -1
	s_cmp_gt_i32 s10, 11
	s_mov_b32 s2, -1
	s_cbranch_scc0 .LBB78_28
; %bb.27:
	global_load_dwordx4 v[0:3], v[12:13], off offset:80
	global_load_dwordx4 v[4:7], v[12:13], off offset:64
	;; [unrolled: 1-line block ×4, first 2 shown]
	v_mov_b32_e32 v58, 0
	ds_read_b128 v[18:21], v58 offset:1136
	ds_read_b128 v[26:29], v58 offset:1120
	global_load_dwordx4 v[22:25], v[12:13], off offset:16
	global_load_dwordx4 v[30:33], v[12:13], off
	s_waitcnt vmcnt(5)
	v_mul_f64 v[2:3], s[0:1], v[2:3]
	s_waitcnt lgkmcnt(1)
	v_mul_f64 v[2:3], v[2:3], v[20:21]
	v_mul_f64 v[18:19], v[2:3], v[18:19]
	s_waitcnt lgkmcnt(0)
	v_mul_f64 v[28:29], v[2:3], v[28:29]
	v_mul_f64 v[38:39], v[2:3], v[26:27]
	v_fma_f64 v[0:1], s[0:1], v[0:1], -v[18:19]
	ds_read2_b64 v[18:21], v58 offset0:104 offset1:130
	s_waitcnt vmcnt(4)
	v_fma_f64 v[6:7], s[0:1], v[6:7], -v[28:29]
	ds_read_b128 v[26:29], v58 offset:1024
	ds_read_b128 v[34:37], v58 offset:1008
	s_waitcnt lgkmcnt(2)
	v_mul_f64 v[0:1], v[0:1], v[20:21]
	v_fma_f64 v[20:21], s[0:1], v[4:5], -v[38:39]
	s_waitcnt lgkmcnt(1)
	v_fma_f64 v[28:29], -v[0:1], v[28:29], v[6:7]
	ds_read_b128 v[4:7], v58 offset:928
	ds_read_b128 v[38:41], v58 offset:1104
	v_fma_f64 v[20:21], -v[0:1], v[26:27], v[20:21]
	s_waitcnt lgkmcnt(0)
	v_mul_f64 v[40:41], v[2:3], v[40:41]
	v_mul_f64 v[50:51], v[2:3], v[38:39]
	v_mul_f64 v[6:7], v[28:29], v[6:7]
	ds_read_b128 v[26:29], v58 offset:1088
	s_waitcnt vmcnt(3)
	v_fma_f64 v[52:53], s[0:1], v[10:11], -v[40:41]
	v_fma_f64 v[50:51], s[0:1], v[8:9], -v[50:51]
	v_fma_f64 v[4:5], -v[6:7], v[4:5], v[20:21]
	s_waitcnt lgkmcnt(0)
	v_mul_f64 v[54:55], v[2:3], v[26:27]
	ds_read_b128 v[38:41], v58 offset:960
	ds_read_b128 v[42:45], v58 offset:1072
	;; [unrolled: 1-line block ×3, first 2 shown]
	s_waitcnt lgkmcnt(1)
	v_mul_f64 v[44:45], v[2:3], v[44:45]
	v_fma_f64 v[36:37], -v[0:1], v[36:37], v[52:53]
	v_mul_f64 v[52:53], v[2:3], v[28:29]
	v_mul_f64 v[4:5], v[4:5], v[18:19]
	ds_read_b128 v[8:11], v58 offset:912
	ds_read_b128 v[18:21], v58 offset:896
	v_fma_f64 v[50:51], -v[0:1], v[34:35], v[50:51]
	ds_read_b128 v[26:29], v58 offset:816
	s_waitcnt vmcnt(2)
	v_fma_f64 v[54:55], s[0:1], v[14:15], -v[54:55]
	v_mul_f64 v[42:43], v[2:3], v[42:43]
	s_waitcnt lgkmcnt(2)
	v_fma_f64 v[56:57], -v[6:7], v[10:11], v[36:37]
	v_fma_f64 v[52:53], s[0:1], v[16:17], -v[52:53]
	ds_read_b128 v[14:17], v58 offset:992
	ds_read_b128 v[34:37], v58 offset:976
	v_mul_f64 v[48:49], v[2:3], v[48:49]
	v_fma_f64 v[50:51], -v[6:7], v[8:9], v[50:51]
	s_waitcnt vmcnt(1)
	v_fma_f64 v[44:45], s[0:1], v[24:25], -v[44:45]
	s_waitcnt lgkmcnt(1)
	v_fma_f64 v[54:55], -v[0:1], v[14:15], v[54:55]
	v_fma_f64 v[42:43], s[0:1], v[22:23], -v[42:43]
	v_fma_f64 v[28:29], -v[4:5], v[28:29], v[56:57]
	v_fma_f64 v[52:53], -v[0:1], v[16:17], v[52:53]
	ds_read_b128 v[14:17], v58 offset:720
	ds_read_b128 v[22:25], v58 offset:704
	v_fma_f64 v[50:51], -v[4:5], v[26:27], v[50:51]
	v_mul_f64 v[46:47], v[2:3], v[46:47]
	ds_read_b128 v[8:11], v58 offset:800
	s_waitcnt vmcnt(0)
	v_fma_f64 v[48:49], s[0:1], v[32:33], -v[48:49]
	s_waitcnt lgkmcnt(2)
	v_mul_f64 v[16:17], v[28:29], v[16:17]
	v_fma_f64 v[52:53], -v[6:7], v[20:21], v[52:53]
	v_fma_f64 v[54:55], -v[6:7], v[18:19], v[54:55]
	;; [unrolled: 1-line block ×3, first 2 shown]
	ds_read_b128 v[18:21], v58 offset:880
	ds_read_b128 v[26:29], v58 offset:864
	v_fma_f64 v[46:47], s[0:1], v[30:31], -v[46:47]
	ds_read2_b64 v[30:33], v58 offset0:52 offset1:78
	v_fma_f64 v[14:15], -v[16:17], v[14:15], v[50:51]
	s_waitcnt lgkmcnt(3)
	v_fma_f64 v[52:53], -v[4:5], v[10:11], v[52:53]
	v_fma_f64 v[50:51], -v[0:1], v[34:35], v[42:43]
	;; [unrolled: 1-line block ×3, first 2 shown]
	s_waitcnt lgkmcnt(2)
	v_fma_f64 v[56:57], -v[6:7], v[20:21], v[44:45]
	ds_read_b128 v[8:11], v58 offset:784
	ds_read_b128 v[34:37], v58 offset:768
	;; [unrolled: 1-line block ×3, first 2 shown]
	v_fma_f64 v[46:47], -v[0:1], v[38:39], v[46:47]
	s_waitcnt lgkmcnt(3)
	v_mul_f64 v[14:15], v[14:15], v[32:33]
	v_fma_f64 v[32:33], -v[0:1], v[40:41], v[48:49]
	v_fma_f64 v[48:49], -v[16:17], v[24:25], v[52:53]
	v_fma_f64 v[50:51], -v[6:7], v[18:19], v[50:51]
	s_waitcnt lgkmcnt(2)
	v_fma_f64 v[52:53], -v[4:5], v[10:11], v[56:57]
	v_fma_f64 v[54:55], -v[16:17], v[22:23], v[54:55]
	ds_read_b128 v[18:21], v58 offset:688
	ds_read_b128 v[38:41], v58 offset:672
	v_fma_f64 v[46:47], -v[6:7], v[26:27], v[46:47]
	ds_read_b128 v[22:25], v58 offset:592
	v_fma_f64 v[32:33], -v[6:7], v[28:29], v[32:33]
	s_waitcnt lgkmcnt(3)
	v_fma_f64 v[44:45], -v[14:15], v[44:45], v[48:49]
	ds_read_b128 v[26:29], v58 offset:512
	v_fma_f64 v[48:49], -v[4:5], v[8:9], v[50:51]
	ds_read_b128 v[8:11], v58 offset:576
	s_waitcnt lgkmcnt(4)
	v_fma_f64 v[50:51], -v[16:17], v[20:21], v[52:53]
	v_fma_f64 v[42:43], -v[14:15], v[42:43], v[54:55]
	;; [unrolled: 1-line block ×4, first 2 shown]
	s_waitcnt lgkmcnt(1)
	v_mul_f64 v[20:21], v[44:45], v[28:29]
	v_fma_f64 v[18:19], -v[16:17], v[18:19], v[48:49]
	v_fma_f64 v[28:29], -v[14:15], v[24:25], v[50:51]
	;; [unrolled: 1-line block ×5, first 2 shown]
	ds_read_b128 v[24:27], v58 offset:496
	ds_read_b128 v[42:45], v58 offset:480
	v_fma_f64 v[22:23], -v[14:15], v[22:23], v[18:19]
	s_waitcnt lgkmcnt(1)
	v_fma_f64 v[36:37], -v[20:21], v[26:27], v[28:29]
	v_fma_f64 v[8:9], -v[14:15], v[8:9], v[38:39]
	;; [unrolled: 1-line block ×3, first 2 shown]
	v_mul_f64 v[18:19], v[48:49], v[30:31]
	ds_read_b128 v[26:29], v58 offset:400
	ds_read_b128 v[30:33], v58 offset:384
	v_fma_f64 v[46:47], -v[20:21], v[24:25], v[22:23]
	s_waitcnt lgkmcnt(2)
	v_fma_f64 v[8:9], -v[20:21], v[42:43], v[8:9]
	s_waitcnt lgkmcnt(1)
	v_fma_f64 v[28:29], -v[18:19], v[28:29], v[36:37]
	ds_read_b128 v[22:25], v58 offset:304
	ds_read_b128 v[34:37], v58 offset:288
	v_fma_f64 v[26:27], -v[18:19], v[26:27], v[46:47]
	s_waitcnt lgkmcnt(2)
	v_fma_f64 v[30:31], -v[18:19], v[30:31], v[8:9]
	s_waitcnt lgkmcnt(1)
	v_mul_f64 v[10:11], v[28:29], v[24:25]
	v_fma_f64 v[24:25], -v[20:21], v[44:45], v[40:41]
	v_fma_f64 v[26:27], -v[10:11], v[22:23], v[26:27]
	;; [unrolled: 1-line block ×3, first 2 shown]
	ds_read2_b64 v[22:25], v58 offset1:26
	s_waitcnt lgkmcnt(1)
	v_fma_f64 v[34:35], -v[10:11], v[34:35], v[30:31]
	s_waitcnt lgkmcnt(0)
	v_mul_f64 v[8:9], v[26:27], v[24:25]
	v_fma_f64 v[32:33], -v[10:11], v[36:37], v[28:29]
	ds_read_b128 v[24:27], v58 offset:192
	ds_read_b128 v[28:31], v58 offset:96
	s_waitcnt lgkmcnt(1)
	v_fma_f64 v[26:27], -v[8:9], v[26:27], v[32:33]
	v_fma_f64 v[32:33], -v[8:9], v[24:25], v[34:35]
	s_waitcnt lgkmcnt(0)
	v_mul_f64 v[24:25], v[26:27], v[30:31]
	v_fma_f64 v[26:27], -v[24:25], v[28:29], v[32:33]
	v_mul_f64 v[22:23], v[26:27], v[22:23]
	global_store_dwordx4 v[12:13], v[0:3], off offset:80
	global_store_dwordx4 v[12:13], v[4:7], off offset:64
	;; [unrolled: 1-line block ×5, first 2 shown]
	global_store_dwordx4 v[12:13], v[22:25], off
	s_cmp_gt_i32 s2, -1
	s_cbranch_scc1 .LBB78_29
	s_branch .LBB78_47
.LBB78_28:
	s_mov_b32 s2, s12
	s_cmp_gt_i32 s2, -1
	s_cbranch_scc0 .LBB78_47
.LBB78_29:
	s_cmp_lt_u32 s2, 7
	s_cbranch_scc1 .LBB78_34
; %bb.30:
	s_mov_b32 s5, 0
	s_mov_b32 s3, s5
	s_lshl_b64 s[6:7], s[2:3], 3
	v_mov_b32_e32 v1, s7
	v_add_co_u32_e32 v0, vcc, s6, v12
	v_addc_co_u32_e32 v1, vcc, v13, v1, vcc
	global_load_dwordx4 v[2:5], v[0:1], off offset:-8
	global_load_dwordx4 v[6:9], v[0:1], off offset:-24
	;; [unrolled: 1-line block ×4, first 2 shown]
	s_cmp_le_i32 s12, s2
	s_waitcnt vmcnt(3)
	v_mul_f64 v[18:19], s[0:1], v[4:5]
	v_mul_f64 v[16:17], s[0:1], v[2:3]
	s_waitcnt vmcnt(2)
	v_mul_f64 v[14:15], s[0:1], v[8:9]
	v_mul_f64 v[10:11], s[0:1], v[6:7]
	s_waitcnt vmcnt(1)
	v_mul_f64 v[8:9], s[0:1], v[22:23]
	v_mul_f64 v[6:7], s[0:1], v[20:21]
	s_waitcnt vmcnt(0)
	v_mul_f64 v[2:3], s[0:1], v[26:27]
	v_mul_f64 v[4:5], s[0:1], v[24:25]
	s_cbranch_scc1 .LBB78_33
; %bb.31:
	s_mul_i32 s3, s22, 0x60
	s_lshl_b32 s4, s2, 3
	s_add_i32 s3, s3, s4
	s_addk_i32 s3, 0xff68
	s_mov_b32 s4, s12
.LBB78_32:                              ; =>This Inner Loop Header: Depth=1
	s_lshl_b64 s[6:7], s[4:5], 3
	v_mov_b32_e32 v21, s7
	v_add_co_u32_e32 v20, vcc, s6, v12
	v_addc_co_u32_e32 v21, vcc, v13, v21, vcc
	global_load_dwordx2 v[36:37], v[20:21], off
	v_mov_b32_e32 v32, s3
	ds_read2_b64 v[20:23], v32 offset0:6 offset1:7
	ds_read2_b64 v[24:27], v32 offset0:4 offset1:5
	;; [unrolled: 1-line block ×3, first 2 shown]
	ds_read2_b64 v[32:35], v32 offset1:1
	s_add_i32 s4, s4, -1
	s_addk_i32 s3, 0xffa0
	s_cmp_gt_i32 s4, s2
	s_waitcnt vmcnt(0) lgkmcnt(3)
	v_fma_f64 v[18:19], -v[36:37], v[22:23], v[18:19]
	v_fma_f64 v[16:17], -v[36:37], v[20:21], v[16:17]
	s_waitcnt lgkmcnt(2)
	v_fma_f64 v[14:15], -v[36:37], v[26:27], v[14:15]
	v_fma_f64 v[10:11], -v[36:37], v[24:25], v[10:11]
	s_waitcnt lgkmcnt(1)
	;; [unrolled: 3-line block ×3, first 2 shown]
	v_fma_f64 v[2:3], -v[36:37], v[34:35], v[2:3]
	v_fma_f64 v[4:5], -v[36:37], v[32:33], v[4:5]
	s_cbranch_scc1 .LBB78_32
.LBB78_33:
	s_add_i32 s4, s2, -1
	s_lshl_b32 s6, s4, 3
	s_mul_i32 s3, s2, 0x60
	s_add_i32 s5, s6, s3
	v_mov_b32_e32 v20, s5
	ds_read2_b64 v[20:23], v20 offset1:1
	s_add_i32 s5, s3, 0xffffffa0
	s_add_i32 s6, s6, s5
	v_mov_b32_e32 v24, s6
	ds_read_b64 v[28:29], v24
	s_waitcnt lgkmcnt(1)
	v_mul_f64 v[30:31], v[18:19], v[22:23]
	s_add_i32 s6, s2, -3
	s_lshl_b32 s7, s6, 3
	s_add_i32 s8, s7, s3
	v_mov_b32_e32 v18, s8
	ds_read2_b64 v[22:25], v18 offset1:1
	s_add_i32 s8, s7, s5
	s_add_i32 s16, s3, 0xffffff40
	v_fma_f64 v[20:21], -v[30:31], v[20:21], v[16:17]
	v_mov_b32_e32 v16, s8
	s_waitcnt lgkmcnt(0)
	v_fma_f64 v[14:15], -v[30:31], v[24:25], v[14:15]
	s_add_i32 s8, s2, -5
	s_lshl_b32 s11, s8, 3
	ds_read2_b64 v[16:19], v16 offset1:1
	s_add_i32 s9, s11, s3
	v_mov_b32_e32 v24, s9
	v_mul_f64 v[32:33], v[20:21], v[28:29]
	ds_read2_b64 v[24:27], v24 offset1:1
	s_add_i32 s10, s11, s5
	v_fma_f64 v[34:35], -v[30:31], v[22:23], v[10:11]
	v_mov_b32_e32 v10, s10
	ds_read2_b64 v[20:23], v10 offset1:1
	s_add_i32 s17, s3, 0xfffffee0
	s_add_i32 s14, s7, s16
	s_waitcnt lgkmcnt(2)
	v_fma_f64 v[14:15], -v[32:33], v[18:19], v[14:15]
	s_add_i32 s7, s7, s17
	s_waitcnt lgkmcnt(1)
	v_fma_f64 v[36:37], -v[30:31], v[26:27], v[8:9]
	v_mov_b32_e32 v8, s14
	v_mov_b32_e32 v9, s7
	ds_read_b64 v[18:19], v9
	ds_read2_b64 v[8:11], v8 offset1:1
	s_add_i32 s10, s2, -7
	s_lshl_b32 s13, s10, 3
	v_fma_f64 v[34:35], -v[32:33], v[16:17], v[34:35]
	s_add_i32 s18, s13, s3
	s_waitcnt lgkmcnt(0)
	v_mul_f64 v[10:11], v[14:15], v[10:11]
	v_mov_b32_e32 v26, s18
	ds_read2_b64 v[26:29], v26 offset1:1
	s_add_i32 s5, s13, s5
	v_fma_f64 v[24:25], -v[30:31], v[24:25], v[6:7]
	v_mov_b32_e32 v6, s5
	s_mov_b32 s5, 0
	ds_read2_b64 v[14:17], v6 offset1:1
	s_waitcnt lgkmcnt(1)
	v_fma_f64 v[26:27], -v[30:31], v[26:27], v[4:5]
	v_fma_f64 v[4:5], -v[10:11], v[8:9], v[34:35]
	s_lshl_b64 s[14:15], s[4:5], 3
	global_store_dwordx2 v[0:1], v[30:31], off
	v_mov_b32_e32 v1, s15
	v_add_co_u32_e32 v0, vcc, s14, v12
	s_add_i32 s4, s2, -2
	v_fma_f64 v[8:9], -v[32:33], v[22:23], v[36:37]
	v_addc_co_u32_e32 v1, vcc, v13, v1, vcc
	s_lshl_b64 s[14:15], s[4:5], 3
	s_add_i32 s4, s11, s16
	global_store_dwordx2 v[0:1], v[32:33], off
	v_mov_b32_e32 v0, s4
	v_fma_f64 v[28:29], -v[30:31], v[28:29], v[2:3]
	ds_read2_b64 v[0:3], v0 offset1:1
	s_add_i32 s4, s11, s17
	v_mul_f64 v[18:19], v[4:5], v[18:19]
	v_mov_b32_e32 v4, s4
	ds_read2_b64 v[4:7], v4 offset1:1
	s_waitcnt lgkmcnt(1)
	v_fma_f64 v[2:3], -v[10:11], v[2:3], v[8:9]
	v_fma_f64 v[20:21], -v[32:33], v[20:21], v[24:25]
	s_addk_i32 s3, 0xfe80
	s_add_i32 s4, s11, s3
	v_mov_b32_e32 v30, s15
	v_add_co_u32_e32 v8, vcc, s14, v12
	v_addc_co_u32_e32 v9, vcc, v13, v30, vcc
	s_waitcnt lgkmcnt(0)
	v_fma_f64 v[6:7], -v[18:19], v[6:7], v[2:3]
	v_fma_f64 v[20:21], -v[10:11], v[0:1], v[20:21]
	v_mov_b32_e32 v0, s4
	ds_read2_b64 v[0:3], v0 offset1:1
	s_add_i32 s4, s9, 0xfffffe20
	v_fma_f64 v[16:17], -v[32:33], v[16:17], v[28:29]
	global_store_dwordx2 v[8:9], v[10:11], off
	v_mov_b32_e32 v8, s4
	s_add_i32 s4, s13, s16
	ds_read_b64 v[22:23], v8
	s_waitcnt lgkmcnt(1)
	v_mul_f64 v[24:25], v[6:7], v[2:3]
	v_mov_b32_e32 v2, s4
	ds_read2_b64 v[6:9], v2 offset1:1
	v_fma_f64 v[20:21], -v[18:19], v[4:5], v[20:21]
	v_fma_f64 v[14:15], -v[32:33], v[14:15], v[26:27]
	s_add_i32 s4, s13, s17
	v_mov_b32_e32 v2, s4
	s_waitcnt lgkmcnt(0)
	v_fma_f64 v[8:9], -v[10:11], v[8:9], v[16:17]
	ds_read2_b64 v[2:5], v2 offset1:1
	s_mov_b32 s7, s5
	s_lshl_b64 s[6:7], s[6:7], 3
	v_mov_b32_e32 v30, s7
	v_add_co_u32_e32 v16, vcc, s6, v12
	v_addc_co_u32_e32 v17, vcc, v13, v30, vcc
	v_fma_f64 v[0:1], -v[24:25], v[0:1], v[20:21]
	global_store_dwordx2 v[16:17], v[18:19], off
	s_waitcnt lgkmcnt(0)
	v_fma_f64 v[16:17], -v[18:19], v[4:5], v[8:9]
	v_fma_f64 v[14:15], -v[10:11], v[6:7], v[14:15]
	s_add_i32 s3, s13, s3
	v_mov_b32_e32 v4, s3
	ds_read2_b64 v[4:7], v4 offset1:1
	s_add_i32 s4, s2, -4
	s_lshl_b64 s[6:7], s[4:5], 3
	s_add_i32 s4, s3, 0xffffffa0
	v_mul_f64 v[20:21], v[0:1], v[22:23]
	v_mov_b32_e32 v0, s4
	ds_read2_b64 v[8:11], v0 offset1:1
	s_waitcnt lgkmcnt(1)
	v_fma_f64 v[0:1], -v[24:25], v[6:7], v[16:17]
	v_fma_f64 v[2:3], -v[18:19], v[2:3], v[14:15]
	v_mov_b32_e32 v26, s7
	v_add_co_u32_e32 v6, vcc, s6, v12
	v_addc_co_u32_e32 v7, vcc, v13, v26, vcc
	global_store_dwordx2 v[6:7], v[24:25], off
	s_waitcnt lgkmcnt(0)
	v_fma_f64 v[6:7], -v[20:21], v[10:11], v[0:1]
	v_fma_f64 v[4:5], -v[24:25], v[4:5], v[2:3]
	s_addk_i32 s3, 0xff40
	v_mov_b32_e32 v0, s3
	ds_read2_b64 v[0:3], v0 offset1:1
	s_add_i32 s3, s18, 0xfffffd60
	v_mov_b32_e32 v10, s3
	ds_read_b64 v[10:11], v10
	s_mov_b32 s9, s5
	s_waitcnt lgkmcnt(1)
	v_mul_f64 v[2:3], v[6:7], v[2:3]
	v_fma_f64 v[4:5], -v[20:21], v[8:9], v[4:5]
	s_lshl_b64 s[6:7], s[8:9], 3
	v_mov_b32_e32 v7, s7
	v_add_co_u32_e32 v6, vcc, s6, v12
	s_add_i32 s4, s2, -6
	v_addc_co_u32_e32 v7, vcc, v13, v7, vcc
	v_fma_f64 v[0:1], -v[2:3], v[0:1], v[4:5]
	s_lshl_b64 s[6:7], s[4:5], 3
	v_mov_b32_e32 v5, s7
	v_add_co_u32_e32 v4, vcc, s6, v12
	s_mov_b32 s11, s5
	v_addc_co_u32_e32 v5, vcc, v13, v5, vcc
	s_waitcnt lgkmcnt(0)
	v_mul_f64 v[0:1], v[0:1], v[10:11]
	s_lshl_b64 s[4:5], s[10:11], 3
	global_store_dwordx2 v[4:5], v[2:3], off
	v_mov_b32_e32 v3, s5
	v_add_co_u32_e32 v2, vcc, s4, v12
	v_addc_co_u32_e32 v3, vcc, v13, v3, vcc
	s_add_i32 s2, s2, -8
	global_store_dwordx2 v[6:7], v[20:21], off
	global_store_dwordx2 v[2:3], v[0:1], off
.LBB78_34:
	s_cmp_lt_i32 s2, 0
	s_cbranch_scc1 .LBB78_47
; %bb.35:
	s_bitcmp1_b32 s2, 0
	s_cselect_b64 s[4:5], -1, 0
	s_and_b64 vcc, exec, s[4:5]
	s_mov_b32 s4, s2
	s_cbranch_vccnz .LBB78_40
; %bb.36:
	s_mov_b32 s5, 0
	s_mov_b32 s3, s5
	s_lshl_b64 s[6:7], s[2:3], 3
	v_mov_b32_e32 v1, s7
	v_add_co_u32_e32 v0, vcc, s6, v12
	v_addc_co_u32_e32 v1, vcc, v13, v1, vcc
	global_load_dwordx2 v[2:3], v[0:1], off
	s_cmp_le_i32 s12, s2
	s_waitcnt vmcnt(0)
	v_mul_f64 v[2:3], s[0:1], v[2:3]
	s_cbranch_scc1 .LBB78_39
; %bb.37:
	s_mul_i32 s3, s22, 0x60
	s_lshl_b32 s4, s2, 3
	s_add_i32 s3, s3, s4
	s_addk_i32 s3, 0xffa0
	s_mov_b32 s4, s12
.LBB78_38:                              ; =>This Inner Loop Header: Depth=1
	s_lshl_b64 s[6:7], s[4:5], 3
	v_mov_b32_e32 v5, s7
	v_add_co_u32_e32 v4, vcc, s6, v12
	v_addc_co_u32_e32 v5, vcc, v13, v5, vcc
	global_load_dwordx2 v[4:5], v[4:5], off
	v_mov_b32_e32 v6, s3
	ds_read_b64 v[6:7], v6
	s_add_i32 s4, s4, -1
	s_addk_i32 s3, 0xffa0
	s_cmp_gt_i32 s4, s2
	s_waitcnt vmcnt(0) lgkmcnt(0)
	v_fma_f64 v[2:3], -v[4:5], v[6:7], v[2:3]
	s_cbranch_scc1 .LBB78_38
.LBB78_39:
	s_mul_i32 s3, s2, 0x68
	v_mov_b32_e32 v4, s3
	ds_read_b64 v[4:5], v4
	s_add_i32 s4, s2, -1
	s_waitcnt lgkmcnt(0)
	v_mul_f64 v[2:3], v[2:3], v[4:5]
	global_store_dwordx2 v[0:1], v[2:3], off
.LBB78_40:
	s_cmp_eq_u32 s2, 0
	s_mov_b32 s3, 0
	s_cbranch_scc1 .LBB78_47
; %bb.41:
	s_mul_i32 s2, s22, 0x60
	s_lshl_b32 s5, s4, 3
	s_add_i32 s2, s2, s5
	s_add_i32 s6, s2, 0xffffffa0
	;; [unrolled: 1-line block ×3, first 2 shown]
	s_branch .LBB78_43
.LBB78_42:                              ;   in Loop: Header=BB78_43 Depth=1
	s_add_i32 s2, s5, 0xffffff98
	v_mov_b32_e32 v0, s2
	ds_read_b64 v[0:1], v0
	s_add_i32 s2, s4, -2
	s_add_i32 s6, s6, -16
	;; [unrolled: 1-line block ×3, first 2 shown]
	s_cmp_lt_i32 s4, 2
	s_waitcnt lgkmcnt(0)
	v_mul_f64 v[0:1], v[4:5], v[0:1]
	s_mov_b32 s4, s2
	global_store_dwordx2 v[2:3], v[0:1], off
	s_cbranch_scc1 .LBB78_47
.LBB78_43:                              ; =>This Loop Header: Depth=1
                                        ;     Child Loop BB78_44 Depth 2
                                        ;     Child Loop BB78_46 Depth 2
	s_mov_b32 s5, s3
	s_lshl_b64 s[8:9], s[4:5], 3
	v_mov_b32_e32 v1, s9
	v_add_co_u32_e32 v0, vcc, s8, v12
	v_addc_co_u32_e32 v1, vcc, v13, v1, vcc
	global_load_dwordx2 v[2:3], v[0:1], off
	s_cmp_le_i32 s12, s4
	s_mov_b32 s5, s6
	s_mov_b32 s2, s12
	s_waitcnt vmcnt(0)
	v_mul_f64 v[4:5], s[0:1], v[2:3]
	s_cbranch_scc1 .LBB78_45
.LBB78_44:                              ;   Parent Loop BB78_43 Depth=1
                                        ; =>  This Inner Loop Header: Depth=2
	s_lshl_b64 s[8:9], s[2:3], 3
	v_mov_b32_e32 v3, s9
	v_add_co_u32_e32 v2, vcc, s8, v12
	v_addc_co_u32_e32 v3, vcc, v13, v3, vcc
	global_load_dwordx2 v[2:3], v[2:3], off
	v_mov_b32_e32 v6, s5
	ds_read_b64 v[6:7], v6
	s_add_i32 s2, s2, -1
	s_addk_i32 s5, 0xffa0
	s_cmp_gt_i32 s2, s4
	s_waitcnt vmcnt(0) lgkmcnt(0)
	v_fma_f64 v[4:5], -v[2:3], v[6:7], v[4:5]
	s_cbranch_scc1 .LBB78_44
.LBB78_45:                              ;   in Loop: Header=BB78_43 Depth=1
	s_add_i32 s2, s4, -1
	s_lshl_b64 s[8:9], s[2:3], 3
	v_mov_b32_e32 v3, s9
	v_add_co_u32_e32 v2, vcc, s8, v12
	v_addc_co_u32_e32 v3, vcc, v13, v3, vcc
	global_load_dwordx2 v[6:7], v[2:3], off
	s_mul_i32 s5, s4, 0x68
	v_mov_b32_e32 v8, s5
	ds_read_b64 v[8:9], v8
	s_cmp_le_i32 s22, s4
	s_mov_b32 s8, s7
	s_mov_b32 s2, s22
	s_waitcnt lgkmcnt(0)
	v_mul_f64 v[8:9], v[4:5], v[8:9]
	global_store_dwordx2 v[0:1], v[8:9], off
	s_waitcnt vmcnt(1)
	v_mul_f64 v[4:5], s[0:1], v[6:7]
	s_cbranch_scc1 .LBB78_42
.LBB78_46:                              ;   Parent Loop BB78_43 Depth=1
                                        ; =>  This Inner Loop Header: Depth=2
	s_add_i32 s2, s2, -1
	s_lshl_b64 s[10:11], s[2:3], 3
	v_mov_b32_e32 v1, s11
	v_add_co_u32_e32 v0, vcc, s10, v12
	v_addc_co_u32_e32 v1, vcc, v13, v1, vcc
	global_load_dwordx2 v[0:1], v[0:1], off
	v_mov_b32_e32 v6, s8
	ds_read_b64 v[6:7], v6
	s_addk_i32 s8, 0xffa0
	s_cmp_gt_i32 s2, s4
	s_waitcnt vmcnt(0) lgkmcnt(0)
	v_fma_f64 v[4:5], -v[0:1], v[6:7], v[4:5]
	s_cbranch_scc1 .LBB78_46
	s_branch .LBB78_42
.LBB78_47:
	s_endpgm
	.section	.rodata,"a",@progbits
	.p2align	6, 0x0
	.amdhsa_kernel _ZL30rocblas_trsm_small_left_deviceILi12ELi12ELb0EddPKdPdEv13rocblas_fill_18rocblas_operation_17rocblas_diagonal_iiT3_T4_lilT5_lili
		.amdhsa_group_segment_fixed_size 1152
		.amdhsa_private_segment_fixed_size 0
		.amdhsa_kernarg_size 360
		.amdhsa_user_sgpr_count 6
		.amdhsa_user_sgpr_private_segment_buffer 1
		.amdhsa_user_sgpr_dispatch_ptr 0
		.amdhsa_user_sgpr_queue_ptr 0
		.amdhsa_user_sgpr_kernarg_segment_ptr 1
		.amdhsa_user_sgpr_dispatch_id 0
		.amdhsa_user_sgpr_flat_scratch_init 0
		.amdhsa_user_sgpr_private_segment_size 0
		.amdhsa_uses_dynamic_stack 0
		.amdhsa_system_sgpr_private_segment_wavefront_offset 0
		.amdhsa_system_sgpr_workgroup_id_x 1
		.amdhsa_system_sgpr_workgroup_id_y 0
		.amdhsa_system_sgpr_workgroup_id_z 1
		.amdhsa_system_sgpr_workgroup_info 0
		.amdhsa_system_vgpr_workitem_id 0
		.amdhsa_next_free_vgpr 65
		.amdhsa_next_free_sgpr 26
		.amdhsa_reserve_vcc 1
		.amdhsa_reserve_flat_scratch 0
		.amdhsa_float_round_mode_32 0
		.amdhsa_float_round_mode_16_64 0
		.amdhsa_float_denorm_mode_32 3
		.amdhsa_float_denorm_mode_16_64 3
		.amdhsa_dx10_clamp 1
		.amdhsa_ieee_mode 1
		.amdhsa_fp16_overflow 0
		.amdhsa_exception_fp_ieee_invalid_op 0
		.amdhsa_exception_fp_denorm_src 0
		.amdhsa_exception_fp_ieee_div_zero 0
		.amdhsa_exception_fp_ieee_overflow 0
		.amdhsa_exception_fp_ieee_underflow 0
		.amdhsa_exception_fp_ieee_inexact 0
		.amdhsa_exception_int_div_zero 0
	.end_amdhsa_kernel
	.section	.text._ZL30rocblas_trsm_small_left_deviceILi12ELi12ELb0EddPKdPdEv13rocblas_fill_18rocblas_operation_17rocblas_diagonal_iiT3_T4_lilT5_lili,"axG",@progbits,_ZL30rocblas_trsm_small_left_deviceILi12ELi12ELb0EddPKdPdEv13rocblas_fill_18rocblas_operation_17rocblas_diagonal_iiT3_T4_lilT5_lili,comdat
.Lfunc_end78:
	.size	_ZL30rocblas_trsm_small_left_deviceILi12ELi12ELb0EddPKdPdEv13rocblas_fill_18rocblas_operation_17rocblas_diagonal_iiT3_T4_lilT5_lili, .Lfunc_end78-_ZL30rocblas_trsm_small_left_deviceILi12ELi12ELb0EddPKdPdEv13rocblas_fill_18rocblas_operation_17rocblas_diagonal_iiT3_T4_lilT5_lili
                                        ; -- End function
	.set _ZL30rocblas_trsm_small_left_deviceILi12ELi12ELb0EddPKdPdEv13rocblas_fill_18rocblas_operation_17rocblas_diagonal_iiT3_T4_lilT5_lili.num_vgpr, 65
	.set _ZL30rocblas_trsm_small_left_deviceILi12ELi12ELb0EddPKdPdEv13rocblas_fill_18rocblas_operation_17rocblas_diagonal_iiT3_T4_lilT5_lili.num_agpr, 0
	.set _ZL30rocblas_trsm_small_left_deviceILi12ELi12ELb0EddPKdPdEv13rocblas_fill_18rocblas_operation_17rocblas_diagonal_iiT3_T4_lilT5_lili.numbered_sgpr, 26
	.set _ZL30rocblas_trsm_small_left_deviceILi12ELi12ELb0EddPKdPdEv13rocblas_fill_18rocblas_operation_17rocblas_diagonal_iiT3_T4_lilT5_lili.num_named_barrier, 0
	.set _ZL30rocblas_trsm_small_left_deviceILi12ELi12ELb0EddPKdPdEv13rocblas_fill_18rocblas_operation_17rocblas_diagonal_iiT3_T4_lilT5_lili.private_seg_size, 0
	.set _ZL30rocblas_trsm_small_left_deviceILi12ELi12ELb0EddPKdPdEv13rocblas_fill_18rocblas_operation_17rocblas_diagonal_iiT3_T4_lilT5_lili.uses_vcc, 1
	.set _ZL30rocblas_trsm_small_left_deviceILi12ELi12ELb0EddPKdPdEv13rocblas_fill_18rocblas_operation_17rocblas_diagonal_iiT3_T4_lilT5_lili.uses_flat_scratch, 0
	.set _ZL30rocblas_trsm_small_left_deviceILi12ELi12ELb0EddPKdPdEv13rocblas_fill_18rocblas_operation_17rocblas_diagonal_iiT3_T4_lilT5_lili.has_dyn_sized_stack, 0
	.set _ZL30rocblas_trsm_small_left_deviceILi12ELi12ELb0EddPKdPdEv13rocblas_fill_18rocblas_operation_17rocblas_diagonal_iiT3_T4_lilT5_lili.has_recursion, 0
	.set _ZL30rocblas_trsm_small_left_deviceILi12ELi12ELb0EddPKdPdEv13rocblas_fill_18rocblas_operation_17rocblas_diagonal_iiT3_T4_lilT5_lili.has_indirect_call, 0
	.section	.AMDGPU.csdata,"",@progbits
; Kernel info:
; codeLenInByte = 6452
; TotalNumSgprs: 30
; NumVgprs: 65
; ScratchSize: 0
; MemoryBound: 1
; FloatMode: 240
; IeeeMode: 1
; LDSByteSize: 1152 bytes/workgroup (compile time only)
; SGPRBlocks: 3
; VGPRBlocks: 16
; NumSGPRsForWavesPerEU: 30
; NumVGPRsForWavesPerEU: 65
; Occupancy: 3
; WaveLimiterHint : 1
; COMPUTE_PGM_RSRC2:SCRATCH_EN: 0
; COMPUTE_PGM_RSRC2:USER_SGPR: 6
; COMPUTE_PGM_RSRC2:TRAP_HANDLER: 0
; COMPUTE_PGM_RSRC2:TGID_X_EN: 1
; COMPUTE_PGM_RSRC2:TGID_Y_EN: 0
; COMPUTE_PGM_RSRC2:TGID_Z_EN: 1
; COMPUTE_PGM_RSRC2:TIDIG_COMP_CNT: 0
	.section	.text._ZL38rocblas_trsm_small_left_device_sharedBILi12ELi12ELb1EddPKdPdEv13rocblas_fill_18rocblas_operation_17rocblas_diagonal_iiT3_T4_lilT5_lili,"axG",@progbits,_ZL38rocblas_trsm_small_left_device_sharedBILi12ELi12ELb1EddPKdPdEv13rocblas_fill_18rocblas_operation_17rocblas_diagonal_iiT3_T4_lilT5_lili,comdat
	.globl	_ZL38rocblas_trsm_small_left_device_sharedBILi12ELi12ELb1EddPKdPdEv13rocblas_fill_18rocblas_operation_17rocblas_diagonal_iiT3_T4_lilT5_lili ; -- Begin function _ZL38rocblas_trsm_small_left_device_sharedBILi12ELi12ELb1EddPKdPdEv13rocblas_fill_18rocblas_operation_17rocblas_diagonal_iiT3_T4_lilT5_lili
	.p2align	8
	.type	_ZL38rocblas_trsm_small_left_device_sharedBILi12ELi12ELb1EddPKdPdEv13rocblas_fill_18rocblas_operation_17rocblas_diagonal_iiT3_T4_lilT5_lili,@function
_ZL38rocblas_trsm_small_left_device_sharedBILi12ELi12ELb1EddPKdPdEv13rocblas_fill_18rocblas_operation_17rocblas_diagonal_iiT3_T4_lilT5_lili: ; @_ZL38rocblas_trsm_small_left_device_sharedBILi12ELi12ELb1EddPKdPdEv13rocblas_fill_18rocblas_operation_17rocblas_diagonal_iiT3_T4_lilT5_lili
; %bb.0:
	s_load_dwordx4 s[8:11], s[4:5], 0x4
	s_load_dwordx4 s[12:15], s[4:5], 0x18
	s_load_dwordx2 s[20:21], s[4:5], 0x28
	s_load_dwordx4 s[0:3], s[4:5], 0x38
	s_load_dwordx2 s[16:17], s[4:5], 0x48
	s_waitcnt lgkmcnt(0)
	s_min_i32 s22, s10, 12
	v_cmp_gt_i32_e32 vcc, s22, v0
	s_and_saveexec_b64 s[18:19], vcc
	s_cbranch_execz .LBB79_6
; %bb.1:
	s_load_dword s24, s[4:5], 0x30
	s_mul_i32 s1, s1, s7
	s_mul_hi_u32 s23, s0, s7
	s_mul_i32 s0, s0, s7
	s_add_i32 s1, s23, s1
	s_waitcnt lgkmcnt(0)
	s_ashr_i32 s25, s24, 31
	s_lshl_b64 s[0:1], s[0:1], 3
	s_add_u32 s14, s14, s0
	s_addc_u32 s15, s15, s1
	s_lshl_b64 s[0:1], s[20:21], 3
	s_add_u32 s0, s14, s0
	s_addc_u32 s1, s15, s1
	v_lshlrev_b32_e32 v3, 3, v0
	v_mov_b32_e32 v2, s1
	v_add_co_u32_e32 v1, vcc, s0, v3
	s_lshl_b64 s[0:1], s[24:25], 3
	v_addc_co_u32_e32 v2, vcc, 0, v2, vcc
	v_mov_b32_e32 v4, s1
	v_mov_b32_e32 v5, v3
	s_mov_b32 s1, s22
.LBB79_2:                               ; =>This Inner Loop Header: Depth=1
	global_load_dwordx2 v[6:7], v[1:2], off
	v_add_co_u32_e32 v1, vcc, s0, v1
	s_add_i32 s1, s1, -1
	v_addc_co_u32_e32 v2, vcc, v2, v4, vcc
	s_cmp_eq_u32 s1, 0
	s_waitcnt vmcnt(0)
	ds_write_b64 v5, v[6:7]
	v_add_u32_e32 v5, 0x60, v5
	s_cbranch_scc0 .LBB79_2
; %bb.3:
	v_mul_u32_u24_e32 v4, 0x60, v0
	v_mov_b32_e32 v1, 0
	s_cmpk_lg_i32 s9, 0x84
	v_mov_b32_e32 v2, 0x3ff00000
	v_add_u32_e32 v3, v3, v4
	s_cbranch_scc0 .LBB79_5
; %bb.4:
	ds_read_b64 v[1:2], v3
	s_waitcnt lgkmcnt(0)
	v_div_scale_f64 v[4:5], s[0:1], v[1:2], v[1:2], 1.0
	v_div_scale_f64 v[10:11], vcc, 1.0, v[1:2], 1.0
	v_rcp_f64_e32 v[6:7], v[4:5]
	v_fma_f64 v[8:9], -v[4:5], v[6:7], 1.0
	v_fma_f64 v[6:7], v[6:7], v[8:9], v[6:7]
	v_fma_f64 v[8:9], -v[4:5], v[6:7], 1.0
	v_fma_f64 v[6:7], v[6:7], v[8:9], v[6:7]
	v_mul_f64 v[8:9], v[10:11], v[6:7]
	v_fma_f64 v[4:5], -v[4:5], v[8:9], v[10:11]
	v_div_fmas_f64 v[4:5], v[4:5], v[6:7], v[8:9]
	v_div_fixup_f64 v[1:2], v[4:5], v[1:2], 1.0
.LBB79_5:
	ds_write_b64 v3, v[1:2]
.LBB79_6:
	s_or_b64 exec, exec, s[18:19]
	s_load_dword s0, s[4:5], 0x68
	s_load_dwordx2 s[14:15], s[4:5], 0x58
	s_load_dword s9, s[4:5], 0x50
	s_waitcnt lgkmcnt(0)
	s_mul_i32 s1, s15, s7
	s_mul_hi_u32 s5, s14, s7
	s_mul_i32 s4, s14, s7
	s_add_i32 s5, s5, s1
	s_lshl_b64 s[4:5], s[4:5], 3
	s_add_u32 s1, s2, s4
	s_addc_u32 s4, s3, s5
	s_lshl_b64 s[2:3], s[16:17], 3
	s_add_u32 s2, s1, s2
	s_mul_i32 s1, s6, -12
	s_addc_u32 s3, s4, s3
	s_add_i32 s0, s0, -1
	s_add_i32 s1, s11, s1
	s_cmp_ge_u32 s6, s0
	s_mul_i32 s6, s6, 12
	s_cselect_b32 s4, s1, 12
	s_mul_hi_i32 s1, s9, s6
	s_mul_i32 s0, s9, s6
	s_lshl_b64 s[0:1], s[0:1], 3
	s_add_u32 s6, s2, s0
	s_addc_u32 s7, s3, s1
	s_cmp_gt_i32 s10, 0
	v_cmp_gt_i32_e64 s[0:1], s4, v0
	s_cselect_b64 s[2:3], -1, 0
	s_and_b64 s[14:15], s[0:1], s[2:3]
	s_and_saveexec_b64 s[4:5], s[14:15]
	s_cbranch_execz .LBB79_9
; %bb.7:
	v_mad_i64_i32 v[1:2], s[14:15], s9, v0, 0
	v_mov_b32_e32 v3, s7
	s_mov_b32 s11, s22
	v_lshlrev_b64 v[1:2], 3, v[1:2]
	v_add_co_u32_e32 v1, vcc, s6, v1
	v_addc_co_u32_e32 v2, vcc, v3, v2, vcc
	v_mov_b32_e32 v3, 0x480
	v_lshl_or_b32 v3, v0, 3, v3
.LBB79_8:                               ; =>This Inner Loop Header: Depth=1
	global_load_dwordx2 v[4:5], v[1:2], off
	s_add_i32 s11, s11, -1
	v_add_co_u32_e32 v1, vcc, 8, v1
	v_addc_co_u32_e32 v2, vcc, 0, v2, vcc
	s_cmp_lg_u32 s11, 0
	s_waitcnt vmcnt(0)
	v_mul_f64 v[4:5], s[12:13], v[4:5]
	ds_write_b64 v3, v[4:5]
	v_add_u32_e32 v3, 0x60, v3
	s_cbranch_scc1 .LBB79_8
.LBB79_9:
	s_or_b64 exec, exec, s[4:5]
	v_mov_b32_e32 v1, 0x480
	s_cmpk_eq_i32 s8, 0x6f
	v_lshl_or_b32 v17, v0, 3, v1
	s_mov_b64 s[4:5], -1
	s_waitcnt lgkmcnt(0)
	; wave barrier
	s_cbranch_scc1 .LBB79_32
; %bb.10:
	s_add_i32 s4, s22, -1
	s_cmp_gt_i32 s10, 11
	s_mov_b32 s5, -1
	s_cbranch_scc0 .LBB79_12
; %bb.11:
	v_mov_b32_e32 v5, 0
	ds_read2_b64 v[6:9], v17 offset0:120 offset1:132
	ds_read2_b64 v[10:13], v5 offset0:119 offset1:143
	s_waitcnt lgkmcnt(0)
	v_mul_f64 v[1:2], v[8:9], v[12:13]
	ds_read_b128 v[12:15], v5 offset:1040
	s_waitcnt lgkmcnt(0)
	v_fma_f64 v[3:4], -v[1:2], v[14:15], v[6:7]
	ds_read2_b64 v[6:9], v17 offset0:96 offset1:108
	ds_read2_b64 v[18:21], v17 offset0:72 offset1:84
	ds_read_b128 v[22:25], v5 offset:848
	s_waitcnt lgkmcnt(2)
	v_fma_f64 v[26:27], -v[1:2], v[10:11], v[8:9]
	ds_read2_b64 v[8:11], v5 offset0:71 offset1:95
	s_waitcnt lgkmcnt(1)
	v_fma_f64 v[6:7], -v[1:2], v[24:25], v[6:7]
	v_mul_f64 v[3:4], v[3:4], v[12:13]
	ds_read_b128 v[12:15], v5 offset:656
	s_waitcnt lgkmcnt(1)
	v_fma_f64 v[24:25], -v[1:2], v[10:11], v[20:21]
	s_waitcnt lgkmcnt(0)
	v_fma_f64 v[10:11], -v[1:2], v[14:15], v[18:19]
	ds_read2_b64 v[18:21], v17 offset0:48 offset1:60
	v_fma_f64 v[22:23], -v[3:4], v[22:23], v[6:7]
	s_waitcnt lgkmcnt(0)
	v_fma_f64 v[20:21], -v[1:2], v[8:9], v[20:21]
	ds_read_b128 v[6:9], v5 offset:464
	s_waitcnt lgkmcnt(0)
	v_fma_f64 v[14:15], -v[1:2], v[8:9], v[18:19]
	v_fma_f64 v[18:19], -v[3:4], v[12:13], v[10:11]
	ds_read2_b64 v[8:11], v17 offset0:24 offset1:36
	v_fma_f64 v[28:29], -v[3:4], v[6:7], v[14:15]
	ds_read_b128 v[12:15], v5 offset:272
	s_waitcnt lgkmcnt(0)
	v_fma_f64 v[6:7], -v[1:2], v[14:15], v[8:9]
	v_fma_f64 v[14:15], -v[3:4], v[12:13], v[6:7]
	ds_read2_b64 v[6:9], v5 offset0:117 offset1:118
	s_waitcnt lgkmcnt(0)
	v_fma_f64 v[8:9], -v[3:4], v[8:9], v[26:27]
	v_mul_f64 v[26:27], v[8:9], v[6:7]
	ds_read2_b64 v[6:9], v5 offset0:93 offset1:94
	s_waitcnt lgkmcnt(0)
	v_fma_f64 v[8:9], -v[3:4], v[8:9], v[24:25]
	v_fma_f64 v[24:25], -v[26:27], v[6:7], v[8:9]
	ds_read2_b64 v[6:9], v5 offset0:69 offset1:70
	s_waitcnt lgkmcnt(0)
	v_fma_f64 v[8:9], -v[3:4], v[8:9], v[20:21]
	v_fma_f64 v[20:21], -v[26:27], v[6:7], v[8:9]
	ds_read2_b64 v[6:9], v5 offset0:23 offset1:47
	s_waitcnt lgkmcnt(0)
	v_fma_f64 v[12:13], -v[1:2], v[8:9], v[10:11]
	ds_read2_b64 v[8:11], v5 offset0:45 offset1:46
	s_waitcnt lgkmcnt(0)
	v_fma_f64 v[10:11], -v[3:4], v[10:11], v[12:13]
	v_fma_f64 v[30:31], -v[26:27], v[8:9], v[10:11]
	ds_read2_b64 v[8:11], v17 offset1:12
	s_waitcnt lgkmcnt(0)
	v_fma_f64 v[6:7], -v[1:2], v[6:7], v[10:11]
	ds_read2_b64 v[10:13], v5 offset0:21 offset1:22
	s_waitcnt lgkmcnt(0)
	v_fma_f64 v[6:7], -v[3:4], v[12:13], v[6:7]
	v_fma_f64 v[32:33], -v[26:27], v[10:11], v[6:7]
	ds_read_b128 v[10:13], v5 offset:80
	s_waitcnt lgkmcnt(0)
	v_fma_f64 v[6:7], -v[1:2], v[12:13], v[8:9]
	v_fma_f64 v[10:11], -v[3:4], v[10:11], v[6:7]
	ds_read_b128 v[6:9], v5 offset:832
	s_waitcnt lgkmcnt(0)
	v_fma_f64 v[8:9], -v[26:27], v[8:9], v[22:23]
	v_mul_f64 v[12:13], v[8:9], v[6:7]
	ds_read_b128 v[6:9], v5 offset:640
	s_waitcnt lgkmcnt(0)
	v_fma_f64 v[8:9], -v[26:27], v[8:9], v[18:19]
	v_fma_f64 v[18:19], -v[12:13], v[6:7], v[8:9]
	ds_read_b128 v[6:9], v5 offset:448
	s_waitcnt lgkmcnt(0)
	v_fma_f64 v[8:9], -v[26:27], v[8:9], v[28:29]
	v_fma_f64 v[22:23], -v[12:13], v[6:7], v[8:9]
	;; [unrolled: 4-line block ×4, first 2 shown]
	ds_read2_b64 v[6:9], v5 offset0:91 offset1:92
	s_waitcnt lgkmcnt(0)
	v_fma_f64 v[8:9], -v[12:13], v[8:9], v[24:25]
	v_mul_f64 v[24:25], v[8:9], v[6:7]
	ds_read2_b64 v[6:9], v5 offset0:67 offset1:68
	s_waitcnt lgkmcnt(0)
	v_fma_f64 v[8:9], -v[12:13], v[8:9], v[20:21]
	v_fma_f64 v[20:21], -v[24:25], v[6:7], v[8:9]
	ds_read2_b64 v[6:9], v5 offset0:43 offset1:44
	s_waitcnt lgkmcnt(0)
	v_fma_f64 v[8:9], -v[12:13], v[8:9], v[30:31]
	v_fma_f64 v[28:29], -v[24:25], v[6:7], v[8:9]
	;; [unrolled: 4-line block ×3, first 2 shown]
	ds_read_b128 v[6:9], v5 offset:624
	s_waitcnt lgkmcnt(0)
	v_fma_f64 v[8:9], -v[24:25], v[8:9], v[18:19]
	v_mul_f64 v[18:19], v[8:9], v[6:7]
	ds_read_b128 v[6:9], v5 offset:432
	s_waitcnt lgkmcnt(0)
	v_fma_f64 v[8:9], -v[24:25], v[8:9], v[22:23]
	v_fma_f64 v[22:23], -v[18:19], v[6:7], v[8:9]
	ds_read_b128 v[6:9], v5 offset:240
	s_waitcnt lgkmcnt(0)
	v_fma_f64 v[8:9], -v[24:25], v[8:9], v[14:15]
	v_fma_f64 v[14:15], -v[18:19], v[6:7], v[8:9]
	;; [unrolled: 4-line block ×3, first 2 shown]
	ds_read2_b64 v[6:9], v5 offset0:65 offset1:66
	s_waitcnt lgkmcnt(0)
	v_fma_f64 v[8:9], -v[18:19], v[8:9], v[20:21]
	v_mul_f64 v[20:21], v[8:9], v[6:7]
	ds_read2_b64 v[6:9], v5 offset0:41 offset1:42
	s_waitcnt lgkmcnt(0)
	v_fma_f64 v[8:9], -v[18:19], v[8:9], v[28:29]
	v_fma_f64 v[28:29], -v[20:21], v[6:7], v[8:9]
	ds_read2_b64 v[6:9], v5 offset0:17 offset1:18
	s_waitcnt lgkmcnt(0)
	v_fma_f64 v[8:9], -v[18:19], v[8:9], v[30:31]
	v_fma_f64 v[30:31], -v[20:21], v[6:7], v[8:9]
	ds_read_b128 v[6:9], v5 offset:416
	s_waitcnt lgkmcnt(0)
	v_fma_f64 v[8:9], -v[20:21], v[8:9], v[22:23]
	v_mul_f64 v[22:23], v[8:9], v[6:7]
	ds_read_b128 v[6:9], v5 offset:224
	s_waitcnt lgkmcnt(0)
	v_fma_f64 v[8:9], -v[20:21], v[8:9], v[14:15]
	v_fma_f64 v[14:15], -v[22:23], v[6:7], v[8:9]
	ds_read2_b64 v[6:9], v5 offset0:39 offset1:40
	s_waitcnt lgkmcnt(0)
	v_fma_f64 v[8:9], -v[22:23], v[8:9], v[28:29]
	v_mul_f64 v[28:29], v[8:9], v[6:7]
	ds_read2_b64 v[6:9], v5 offset0:15 offset1:16
	s_waitcnt lgkmcnt(0)
	v_fma_f64 v[8:9], -v[22:23], v[8:9], v[30:31]
	v_fma_f64 v[30:31], -v[28:29], v[6:7], v[8:9]
	ds_read_b128 v[6:9], v5 offset:208
	s_waitcnt lgkmcnt(0)
	v_fma_f64 v[8:9], -v[28:29], v[8:9], v[14:15]
	v_mul_f64 v[14:15], v[8:9], v[6:7]
	ds_read_b128 v[6:9], v5 offset:32
	s_waitcnt lgkmcnt(0)
	v_fma_f64 v[8:9], -v[20:21], v[8:9], v[10:11]
	v_fma_f64 v[10:11], -v[22:23], v[6:7], v[8:9]
	ds_read2_b64 v[6:9], v5 offset0:13 offset1:14
	s_waitcnt lgkmcnt(0)
	v_fma_f64 v[8:9], -v[14:15], v[8:9], v[30:31]
	v_mul_f64 v[30:31], v[8:9], v[6:7]
	ds_read_b128 v[6:9], v5 offset:16
	s_waitcnt lgkmcnt(0)
	v_fma_f64 v[8:9], -v[28:29], v[8:9], v[10:11]
	v_fma_f64 v[9:10], -v[14:15], v[6:7], v[8:9]
	ds_read_b128 v[5:8], v5
	s_waitcnt lgkmcnt(0)
	v_fma_f64 v[7:8], -v[30:31], v[7:8], v[9:10]
	v_mul_f64 v[5:6], v[7:8], v[5:6]
	ds_write2_b64 v17, v[3:4], v[1:2] offset0:120 offset1:132
	ds_write2_b64 v17, v[12:13], v[26:27] offset0:96 offset1:108
	;; [unrolled: 1-line block ×5, first 2 shown]
	ds_write2_b64 v17, v[5:6], v[30:31] offset1:12
	s_cmp_gt_i32 s5, -1
	s_cbranch_scc1 .LBB79_13
	s_branch .LBB79_31
.LBB79_12:
	s_mov_b32 s5, s4
	s_cmp_gt_i32 s5, -1
	s_cbranch_scc0 .LBB79_31
.LBB79_13:
	s_cmp_lt_u32 s5, 7
	s_cbranch_scc1 .LBB79_18
; %bb.14:
	s_mul_i32 s8, s5, 0x60
	v_add_u32_e32 v18, s8, v17
	v_add_u32_e32 v1, 0xffffffa0, v18
	;; [unrolled: 1-line block ×4, first 2 shown]
	ds_read_b64 v[15:16], v18
	ds_read_b64 v[13:14], v1
	;; [unrolled: 1-line block ×4, first 2 shown]
	v_add_u32_e32 v1, 0xfffffe80, v18
	v_add_u32_e32 v2, 0xfffffe20, v18
	;; [unrolled: 1-line block ×4, first 2 shown]
	ds_read_b64 v[9:10], v1
	ds_read_b64 v[5:6], v2
	;; [unrolled: 1-line block ×4, first 2 shown]
	s_cmp_le_i32 s4, s5
	s_cbranch_scc1 .LBB79_17
; %bb.15:
	s_mul_i32 s11, s22, 0x60
	v_lshl_add_u32 v19, v0, 3, s11
	s_lshl_b32 s11, s22, 3
	s_add_i32 s11, s8, s11
	v_add_u32_e32 v19, 0x420, v19
	s_addk_i32 s11, 0xfd58
	s_mov_b32 s12, s4
.LBB79_16:                              ; =>This Inner Loop Header: Depth=1
	v_mov_b32_e32 v32, s11
	ds_read_b64 v[36:37], v19
	ds_read2_b64 v[20:23], v32 offset0:72 offset1:84
	ds_read2_b64 v[24:27], v32 offset0:48 offset1:60
	;; [unrolled: 1-line block ×3, first 2 shown]
	ds_read2_b64 v[32:35], v32 offset1:12
	s_add_i32 s12, s12, -1
	s_add_i32 s11, s11, -8
	s_cmp_gt_i32 s12, s5
	s_waitcnt lgkmcnt(3)
	v_fma_f64 v[15:16], -v[36:37], v[22:23], v[15:16]
	v_fma_f64 v[13:14], -v[36:37], v[20:21], v[13:14]
	s_waitcnt lgkmcnt(2)
	v_fma_f64 v[11:12], -v[36:37], v[26:27], v[11:12]
	v_fma_f64 v[7:8], -v[36:37], v[24:25], v[7:8]
	;; [unrolled: 3-line block ×4, first 2 shown]
	v_add_u32_e32 v19, 0xffffffa0, v19
	s_cbranch_scc1 .LBB79_16
.LBB79_17:
	s_mul_i32 s11, s5, 0x68
	v_mov_b32_e32 v19, s11
	ds_read_b64 v[23:24], v19
	s_addk_i32 s8, 0xffa0
	s_lshl_b32 s11, s5, 3
	s_add_i32 s11, s8, s11
	s_add_i32 s12, s11, -8
	s_waitcnt lgkmcnt(0)
	v_mul_f64 v[33:34], v[15:16], v[23:24]
	v_mov_b32_e32 v19, s12
	ds_read2_b64 v[19:22], v19 offset1:1
	s_add_i32 s12, s11, 0xffffffa0
	s_add_i32 s13, s11, 0xffffff38
	;; [unrolled: 1-line block ×5, first 2 shown]
	s_waitcnt lgkmcnt(0)
	v_fma_f64 v[25:26], -v[33:34], v[21:22], v[13:14]
	v_mov_b32_e32 v13, s12
	ds_read_b64 v[27:28], v13
	v_mov_b32_e32 v13, s13
	v_mov_b32_e32 v21, s14
	ds_read2_b64 v[13:16], v13 offset1:1
	ds_read2_b64 v[21:24], v21 offset1:1
	s_add_i32 s12, s11, 0xffffff28
	s_waitcnt lgkmcnt(2)
	v_fma_f64 v[11:12], -v[33:34], v[27:28], v[11:12]
	v_mul_f64 v[35:36], v[25:26], v[19:20]
	v_mov_b32_e32 v19, s15
	v_mov_b32_e32 v20, s12
	s_waitcnt lgkmcnt(1)
	v_fma_f64 v[7:8], -v[33:34], v[15:16], v[7:8]
	ds_read2_b64 v[25:28], v20 offset1:1
	ds_read_b64 v[15:16], v19
	s_add_i32 s12, s11, 0xfffffe78
	v_mov_b32_e32 v19, s16
	s_waitcnt lgkmcnt(2)
	v_fma_f64 v[11:12], -v[35:36], v[23:24], v[11:12]
	ds_read2_b64 v[29:32], v19 offset1:1
	s_waitcnt lgkmcnt(1)
	v_fma_f64 v[15:16], -v[33:34], v[15:16], v[9:10]
	v_mov_b32_e32 v9, s12
	v_fma_f64 v[19:20], -v[35:36], v[13:14], v[7:8]
	ds_read2_b64 v[7:10], v9 offset1:1
	s_add_i32 s12, s11, 0xfffffec0
	s_add_i32 s5, s5, -8
	v_mul_f64 v[23:24], v[11:12], v[21:22]
	v_mov_b32_e32 v11, s12
	s_waitcnt lgkmcnt(0)
	v_fma_f64 v[5:6], -v[33:34], v[9:10], v[5:6]
	v_fma_f64 v[9:10], -v[35:36], v[31:32], v[15:16]
	s_add_i32 s12, s11, 0xfffffdb8
	v_mov_b32_e32 v21, s12
	s_add_i32 s12, s11, 0xfffffda8
	ds_read2_b64 v[11:14], v11 offset1:1
	v_fma_f64 v[15:16], -v[35:36], v[7:8], v[5:6]
	ds_read2_b64 v[5:8], v21 offset1:1
	v_fma_f64 v[29:30], -v[23:24], v[29:30], v[9:10]
	v_fma_f64 v[9:10], -v[23:24], v[27:28], v[19:20]
	v_mov_b32_e32 v19, s12
	s_add_i32 s12, s11, 0xfffffe68
	s_waitcnt lgkmcnt(0)
	v_fma_f64 v[3:4], -v[33:34], v[7:8], v[3:4]
	v_mov_b32_e32 v7, s12
	s_add_i32 s12, s11, 0xfffffe58
	ds_read2_b64 v[19:22], v19 offset1:1
	v_mul_f64 v[25:26], v[9:10], v[25:26]
	ds_read2_b64 v[7:10], v7 offset1:1
	v_fma_f64 v[27:28], -v[35:36], v[5:6], v[3:4]
	v_mov_b32_e32 v3, s12
	s_add_i32 s12, s11, 0xfffffe20
	ds_read2_b64 v[3:6], v3 offset1:1
	s_waitcnt lgkmcnt(1)
	v_fma_f64 v[9:10], -v[23:24], v[9:10], v[15:16]
	v_mov_b32_e32 v15, s12
	ds_read_b64 v[15:16], v15
	s_add_i32 s12, s11, 0xfffffe10
	v_fma_f64 v[21:22], -v[23:24], v[21:22], v[27:28]
	s_waitcnt lgkmcnt(0)
	v_fma_f64 v[1:2], -v[33:34], v[15:16], v[1:2]
	v_fma_f64 v[31:32], -v[25:26], v[7:8], v[9:10]
	v_mov_b32_e32 v7, s12
	ds_read2_b64 v[7:10], v7 offset1:1
	v_fma_f64 v[13:14], -v[25:26], v[13:14], v[29:30]
	s_add_i32 s12, s11, 0xfffffe00
	s_waitcnt lgkmcnt(0)
	v_fma_f64 v[1:2], -v[35:36], v[9:10], v[1:2]
	v_mul_f64 v[15:16], v[13:14], v[11:12]
	v_fma_f64 v[1:2], -v[23:24], v[7:8], v[1:2]
	v_mov_b32_e32 v7, s12
	ds_read2_b64 v[7:10], v7 offset1:1
	s_add_i32 s12, s11, 0xfffffdf0
	v_mov_b32_e32 v11, s12
	ds_read2_b64 v[11:14], v11 offset1:1
	v_fma_f64 v[5:6], -v[15:16], v[5:6], v[31:32]
	s_add_i32 s12, s11, 0xfffffd98
	s_waitcnt lgkmcnt(1)
	v_fma_f64 v[1:2], -v[25:26], v[9:10], v[1:2]
	v_fma_f64 v[9:10], -v[25:26], v[19:20], v[21:22]
	s_addk_i32 s11, 0xfd88
	v_mul_f64 v[21:22], v[5:6], v[3:4]
	v_mov_b32_e32 v5, s11
	v_fma_f64 v[19:20], -v[15:16], v[7:8], v[1:2]
	v_mov_b32_e32 v1, s12
	ds_read2_b64 v[1:4], v1 offset1:1
	ds_read2_b64 v[5:8], v5 offset1:1
	s_waitcnt lgkmcnt(1)
	v_fma_f64 v[3:4], -v[15:16], v[3:4], v[9:10]
	v_fma_f64 v[9:10], -v[21:22], v[13:14], v[19:20]
	v_fma_f64 v[1:2], -v[21:22], v[1:2], v[3:4]
	v_mul_f64 v[3:4], v[9:10], v[11:12]
	s_waitcnt lgkmcnt(0)
	v_fma_f64 v[1:2], -v[3:4], v[7:8], v[1:2]
	v_add_u32_e32 v7, s8, v17
	v_add_u32_e32 v8, 0xffffffa0, v7
	;; [unrolled: 1-line block ×7, first 2 shown]
	v_mul_f64 v[1:2], v[1:2], v[5:6]
	ds_write_b64 v18, v[33:34]
	ds_write_b64 v7, v[35:36]
	;; [unrolled: 1-line block ×8, first 2 shown]
.LBB79_18:
	s_cmp_lt_i32 s5, 0
	s_cbranch_scc1 .LBB79_31
; %bb.19:
	s_bitcmp1_b32 s5, 0
	s_cselect_b64 s[12:13], -1, 0
	s_and_b64 vcc, exec, s[12:13]
	s_mov_b32 s8, s5
	s_cbranch_vccnz .LBB79_24
; %bb.20:
	s_mul_i32 s8, s5, 0x60
	v_add_u32_e32 v3, s8, v17
	ds_read_b64 v[1:2], v3
	s_cmp_le_i32 s4, s5
	s_cbranch_scc1 .LBB79_23
; %bb.21:
	s_lshl_b32 s11, s22, 3
	s_add_i32 s8, s8, s11
	s_mul_i32 s11, s22, 0x60
	v_lshl_add_u32 v4, v0, 3, s11
	s_add_i32 s8, s8, -8
	v_add_u32_e32 v4, 0x420, v4
	s_mov_b32 s11, s4
.LBB79_22:                              ; =>This Inner Loop Header: Depth=1
	v_mov_b32_e32 v7, s8
	ds_read_b64 v[5:6], v4
	ds_read_b64 v[7:8], v7
	s_add_i32 s11, s11, -1
	s_add_i32 s8, s8, -8
	s_cmp_gt_i32 s11, s5
	v_add_u32_e32 v4, 0xffffffa0, v4
	s_waitcnt lgkmcnt(0)
	v_fma_f64 v[1:2], -v[5:6], v[7:8], v[1:2]
	s_cbranch_scc1 .LBB79_22
.LBB79_23:
	s_mul_i32 s8, s5, 0x68
	v_mov_b32_e32 v4, s8
	ds_read_b64 v[4:5], v4
	s_add_i32 s8, s5, -1
	s_waitcnt lgkmcnt(0)
	v_mul_f64 v[1:2], v[1:2], v[4:5]
	ds_write_b64 v3, v[1:2]
.LBB79_24:
	s_cmp_eq_u32 s5, 0
	s_cbranch_scc1 .LBB79_31
; %bb.25:
	s_mul_i32 s5, s8, 0x60
	s_lshl_b32 s11, s22, 3
	s_mul_i32 s12, s22, 0x60
	s_add_i32 s11, s5, s11
	v_lshl_add_u32 v1, v0, 3, s12
	s_add_i32 s5, s11, -8
	v_add_u32_e32 v5, 0x420, v1
	s_addk_i32 s11, 0xff98
	s_branch .LBB79_27
.LBB79_26:                              ;   in Loop: Header=BB79_27 Depth=1
	s_addk_i32 s12, 0xff98
	v_mov_b32_e32 v1, s12
	ds_read_b64 v[1:2], v1
	s_add_i32 s12, s8, -2
	s_addk_i32 s5, 0xff40
	s_addk_i32 s11, 0xff40
	s_cmp_lt_i32 s8, 2
	s_waitcnt lgkmcnt(0)
	v_mul_f64 v[1:2], v[3:4], v[1:2]
	s_mov_b32 s8, s12
	ds_write_b64 v7, v[1:2]
	s_cbranch_scc1 .LBB79_31
.LBB79_27:                              ; =>This Loop Header: Depth=1
                                        ;     Child Loop BB79_28 Depth 2
                                        ;     Child Loop BB79_30 Depth 2
	s_mul_i32 s13, s8, 0x60
	v_add_u32_e32 v6, s13, v17
	ds_read_b64 v[1:2], v6
	s_cmp_le_i32 s4, s8
	v_mov_b32_e32 v3, v5
	s_mov_b32 s12, s5
	s_mov_b32 s14, s4
	s_cbranch_scc1 .LBB79_29
.LBB79_28:                              ;   Parent Loop BB79_27 Depth=1
                                        ; =>  This Inner Loop Header: Depth=2
	v_mov_b32_e32 v4, s12
	ds_read_b64 v[7:8], v3
	ds_read_b64 v[9:10], v4
	s_add_i32 s14, s14, -1
	s_add_i32 s12, s12, -8
	s_cmp_gt_i32 s14, s8
	v_add_u32_e32 v3, 0xffffffa0, v3
	s_waitcnt lgkmcnt(0)
	v_fma_f64 v[1:2], -v[7:8], v[9:10], v[1:2]
	s_cbranch_scc1 .LBB79_28
.LBB79_29:                              ;   in Loop: Header=BB79_27 Depth=1
	s_mul_i32 s12, s8, 0x68
	v_mov_b32_e32 v3, s12
	ds_read_b64 v[8:9], v3
	s_addk_i32 s13, 0xffa0
	v_add_u32_e32 v7, s13, v17
	ds_read_b64 v[3:4], v7
	s_mov_b32 s13, s11
	s_waitcnt lgkmcnt(1)
	v_mul_f64 v[8:9], v[1:2], v[8:9]
	v_mov_b32_e32 v1, v5
	s_cmp_le_i32 s22, s8
	s_mov_b32 s14, s22
	ds_write_b64 v6, v[8:9]
	s_cbranch_scc1 .LBB79_26
.LBB79_30:                              ;   Parent Loop BB79_27 Depth=1
                                        ; =>  This Inner Loop Header: Depth=2
	v_mov_b32_e32 v2, s13
	ds_read_b64 v[8:9], v1
	ds_read_b64 v[10:11], v2
	s_add_i32 s14, s14, -1
	s_add_i32 s13, s13, -8
	s_cmp_gt_i32 s14, s8
	v_add_u32_e32 v1, 0xffffffa0, v1
	s_waitcnt lgkmcnt(0)
	v_fma_f64 v[3:4], -v[8:9], v[10:11], v[3:4]
	s_cbranch_scc1 .LBB79_30
	s_branch .LBB79_26
.LBB79_31:
	s_mov_b64 s[4:5], 0
.LBB79_32:
	s_and_b64 vcc, exec, s[4:5]
	s_cbranch_vccz .LBB79_46
; %bb.33:
	s_cmp_gt_i32 s10, 11
	s_cselect_b64 s[4:5], -1, 0
	s_and_b64 vcc, exec, s[4:5]
	s_cbranch_vccz .LBB79_35
; %bb.34:
	v_mov_b32_e32 v3, 0
	ds_read2_b64 v[4:7], v17 offset1:12
	ds_read_b128 v[8:11], v3
	ds_read2_b64 v[12:15], v17 offset0:24 offset1:36
	ds_read_b128 v[18:21], v3 offset:16
	ds_read2_b64 v[22:25], v17 offset0:48 offset1:60
	ds_read2_b64 v[26:29], v17 offset0:72 offset1:84
	s_mov_b32 s8, 12
	s_waitcnt lgkmcnt(4)
	v_mul_f64 v[1:2], v[4:5], v[8:9]
	v_fma_f64 v[30:31], -v[1:2], v[10:11], v[6:7]
	ds_read_b128 v[4:7], v3 offset:32
	ds_read_b128 v[8:11], v3 offset:48
	s_waitcnt lgkmcnt(4)
	v_fma_f64 v[12:13], -v[1:2], v[18:19], v[12:13]
	v_fma_f64 v[14:15], -v[1:2], v[20:21], v[14:15]
	s_waitcnt lgkmcnt(1)
	v_fma_f64 v[18:19], -v[1:2], v[4:5], v[22:23]
	v_fma_f64 v[20:21], -v[1:2], v[6:7], v[24:25]
	;; [unrolled: 3-line block ×3, first 2 shown]
	ds_read2_b64 v[4:7], v17 offset0:96 offset1:108
	ds_read_b128 v[8:11], v3 offset:64
	s_waitcnt lgkmcnt(0)
	v_fma_f64 v[26:27], -v[1:2], v[8:9], v[4:5]
	v_fma_f64 v[28:29], -v[1:2], v[10:11], v[6:7]
	ds_read_b128 v[4:7], v3 offset:80
	ds_read2_b64 v[8:11], v17 offset0:120 offset1:132
	s_waitcnt lgkmcnt(0)
	v_fma_f64 v[32:33], -v[1:2], v[4:5], v[8:9]
	v_fma_f64 v[34:35], -v[1:2], v[6:7], v[10:11]
	ds_read2_b64 v[4:7], v3 offset0:13 offset1:14
	s_waitcnt lgkmcnt(0)
	v_mul_f64 v[30:31], v[30:31], v[4:5]
	v_fma_f64 v[8:9], -v[30:31], v[6:7], v[12:13]
	ds_read2_b64 v[4:7], v3 offset0:15 offset1:16
	s_waitcnt lgkmcnt(0)
	v_fma_f64 v[10:11], -v[30:31], v[4:5], v[14:15]
	v_fma_f64 v[12:13], -v[30:31], v[6:7], v[18:19]
	ds_read2_b64 v[4:7], v3 offset0:17 offset1:18
	s_waitcnt lgkmcnt(0)
	v_fma_f64 v[14:15], -v[30:31], v[4:5], v[20:21]
	;; [unrolled: 4-line block ×3, first 2 shown]
	v_fma_f64 v[22:23], -v[30:31], v[6:7], v[26:27]
	ds_read_b128 v[4:7], v3 offset:208
	s_waitcnt lgkmcnt(0)
	v_mul_f64 v[24:25], v[8:9], v[4:5]
	v_fma_f64 v[26:27], -v[24:25], v[6:7], v[10:11]
	ds_read_b128 v[4:7], v3 offset:224
	ds_read_b128 v[8:11], v3 offset:256
	s_waitcnt lgkmcnt(1)
	v_fma_f64 v[12:13], -v[24:25], v[4:5], v[12:13]
	v_fma_f64 v[14:15], -v[24:25], v[6:7], v[14:15]
	ds_read_b128 v[4:7], v3 offset:240
	s_waitcnt lgkmcnt(1)
	v_fma_f64 v[22:23], -v[24:25], v[8:9], v[22:23]
	s_waitcnt lgkmcnt(0)
	v_fma_f64 v[18:19], -v[24:25], v[4:5], v[18:19]
	v_fma_f64 v[20:21], -v[24:25], v[6:7], v[20:21]
	ds_read2_b64 v[4:7], v3 offset0:21 offset1:22
	s_waitcnt lgkmcnt(0)
	v_fma_f64 v[4:5], -v[30:31], v[4:5], v[28:29]
	v_fma_f64 v[32:33], -v[30:31], v[6:7], v[32:33]
	v_fma_f64 v[28:29], -v[24:25], v[10:11], v[4:5]
	ds_read2_b64 v[4:7], v3 offset0:23 offset1:47
	ds_read_b128 v[8:11], v3 offset:272
	s_waitcnt lgkmcnt(1)
	v_fma_f64 v[4:5], -v[30:31], v[4:5], v[34:35]
	s_waitcnt lgkmcnt(0)
	v_fma_f64 v[32:33], -v[24:25], v[8:9], v[32:33]
	v_fma_f64 v[4:5], -v[24:25], v[10:11], v[4:5]
	ds_read2_b64 v[8:11], v3 offset0:39 offset1:40
	s_waitcnt lgkmcnt(0)
	v_mul_f64 v[26:27], v[26:27], v[8:9]
	v_fma_f64 v[12:13], -v[26:27], v[10:11], v[12:13]
	ds_read2_b64 v[8:11], v3 offset0:41 offset1:42
	s_waitcnt lgkmcnt(0)
	v_fma_f64 v[14:15], -v[26:27], v[8:9], v[14:15]
	v_fma_f64 v[18:19], -v[26:27], v[10:11], v[18:19]
	ds_read2_b64 v[8:11], v3 offset0:43 offset1:44
	s_waitcnt lgkmcnt(0)
	v_fma_f64 v[20:21], -v[26:27], v[8:9], v[20:21]
	;; [unrolled: 4-line block ×3, first 2 shown]
	v_fma_f64 v[28:29], -v[26:27], v[6:7], v[4:5]
	ds_read_b128 v[4:7], v3 offset:416
	v_fma_f64 v[10:11], -v[26:27], v[10:11], v[32:33]
	s_waitcnt lgkmcnt(0)
	v_mul_f64 v[12:13], v[12:13], v[4:5]
	v_fma_f64 v[14:15], -v[12:13], v[6:7], v[14:15]
	ds_read_b128 v[4:7], v3 offset:432
	s_waitcnt lgkmcnt(0)
	v_fma_f64 v[18:19], -v[12:13], v[4:5], v[18:19]
	v_fma_f64 v[20:21], -v[12:13], v[6:7], v[20:21]
	ds_read_b128 v[4:7], v3 offset:448
	s_waitcnt lgkmcnt(0)
	v_fma_f64 v[22:23], -v[12:13], v[4:5], v[22:23]
	;; [unrolled: 4-line block ×3, first 2 shown]
	v_fma_f64 v[28:29], -v[12:13], v[6:7], v[28:29]
	ds_read2_b64 v[4:7], v3 offset0:65 offset1:66
	s_waitcnt lgkmcnt(0)
	v_mul_f64 v[14:15], v[14:15], v[4:5]
	v_fma_f64 v[18:19], -v[14:15], v[6:7], v[18:19]
	ds_read2_b64 v[4:7], v3 offset0:67 offset1:68
	s_waitcnt lgkmcnt(0)
	v_fma_f64 v[20:21], -v[14:15], v[4:5], v[20:21]
	v_fma_f64 v[22:23], -v[14:15], v[6:7], v[22:23]
	ds_read2_b64 v[4:7], v3 offset0:69 offset1:70
	s_waitcnt lgkmcnt(0)
	v_fma_f64 v[8:9], -v[14:15], v[4:5], v[8:9]
	v_fma_f64 v[32:33], -v[14:15], v[6:7], v[10:11]
	ds_read_b128 v[4:7], v3 offset:624
	s_waitcnt lgkmcnt(0)
	v_mul_f64 v[18:19], v[18:19], v[4:5]
	v_fma_f64 v[20:21], -v[18:19], v[6:7], v[20:21]
	ds_read_b128 v[4:7], v3 offset:640
	s_waitcnt lgkmcnt(0)
	v_fma_f64 v[22:23], -v[18:19], v[4:5], v[22:23]
	v_fma_f64 v[34:35], -v[18:19], v[6:7], v[8:9]
	ds_read2_b64 v[4:7], v3 offset0:71 offset1:95
	ds_read_b128 v[8:11], v3 offset:656
	s_waitcnt lgkmcnt(1)
	v_fma_f64 v[4:5], -v[14:15], v[4:5], v[28:29]
	s_waitcnt lgkmcnt(0)
	v_fma_f64 v[28:29], -v[18:19], v[8:9], v[32:33]
	v_fma_f64 v[4:5], -v[18:19], v[10:11], v[4:5]
	ds_read2_b64 v[8:11], v3 offset0:91 offset1:92
	s_waitcnt lgkmcnt(0)
	v_mul_f64 v[20:21], v[20:21], v[8:9]
	v_fma_f64 v[22:23], -v[20:21], v[10:11], v[22:23]
	ds_read2_b64 v[8:11], v3 offset0:93 offset1:94
	s_waitcnt lgkmcnt(0)
	v_fma_f64 v[10:11], -v[20:21], v[10:11], v[28:29]
	v_fma_f64 v[28:29], -v[20:21], v[6:7], v[4:5]
	ds_read_b128 v[4:7], v3 offset:832
	v_fma_f64 v[8:9], -v[20:21], v[8:9], v[34:35]
	s_waitcnt lgkmcnt(0)
	v_mul_f64 v[22:23], v[22:23], v[4:5]
	v_fma_f64 v[8:9], -v[22:23], v[6:7], v[8:9]
	ds_read_b128 v[4:7], v3 offset:848
	s_waitcnt lgkmcnt(0)
	v_fma_f64 v[10:11], -v[22:23], v[4:5], v[10:11]
	v_fma_f64 v[28:29], -v[22:23], v[6:7], v[28:29]
	ds_read2_b64 v[4:7], v3 offset0:117 offset1:118
	s_waitcnt lgkmcnt(0)
	v_mul_f64 v[32:33], v[8:9], v[4:5]
	v_fma_f64 v[34:35], -v[32:33], v[6:7], v[10:11]
	ds_read2_b64 v[4:7], v3 offset0:119 offset1:143
	ds_read_b128 v[8:11], v3 offset:1040
	s_waitcnt lgkmcnt(1)
	v_fma_f64 v[4:5], -v[32:33], v[4:5], v[28:29]
	s_waitcnt lgkmcnt(0)
	v_mul_f64 v[8:9], v[34:35], v[8:9]
	v_fma_f64 v[3:4], -v[8:9], v[10:11], v[4:5]
	v_mul_f64 v[3:4], v[3:4], v[6:7]
	ds_write2_b64 v17, v[1:2], v[30:31] offset1:12
	ds_write2_b64 v17, v[24:25], v[26:27] offset0:24 offset1:36
	ds_write2_b64 v17, v[12:13], v[14:15] offset0:48 offset1:60
	ds_write2_b64 v17, v[18:19], v[20:21] offset0:72 offset1:84
	ds_write2_b64 v17, v[22:23], v[32:33] offset0:96 offset1:108
	ds_write2_b64 v17, v[8:9], v[3:4] offset0:120 offset1:132
	s_cmp_lt_i32 s8, s22
	s_cbranch_scc1 .LBB79_36
	s_branch .LBB79_46
.LBB79_35:
	s_mov_b32 s8, 0
	s_cmp_lt_i32 s8, s22
	s_cbranch_scc0 .LBB79_46
.LBB79_36:
	s_add_i32 s10, s8, 7
	s_cmp_ge_u32 s10, s22
	s_cbranch_scc1 .LBB79_41
; %bb.37:
	s_mul_i32 s10, s8, 0x60
	v_add_u32_e32 v18, s10, v17
	ds_read2_b64 v[13:16], v18 offset1:12
	ds_read2_b64 v[9:12], v18 offset0:24 offset1:36
	ds_read2_b64 v[5:8], v18 offset0:48 offset1:60
	;; [unrolled: 1-line block ×3, first 2 shown]
	s_andn2_b64 vcc, exec, s[4:5]
	s_lshl_b32 s4, s8, 3
	s_cbranch_vccnz .LBB79_40
; %bb.38:
	v_mov_b32_e32 v19, 0x480
	v_lshl_or_b32 v19, v0, 3, v19
	s_mov_b32 s5, s4
	s_mov_b32 s11, s8
.LBB79_39:                              ; =>This Inner Loop Header: Depth=1
	v_mov_b32_e32 v32, s5
	ds_read_b64 v[36:37], v19
	ds_read_b128 v[20:23], v32
	ds_read_b128 v[24:27], v32 offset:16
	ds_read_b128 v[28:31], v32 offset:32
	ds_read_b128 v[32:35], v32 offset:48
	s_add_i32 s11, s11, -1
	s_addk_i32 s5, 0x60
	s_cmp_lg_u32 s11, 0
	s_waitcnt lgkmcnt(3)
	v_fma_f64 v[13:14], -v[36:37], v[20:21], v[13:14]
	v_fma_f64 v[15:16], -v[36:37], v[22:23], v[15:16]
	s_waitcnt lgkmcnt(2)
	v_fma_f64 v[9:10], -v[36:37], v[24:25], v[9:10]
	v_fma_f64 v[11:12], -v[36:37], v[26:27], v[11:12]
	;; [unrolled: 3-line block ×4, first 2 shown]
	v_add_u32_e32 v19, 0x60, v19
	s_cbranch_scc1 .LBB79_39
.LBB79_40:
	s_add_i32 s5, s4, s10
	v_mov_b32_e32 v37, s5
	ds_read_b128 v[19:22], v37
	ds_read_b128 v[23:26], v37 offset:16
	s_add_i32 s5, s10, 0x60
	s_add_i32 s11, s4, s5
	v_mov_b32_e32 v33, s11
	s_waitcnt lgkmcnt(1)
	v_mul_f64 v[27:28], v[13:14], v[19:20]
	s_add_i32 s11, s10, 0xc0
	s_add_i32 s12, s4, s11
	v_mov_b32_e32 v38, s12
	s_add_i32 s12, s10, 0x120
	s_add_i32 s13, s4, s12
	;; [unrolled: 1-line block ×3, first 2 shown]
	v_fma_f64 v[29:30], -v[27:28], v[21:22], v[15:16]
	ds_read2_b64 v[13:16], v37 offset0:13 offset1:14
	ds_read_b128 v[19:22], v37 offset:208
	s_waitcnt lgkmcnt(2)
	v_fma_f64 v[31:32], -v[27:28], v[23:24], v[9:10]
	s_waitcnt lgkmcnt(1)
	v_mul_f64 v[13:14], v[29:30], v[13:14]
	v_fma_f64 v[29:30], -v[27:28], v[25:26], v[11:12]
	ds_read_b128 v[9:12], v37 offset:32
	ds_read_b128 v[23:26], v37 offset:48
	v_fma_f64 v[15:16], -v[13:14], v[15:16], v[31:32]
	ds_read_b64 v[31:32], v37 offset:728
	s_waitcnt lgkmcnt(1)
	v_fma_f64 v[23:24], -v[27:28], v[23:24], v[1:2]
	v_fma_f64 v[25:26], -v[27:28], v[25:26], v[3:4]
	ds_read2_b64 v[1:4], v33 offset0:5 offset1:6
	v_mul_f64 v[15:16], v[15:16], v[19:20]
	ds_read_b64 v[19:20], v33 offset:56
	v_fma_f64 v[9:10], -v[27:28], v[9:10], v[5:6]
	v_fma_f64 v[11:12], -v[27:28], v[11:12], v[7:8]
	ds_read2_b64 v[5:8], v33 offset0:3 offset1:4
	s_waitcnt lgkmcnt(2)
	v_fma_f64 v[23:24], -v[13:14], v[3:4], v[23:24]
	s_waitcnt lgkmcnt(1)
	v_fma_f64 v[19:20], -v[13:14], v[19:20], v[25:26]
	;; [unrolled: 2-line block ×3, first 2 shown]
	v_fma_f64 v[33:34], -v[13:14], v[7:8], v[9:10]
	v_fma_f64 v[35:36], -v[13:14], v[1:2], v[11:12]
	ds_read_b128 v[5:8], v38 offset:32
	ds_read_b128 v[1:4], v38 offset:48
	ds_read2_b64 v[9:12], v37 offset0:39 offset1:40
	v_fma_f64 v[21:22], -v[15:16], v[21:22], v[29:30]
	s_waitcnt lgkmcnt(2)
	v_fma_f64 v[29:30], -v[15:16], v[5:6], v[33:34]
	v_fma_f64 v[33:34], -v[15:16], v[7:8], v[35:36]
	ds_read_b128 v[5:8], v37 offset:416
	v_mov_b32_e32 v35, s13
	s_waitcnt lgkmcnt(2)
	v_fma_f64 v[1:2], -v[15:16], v[1:2], v[23:24]
	v_fma_f64 v[19:20], -v[15:16], v[3:4], v[19:20]
	s_add_i32 s13, s10, 0x180
	s_waitcnt lgkmcnt(1)
	v_mul_f64 v[21:22], v[21:22], v[9:10]
	s_add_i32 s14, s4, s13
	s_addk_i32 s10, 0x1e0
	s_add_i32 s4, s4, s10
	ds_read_b64 v[25:26], v35 offset:56
	v_fma_f64 v[29:30], -v[21:22], v[11:12], v[29:30]
	ds_read2_b64 v[9:12], v35 offset0:5 offset1:6
	s_waitcnt lgkmcnt(1)
	v_fma_f64 v[19:20], -v[21:22], v[25:26], v[19:20]
	v_mov_b32_e32 v35, s4
	s_waitcnt lgkmcnt(0)
	v_fma_f64 v[9:10], -v[21:22], v[9:10], v[33:34]
	v_mul_f64 v[23:24], v[29:30], v[5:6]
	v_fma_f64 v[29:30], -v[21:22], v[11:12], v[1:2]
	v_mov_b32_e32 v5, s14
	v_fma_f64 v[33:34], -v[23:24], v[7:8], v[9:10]
	ds_read_b128 v[1:4], v5 offset:48
	ds_read2_b64 v[5:8], v37 offset0:65 offset1:66
	ds_read_b128 v[9:12], v37 offset:624
	ds_read_b64 v[35:36], v35 offset:56
	s_waitcnt lgkmcnt(3)
	v_fma_f64 v[1:2], -v[23:24], v[1:2], v[29:30]
	v_fma_f64 v[3:4], -v[23:24], v[3:4], v[19:20]
	s_waitcnt lgkmcnt(2)
	v_mul_f64 v[5:6], v[33:34], v[5:6]
	v_fma_f64 v[1:2], -v[5:6], v[7:8], v[1:2]
	s_waitcnt lgkmcnt(0)
	v_fma_f64 v[3:4], -v[5:6], v[35:36], v[3:4]
	v_add_u32_e32 v7, s5, v17
	v_add_u32_e32 v8, s11, v17
	v_mul_f64 v[1:2], v[1:2], v[9:10]
	v_add_u32_e32 v9, s12, v17
	v_add_u32_e32 v10, s13, v17
	v_fma_f64 v[3:4], -v[1:2], v[11:12], v[3:4]
	v_add_u32_e32 v11, s10, v17
	v_mul_f64 v[3:4], v[3:4], v[31:32]
	ds_write_b64 v18, v[27:28]
	ds_write_b64 v7, v[13:14]
	;; [unrolled: 1-line block ×5, first 2 shown]
	ds_write2_b64 v11, v[5:6], v[1:2] offset1:12
	ds_write_b64 v11, v[3:4] offset:192
.LBB79_41:
	s_cmp_ge_i32 s8, s22
	s_cbranch_scc1 .LBB79_46
; %bb.42:
	v_mov_b32_e32 v1, 0x480
	s_lshl_b32 s4, s8, 3
	v_lshl_or_b32 v3, v0, 3, v1
	s_branch .LBB79_44
.LBB79_43:                              ;   in Loop: Header=BB79_44 Depth=1
	s_lshl_b32 s10, s8, 3
	s_add_i32 s5, s10, s5
	v_mov_b32_e32 v5, s5
	ds_read_b64 v[5:6], v5
	s_add_i32 s8, s8, 1
	s_add_i32 s4, s4, 8
	s_cmp_ge_i32 s8, s22
	s_waitcnt lgkmcnt(0)
	v_mul_f64 v[1:2], v[1:2], v[5:6]
	ds_write_b64 v4, v[1:2]
	s_cbranch_scc1 .LBB79_46
.LBB79_44:                              ; =>This Loop Header: Depth=1
                                        ;     Child Loop BB79_45 Depth 2
	s_mul_i32 s5, s8, 0x60
	v_add_u32_e32 v4, s5, v17
	ds_read_b64 v[1:2], v4
	s_cmp_eq_u32 s8, 0
	v_mov_b32_e32 v5, v3
	s_mov_b32 s10, s4
	s_mov_b32 s11, s8
	s_cbranch_scc1 .LBB79_43
.LBB79_45:                              ;   Parent Loop BB79_44 Depth=1
                                        ; =>  This Inner Loop Header: Depth=2
	v_mov_b32_e32 v8, s10
	ds_read_b64 v[6:7], v5
	ds_read_b64 v[8:9], v8
	s_add_i32 s11, s11, -1
	s_addk_i32 s10, 0x60
	s_cmp_lg_u32 s11, 0
	v_add_u32_e32 v5, 0x60, v5
	s_waitcnt lgkmcnt(0)
	v_fma_f64 v[1:2], -v[6:7], v[8:9], v[1:2]
	s_cbranch_scc1 .LBB79_45
	s_branch .LBB79_43
.LBB79_46:
	s_waitcnt lgkmcnt(0)
	; wave barrier
	s_and_saveexec_b64 s[4:5], s[0:1]
	s_cbranch_execz .LBB79_50
; %bb.47:
	s_andn2_b64 vcc, exec, s[2:3]
	s_cbranch_vccnz .LBB79_50
; %bb.48:
	v_mad_i64_i32 v[1:2], s[0:1], s9, v0, 0
	v_mov_b32_e32 v3, s7
	v_lshlrev_b64 v[1:2], 3, v[1:2]
	v_add_co_u32_e32 v1, vcc, s6, v1
	v_addc_co_u32_e32 v2, vcc, v3, v2, vcc
	v_mov_b32_e32 v3, 0x480
	v_lshl_or_b32 v0, v0, 3, v3
.LBB79_49:                              ; =>This Inner Loop Header: Depth=1
	ds_read_b64 v[3:4], v0
	s_add_i32 s22, s22, -1
	v_add_u32_e32 v0, 0x60, v0
	s_cmp_lg_u32 s22, 0
	s_waitcnt lgkmcnt(0)
	global_store_dwordx2 v[1:2], v[3:4], off
	v_add_co_u32_e32 v1, vcc, 8, v1
	v_addc_co_u32_e32 v2, vcc, 0, v2, vcc
	s_cbranch_scc1 .LBB79_49
.LBB79_50:
	s_endpgm
	.section	.rodata,"a",@progbits
	.p2align	6, 0x0
	.amdhsa_kernel _ZL38rocblas_trsm_small_left_device_sharedBILi12ELi12ELb1EddPKdPdEv13rocblas_fill_18rocblas_operation_17rocblas_diagonal_iiT3_T4_lilT5_lili
		.amdhsa_group_segment_fixed_size 2304
		.amdhsa_private_segment_fixed_size 0
		.amdhsa_kernarg_size 360
		.amdhsa_user_sgpr_count 6
		.amdhsa_user_sgpr_private_segment_buffer 1
		.amdhsa_user_sgpr_dispatch_ptr 0
		.amdhsa_user_sgpr_queue_ptr 0
		.amdhsa_user_sgpr_kernarg_segment_ptr 1
		.amdhsa_user_sgpr_dispatch_id 0
		.amdhsa_user_sgpr_flat_scratch_init 0
		.amdhsa_user_sgpr_private_segment_size 0
		.amdhsa_uses_dynamic_stack 0
		.amdhsa_system_sgpr_private_segment_wavefront_offset 0
		.amdhsa_system_sgpr_workgroup_id_x 1
		.amdhsa_system_sgpr_workgroup_id_y 0
		.amdhsa_system_sgpr_workgroup_id_z 1
		.amdhsa_system_sgpr_workgroup_info 0
		.amdhsa_system_vgpr_workitem_id 0
		.amdhsa_next_free_vgpr 39
		.amdhsa_next_free_sgpr 77
		.amdhsa_reserve_vcc 1
		.amdhsa_reserve_flat_scratch 0
		.amdhsa_float_round_mode_32 0
		.amdhsa_float_round_mode_16_64 0
		.amdhsa_float_denorm_mode_32 3
		.amdhsa_float_denorm_mode_16_64 3
		.amdhsa_dx10_clamp 1
		.amdhsa_ieee_mode 1
		.amdhsa_fp16_overflow 0
		.amdhsa_exception_fp_ieee_invalid_op 0
		.amdhsa_exception_fp_denorm_src 0
		.amdhsa_exception_fp_ieee_div_zero 0
		.amdhsa_exception_fp_ieee_overflow 0
		.amdhsa_exception_fp_ieee_underflow 0
		.amdhsa_exception_fp_ieee_inexact 0
		.amdhsa_exception_int_div_zero 0
	.end_amdhsa_kernel
	.section	.text._ZL38rocblas_trsm_small_left_device_sharedBILi12ELi12ELb1EddPKdPdEv13rocblas_fill_18rocblas_operation_17rocblas_diagonal_iiT3_T4_lilT5_lili,"axG",@progbits,_ZL38rocblas_trsm_small_left_device_sharedBILi12ELi12ELb1EddPKdPdEv13rocblas_fill_18rocblas_operation_17rocblas_diagonal_iiT3_T4_lilT5_lili,comdat
.Lfunc_end79:
	.size	_ZL38rocblas_trsm_small_left_device_sharedBILi12ELi12ELb1EddPKdPdEv13rocblas_fill_18rocblas_operation_17rocblas_diagonal_iiT3_T4_lilT5_lili, .Lfunc_end79-_ZL38rocblas_trsm_small_left_device_sharedBILi12ELi12ELb1EddPKdPdEv13rocblas_fill_18rocblas_operation_17rocblas_diagonal_iiT3_T4_lilT5_lili
                                        ; -- End function
	.set _ZL38rocblas_trsm_small_left_device_sharedBILi12ELi12ELb1EddPKdPdEv13rocblas_fill_18rocblas_operation_17rocblas_diagonal_iiT3_T4_lilT5_lili.num_vgpr, 39
	.set _ZL38rocblas_trsm_small_left_device_sharedBILi12ELi12ELb1EddPKdPdEv13rocblas_fill_18rocblas_operation_17rocblas_diagonal_iiT3_T4_lilT5_lili.num_agpr, 0
	.set _ZL38rocblas_trsm_small_left_device_sharedBILi12ELi12ELb1EddPKdPdEv13rocblas_fill_18rocblas_operation_17rocblas_diagonal_iiT3_T4_lilT5_lili.numbered_sgpr, 26
	.set _ZL38rocblas_trsm_small_left_device_sharedBILi12ELi12ELb1EddPKdPdEv13rocblas_fill_18rocblas_operation_17rocblas_diagonal_iiT3_T4_lilT5_lili.num_named_barrier, 0
	.set _ZL38rocblas_trsm_small_left_device_sharedBILi12ELi12ELb1EddPKdPdEv13rocblas_fill_18rocblas_operation_17rocblas_diagonal_iiT3_T4_lilT5_lili.private_seg_size, 0
	.set _ZL38rocblas_trsm_small_left_device_sharedBILi12ELi12ELb1EddPKdPdEv13rocblas_fill_18rocblas_operation_17rocblas_diagonal_iiT3_T4_lilT5_lili.uses_vcc, 1
	.set _ZL38rocblas_trsm_small_left_device_sharedBILi12ELi12ELb1EddPKdPdEv13rocblas_fill_18rocblas_operation_17rocblas_diagonal_iiT3_T4_lilT5_lili.uses_flat_scratch, 0
	.set _ZL38rocblas_trsm_small_left_device_sharedBILi12ELi12ELb1EddPKdPdEv13rocblas_fill_18rocblas_operation_17rocblas_diagonal_iiT3_T4_lilT5_lili.has_dyn_sized_stack, 0
	.set _ZL38rocblas_trsm_small_left_device_sharedBILi12ELi12ELb1EddPKdPdEv13rocblas_fill_18rocblas_operation_17rocblas_diagonal_iiT3_T4_lilT5_lili.has_recursion, 0
	.set _ZL38rocblas_trsm_small_left_device_sharedBILi12ELi12ELb1EddPKdPdEv13rocblas_fill_18rocblas_operation_17rocblas_diagonal_iiT3_T4_lilT5_lili.has_indirect_call, 0
	.section	.AMDGPU.csdata,"",@progbits
; Kernel info:
; codeLenInByte = 6076
; TotalNumSgprs: 30
; NumVgprs: 39
; ScratchSize: 0
; MemoryBound: 0
; FloatMode: 240
; IeeeMode: 1
; LDSByteSize: 2304 bytes/workgroup (compile time only)
; SGPRBlocks: 10
; VGPRBlocks: 9
; NumSGPRsForWavesPerEU: 81
; NumVGPRsForWavesPerEU: 39
; Occupancy: 6
; WaveLimiterHint : 0
; COMPUTE_PGM_RSRC2:SCRATCH_EN: 0
; COMPUTE_PGM_RSRC2:USER_SGPR: 6
; COMPUTE_PGM_RSRC2:TRAP_HANDLER: 0
; COMPUTE_PGM_RSRC2:TGID_X_EN: 1
; COMPUTE_PGM_RSRC2:TGID_Y_EN: 0
; COMPUTE_PGM_RSRC2:TGID_Z_EN: 1
; COMPUTE_PGM_RSRC2:TIDIG_COMP_CNT: 0
	.section	.text._ZL30rocblas_trsm_small_left_deviceILi12ELi12ELb1EddPKdPdEv13rocblas_fill_18rocblas_operation_17rocblas_diagonal_iiT3_T4_lilT5_lili,"axG",@progbits,_ZL30rocblas_trsm_small_left_deviceILi12ELi12ELb1EddPKdPdEv13rocblas_fill_18rocblas_operation_17rocblas_diagonal_iiT3_T4_lilT5_lili,comdat
	.globl	_ZL30rocblas_trsm_small_left_deviceILi12ELi12ELb1EddPKdPdEv13rocblas_fill_18rocblas_operation_17rocblas_diagonal_iiT3_T4_lilT5_lili ; -- Begin function _ZL30rocblas_trsm_small_left_deviceILi12ELi12ELb1EddPKdPdEv13rocblas_fill_18rocblas_operation_17rocblas_diagonal_iiT3_T4_lilT5_lili
	.p2align	8
	.type	_ZL30rocblas_trsm_small_left_deviceILi12ELi12ELb1EddPKdPdEv13rocblas_fill_18rocblas_operation_17rocblas_diagonal_iiT3_T4_lilT5_lili,@function
_ZL30rocblas_trsm_small_left_deviceILi12ELi12ELb1EddPKdPdEv13rocblas_fill_18rocblas_operation_17rocblas_diagonal_iiT3_T4_lilT5_lili: ; @_ZL30rocblas_trsm_small_left_deviceILi12ELi12ELb1EddPKdPdEv13rocblas_fill_18rocblas_operation_17rocblas_diagonal_iiT3_T4_lilT5_lili
; %bb.0:
	s_load_dwordx4 s[8:11], s[4:5], 0x4
	s_load_dwordx4 s[0:3], s[4:5], 0x18
	s_load_dwordx2 s[20:21], s[4:5], 0x28
	s_load_dwordx4 s[12:15], s[4:5], 0x38
	s_load_dwordx2 s[16:17], s[4:5], 0x48
	s_waitcnt lgkmcnt(0)
	s_min_i32 s22, s10, 12
	v_cmp_gt_i32_e32 vcc, s22, v0
	s_and_saveexec_b64 s[18:19], vcc
	s_cbranch_execz .LBB80_6
; %bb.1:
	s_load_dword s24, s[4:5], 0x30
	s_mul_i32 s13, s13, s7
	s_mul_hi_u32 s23, s12, s7
	s_mul_i32 s12, s12, s7
	s_add_i32 s13, s23, s13
	s_waitcnt lgkmcnt(0)
	s_ashr_i32 s25, s24, 31
	s_lshl_b64 s[12:13], s[12:13], 3
	s_add_u32 s12, s2, s12
	s_addc_u32 s13, s3, s13
	s_lshl_b64 s[2:3], s[20:21], 3
	s_add_u32 s2, s12, s2
	s_addc_u32 s3, s13, s3
	v_lshlrev_b32_e32 v3, 3, v0
	v_mov_b32_e32 v2, s3
	v_add_co_u32_e32 v1, vcc, s2, v3
	s_lshl_b64 s[2:3], s[24:25], 3
	v_addc_co_u32_e32 v2, vcc, 0, v2, vcc
	v_mov_b32_e32 v4, s3
	v_mov_b32_e32 v5, v3
	s_mov_b32 s3, s22
.LBB80_2:                               ; =>This Inner Loop Header: Depth=1
	global_load_dwordx2 v[6:7], v[1:2], off
	v_add_co_u32_e32 v1, vcc, s2, v1
	s_add_i32 s3, s3, -1
	v_addc_co_u32_e32 v2, vcc, v2, v4, vcc
	s_cmp_eq_u32 s3, 0
	s_waitcnt vmcnt(0)
	ds_write_b64 v5, v[6:7]
	v_add_u32_e32 v5, 0x60, v5
	s_cbranch_scc0 .LBB80_2
; %bb.3:
	v_mul_u32_u24_e32 v4, 0x60, v0
	v_mov_b32_e32 v1, 0
	s_cmpk_lg_i32 s9, 0x84
	v_mov_b32_e32 v2, 0x3ff00000
	v_add_u32_e32 v3, v3, v4
	s_cbranch_scc0 .LBB80_5
; %bb.4:
	ds_read_b64 v[1:2], v3
	s_waitcnt lgkmcnt(0)
	v_div_scale_f64 v[4:5], s[2:3], v[1:2], v[1:2], 1.0
	v_div_scale_f64 v[10:11], vcc, 1.0, v[1:2], 1.0
	v_rcp_f64_e32 v[6:7], v[4:5]
	v_fma_f64 v[8:9], -v[4:5], v[6:7], 1.0
	v_fma_f64 v[6:7], v[6:7], v[8:9], v[6:7]
	v_fma_f64 v[8:9], -v[4:5], v[6:7], 1.0
	v_fma_f64 v[6:7], v[6:7], v[8:9], v[6:7]
	v_mul_f64 v[8:9], v[10:11], v[6:7]
	v_fma_f64 v[4:5], -v[4:5], v[8:9], v[10:11]
	v_div_fmas_f64 v[4:5], v[4:5], v[6:7], v[8:9]
	v_div_fixup_f64 v[1:2], v[4:5], v[1:2], 1.0
.LBB80_5:
	ds_write_b64 v3, v[1:2]
.LBB80_6:
	s_or_b64 exec, exec, s[18:19]
	s_load_dword s2, s[4:5], 0x68
	s_mul_i32 s3, s6, -12
	s_add_i32 s3, s11, s3
	s_waitcnt lgkmcnt(0)
	; wave barrier
	s_add_i32 s2, s2, -1
	s_cmp_ge_u32 s6, s2
	s_cselect_b32 s2, s3, 12
	v_cmp_gt_i32_e32 vcc, s2, v0
	s_and_saveexec_b64 s[2:3], vcc
	s_cbranch_execz .LBB80_44
; %bb.7:
	s_load_dwordx2 s[2:3], s[4:5], 0x58
	s_load_dword s9, s[4:5], 0x50
	s_waitcnt lgkmcnt(0)
	s_mul_i32 s3, s3, s7
	s_mul_hi_u32 s4, s2, s7
	s_add_i32 s3, s4, s3
	v_mad_u64_u32 v[0:1], s[4:5], s6, 12, v[0:1]
	s_mul_i32 s2, s2, s7
	s_lshl_b64 s[2:3], s[2:3], 3
	s_add_u32 s4, s14, s2
	s_addc_u32 s5, s15, s3
	v_mad_i64_i32 v[0:1], s[2:3], s9, v0, 0
	s_lshl_b64 s[2:3], s[16:17], 3
	s_add_u32 s2, s4, s2
	v_lshlrev_b64 v[0:1], 3, v[0:1]
	s_addc_u32 s3, s5, s3
	v_mov_b32_e32 v2, s3
	v_add_co_u32_e32 v0, vcc, s2, v0
	v_addc_co_u32_e32 v1, vcc, v2, v1, vcc
	s_cmpk_eq_i32 s8, 0x6f
	s_mov_b64 s[2:3], -1
	s_cbranch_scc1 .LBB80_30
; %bb.8:
	s_add_i32 s11, s22, -1
	s_cmp_gt_i32 s10, 11
	s_mov_b32 s2, -1
	s_cbranch_scc0 .LBB80_10
; %bb.9:
	global_load_dwordx4 v[2:5], v[0:1], off offset:80
	global_load_dwordx4 v[6:9], v[0:1], off offset:64
	;; [unrolled: 1-line block ×4, first 2 shown]
	v_mov_b32_e32 v46, 0
	ds_read2_b64 v[18:21], v46 offset0:119 offset1:143
	s_waitcnt vmcnt(3)
	v_mul_f64 v[4:5], s[0:1], v[4:5]
	s_waitcnt lgkmcnt(0)
	v_mul_f64 v[4:5], v[4:5], v[20:21]
	ds_read_b128 v[20:23], v46 offset:1040
	ds_read2_b64 v[24:27], v46 offset0:117 offset1:118
	ds_read_b128 v[28:31], v46 offset:848
	ds_read_b128 v[32:35], v46 offset:832
	s_waitcnt lgkmcnt(3)
	v_mul_f64 v[22:23], v[4:5], v[22:23]
	v_mul_f64 v[18:19], v[4:5], v[18:19]
	v_fma_f64 v[2:3], s[0:1], v[2:3], -v[22:23]
	s_waitcnt lgkmcnt(1)
	v_mul_f64 v[22:23], v[4:5], v[30:31]
	s_waitcnt vmcnt(2)
	v_fma_f64 v[8:9], s[0:1], v[8:9], -v[18:19]
	v_mul_f64 v[2:3], v[2:3], v[20:21]
	v_fma_f64 v[6:7], s[0:1], v[6:7], -v[22:23]
	v_fma_f64 v[8:9], -v[2:3], v[26:27], v[8:9]
	v_fma_f64 v[6:7], -v[2:3], v[28:29], v[6:7]
	v_mul_f64 v[8:9], v[8:9], v[24:25]
	s_waitcnt lgkmcnt(0)
	v_fma_f64 v[6:7], -v[8:9], v[34:35], v[6:7]
	ds_read2_b64 v[18:21], v46 offset0:71 offset1:95
	ds_read_b128 v[22:25], v46 offset:464
	ds_read_b128 v[26:29], v46 offset:656
	;; [unrolled: 1-line block ×3, first 2 shown]
	s_waitcnt lgkmcnt(3)
	v_mul_f64 v[20:21], v[4:5], v[20:21]
	s_waitcnt lgkmcnt(2)
	v_mul_f64 v[24:25], v[4:5], v[24:25]
	;; [unrolled: 2-line block ×3, first 2 shown]
	v_mul_f64 v[18:19], v[4:5], v[18:19]
	v_mul_f64 v[6:7], v[6:7], v[32:33]
	ds_read_b128 v[30:33], v46 offset:448
	s_waitcnt vmcnt(1)
	v_fma_f64 v[20:21], s[0:1], v[12:13], -v[20:21]
	s_waitcnt vmcnt(0)
	v_fma_f64 v[24:25], s[0:1], v[14:15], -v[24:25]
	v_fma_f64 v[28:29], s[0:1], v[10:11], -v[28:29]
	ds_read2_b64 v[10:13], v46 offset0:93 offset1:94
	v_fma_f64 v[38:39], s[0:1], v[16:17], -v[18:19]
	ds_read2_b64 v[14:17], v46 offset0:91 offset1:92
	s_waitcnt lgkmcnt(1)
	v_fma_f64 v[12:13], -v[2:3], v[12:13], v[20:21]
	global_load_dwordx4 v[18:21], v[0:1], off offset:16
	v_fma_f64 v[26:27], -v[2:3], v[26:27], v[28:29]
	v_fma_f64 v[28:29], -v[2:3], v[22:23], v[24:25]
	ds_read2_b64 v[22:25], v46 offset0:69 offset1:70
	v_fma_f64 v[40:41], -v[8:9], v[10:11], v[12:13]
	s_waitcnt lgkmcnt(0)
	v_fma_f64 v[24:25], -v[2:3], v[24:25], v[38:39]
	v_fma_f64 v[26:27], -v[8:9], v[36:37], v[26:27]
	ds_read_b128 v[10:13], v46 offset:624
	v_fma_f64 v[32:33], -v[8:9], v[32:33], v[28:29]
	v_fma_f64 v[16:17], -v[6:7], v[16:17], v[40:41]
	;; [unrolled: 1-line block ×3, first 2 shown]
	global_load_dwordx4 v[22:25], v[0:1], off
	v_fma_f64 v[34:35], -v[6:7], v[34:35], v[26:27]
	ds_read2_b64 v[26:29], v46 offset0:67 offset1:68
	v_mul_f64 v[14:15], v[16:17], v[14:15]
	v_fma_f64 v[16:17], -v[6:7], v[30:31], v[32:33]
	ds_read2_b64 v[30:33], v46 offset0:65 offset1:66
	s_waitcnt lgkmcnt(1)
	v_fma_f64 v[28:29], -v[6:7], v[28:29], v[36:37]
	v_fma_f64 v[12:13], -v[14:15], v[12:13], v[34:35]
	v_fma_f64 v[38:39], -v[14:15], v[26:27], v[28:29]
	ds_read_b128 v[26:29], v46 offset:432
	ds_read_b128 v[34:37], v46 offset:416
	v_mul_f64 v[12:13], v[12:13], v[10:11]
	s_waitcnt lgkmcnt(1)
	v_fma_f64 v[10:11], -v[14:15], v[28:29], v[16:17]
	v_fma_f64 v[16:17], -v[12:13], v[32:33], v[38:39]
	;; [unrolled: 1-line block ×3, first 2 shown]
	v_mul_f64 v[28:29], v[16:17], v[30:31]
	s_waitcnt lgkmcnt(0)
	v_fma_f64 v[10:11], -v[28:29], v[36:37], v[10:11]
	ds_read_b128 v[30:33], v46 offset:272
	ds_read2_b64 v[36:39], v46 offset0:23 offset1:47
	ds_read_b128 v[40:43], v46 offset:256
	s_waitcnt lgkmcnt(1)
	v_mul_f64 v[16:17], v[4:5], v[38:39]
	v_mul_f64 v[26:27], v[10:11], v[34:35]
	;; [unrolled: 1-line block ×3, first 2 shown]
	ds_read_b128 v[32:35], v46 offset:64
	s_waitcnt vmcnt(1)
	v_fma_f64 v[10:11], s[0:1], v[18:19], -v[10:11]
	v_fma_f64 v[38:39], s[0:1], v[20:21], -v[16:17]
	ds_read_b128 v[16:19], v46 offset:80
	v_mul_f64 v[20:21], v[4:5], v[36:37]
	s_waitcnt lgkmcnt(0)
	v_mul_f64 v[18:19], v[4:5], v[18:19]
	v_fma_f64 v[10:11], -v[2:3], v[30:31], v[10:11]
	s_waitcnt vmcnt(0)
	v_fma_f64 v[22:23], s[0:1], v[22:23], -v[18:19]
	v_fma_f64 v[36:37], s[0:1], v[24:25], -v[20:21]
	ds_read2_b64 v[18:21], v46 offset0:45 offset1:46
	v_fma_f64 v[30:31], -v[2:3], v[16:17], v[22:23]
	ds_read2_b64 v[22:25], v46 offset0:43 offset1:44
	s_waitcnt lgkmcnt(1)
	v_fma_f64 v[16:17], -v[2:3], v[20:21], v[38:39]
	v_fma_f64 v[30:31], -v[8:9], v[34:35], v[30:31]
	;; [unrolled: 1-line block ×3, first 2 shown]
	ds_read2_b64 v[16:19], v46 offset0:21 offset1:22
	v_fma_f64 v[10:11], -v[8:9], v[42:43], v[10:11]
	s_waitcnt lgkmcnt(0)
	v_fma_f64 v[18:19], -v[2:3], v[18:19], v[36:37]
	ds_read_b128 v[34:37], v46 offset:240
	v_fma_f64 v[20:21], -v[6:7], v[24:25], v[20:21]
	v_fma_f64 v[42:43], -v[6:7], v[32:33], v[30:31]
	v_fma_f64 v[10:11], -v[6:7], v[40:41], v[10:11]
	ds_read2_b64 v[30:33], v46 offset0:17 offset1:18
	v_fma_f64 v[38:39], -v[8:9], v[16:17], v[18:19]
	ds_read2_b64 v[16:19], v46 offset0:19 offset1:20
	s_waitcnt lgkmcnt(0)
	v_fma_f64 v[24:25], -v[6:7], v[18:19], v[38:39]
	v_fma_f64 v[38:39], -v[14:15], v[22:23], v[20:21]
	ds_read_b128 v[18:21], v46 offset:224
	v_fma_f64 v[10:11], -v[14:15], v[36:37], v[10:11]
	v_fma_f64 v[16:17], -v[14:15], v[16:17], v[24:25]
	ds_read2_b64 v[22:25], v46 offset0:41 offset1:42
	v_fma_f64 v[10:11], -v[12:13], v[34:35], v[10:11]
	ds_read2_b64 v[34:37], v46 offset0:39 offset1:40
	s_waitcnt lgkmcnt(1)
	v_fma_f64 v[24:25], -v[12:13], v[24:25], v[38:39]
	v_fma_f64 v[16:17], -v[12:13], v[32:33], v[16:17]
	;; [unrolled: 1-line block ×4, first 2 shown]
	ds_read_b128 v[22:25], v46 offset:48
	ds_read_b128 v[38:41], v46 offset:32
	v_fma_f64 v[16:17], -v[28:29], v[30:31], v[16:17]
	s_waitcnt lgkmcnt(1)
	v_fma_f64 v[24:25], -v[14:15], v[24:25], v[42:43]
	v_fma_f64 v[10:11], -v[26:27], v[18:19], v[10:11]
	;; [unrolled: 1-line block ×4, first 2 shown]
	v_mul_f64 v[18:19], v[20:21], v[34:35]
	s_waitcnt lgkmcnt(0)
	v_fma_f64 v[24:25], -v[28:29], v[40:41], v[22:23]
	ds_read_b128 v[20:23], v46 offset:208
	ds_read2_b64 v[30:33], v46 offset0:15 offset1:16
	ds_read2_b64 v[34:37], v46 offset0:13 offset1:14
	s_waitcnt lgkmcnt(2)
	v_fma_f64 v[10:11], -v[18:19], v[22:23], v[10:11]
	s_waitcnt lgkmcnt(1)
	v_fma_f64 v[22:23], -v[26:27], v[32:33], v[16:17]
	v_fma_f64 v[24:25], -v[26:27], v[38:39], v[24:25]
	v_mul_f64 v[16:17], v[10:11], v[20:21]
	v_fma_f64 v[10:11], -v[18:19], v[30:31], v[22:23]
	ds_read_b128 v[20:23], v46 offset:16
	ds_read_b128 v[30:33], v46
	s_waitcnt lgkmcnt(1)
	v_fma_f64 v[22:23], -v[18:19], v[22:23], v[24:25]
	v_fma_f64 v[10:11], -v[16:17], v[36:37], v[10:11]
	;; [unrolled: 1-line block ×3, first 2 shown]
	v_mul_f64 v[22:23], v[10:11], v[34:35]
	s_waitcnt lgkmcnt(0)
	v_fma_f64 v[10:11], -v[22:23], v[32:33], v[20:21]
	v_mul_f64 v[20:21], v[10:11], v[30:31]
	global_store_dwordx4 v[0:1], v[2:5], off offset:80
	global_store_dwordx4 v[0:1], v[6:9], off offset:64
	;; [unrolled: 1-line block ×5, first 2 shown]
	global_store_dwordx4 v[0:1], v[20:23], off
	s_cmp_gt_i32 s2, -1
	s_cbranch_scc1 .LBB80_11
	s_branch .LBB80_29
.LBB80_10:
	s_mov_b32 s2, s11
	s_cmp_gt_i32 s2, -1
	s_cbranch_scc0 .LBB80_29
.LBB80_11:
	s_cmp_lt_u32 s2, 7
	s_cbranch_scc1 .LBB80_16
; %bb.12:
	s_mov_b32 s5, 0
	s_mov_b32 s3, s5
	s_lshl_b64 s[6:7], s[2:3], 3
	v_mov_b32_e32 v2, s7
	v_add_co_u32_e32 v4, vcc, s6, v0
	v_addc_co_u32_e32 v5, vcc, v1, v2, vcc
	global_load_dwordx4 v[6:9], v[4:5], off offset:-8
	global_load_dwordx4 v[10:13], v[4:5], off offset:-24
	global_load_dwordx4 v[20:23], v[4:5], off offset:-40
	global_load_dwordx4 v[24:27], v[4:5], off offset:-56
	s_cmp_le_i32 s11, s2
	s_waitcnt vmcnt(3)
	v_mul_f64 v[18:19], s[0:1], v[8:9]
	v_mul_f64 v[16:17], s[0:1], v[6:7]
	s_waitcnt vmcnt(2)
	v_mul_f64 v[14:15], s[0:1], v[12:13]
	v_mul_f64 v[12:13], s[0:1], v[10:11]
	s_waitcnt vmcnt(1)
	v_mul_f64 v[10:11], s[0:1], v[22:23]
	v_mul_f64 v[8:9], s[0:1], v[20:21]
	s_waitcnt vmcnt(0)
	v_mul_f64 v[6:7], s[0:1], v[26:27]
	v_mul_f64 v[2:3], s[0:1], v[24:25]
	s_cbranch_scc1 .LBB80_15
; %bb.13:
	s_mul_i32 s3, s2, 0x60
	s_lshl_b32 s4, s22, 3
	s_add_i32 s3, s3, s4
	s_addk_i32 s3, 0xfd58
	s_mov_b32 s4, s11
.LBB80_14:                              ; =>This Inner Loop Header: Depth=1
	s_lshl_b64 s[6:7], s[4:5], 3
	v_mov_b32_e32 v21, s7
	v_add_co_u32_e32 v20, vcc, s6, v0
	v_addc_co_u32_e32 v21, vcc, v1, v21, vcc
	global_load_dwordx2 v[36:37], v[20:21], off
	v_mov_b32_e32 v32, s3
	ds_read2_b64 v[20:23], v32 offset0:72 offset1:84
	ds_read2_b64 v[24:27], v32 offset0:48 offset1:60
	;; [unrolled: 1-line block ×3, first 2 shown]
	ds_read2_b64 v[32:35], v32 offset1:12
	s_add_i32 s4, s4, -1
	s_add_i32 s3, s3, -8
	s_cmp_gt_i32 s4, s2
	s_waitcnt vmcnt(0) lgkmcnt(3)
	v_fma_f64 v[18:19], -v[36:37], v[22:23], v[18:19]
	v_fma_f64 v[16:17], -v[36:37], v[20:21], v[16:17]
	s_waitcnt lgkmcnt(2)
	v_fma_f64 v[14:15], -v[36:37], v[26:27], v[14:15]
	v_fma_f64 v[12:13], -v[36:37], v[24:25], v[12:13]
	s_waitcnt lgkmcnt(1)
	;; [unrolled: 3-line block ×3, first 2 shown]
	v_fma_f64 v[6:7], -v[36:37], v[34:35], v[6:7]
	v_fma_f64 v[2:3], -v[36:37], v[32:33], v[2:3]
	s_cbranch_scc1 .LBB80_14
.LBB80_15:
	s_mul_i32 s3, s2, 0x68
	v_mov_b32_e32 v20, s3
	ds_read_b64 v[24:25], v20
	s_add_i32 s4, s2, -1
	s_mul_i32 s3, s4, 0x60
	s_lshl_b32 s5, s4, 3
	s_add_i32 s5, s3, s5
	s_waitcnt lgkmcnt(0)
	v_mul_f64 v[26:27], v[18:19], v[24:25]
	v_mov_b32_e32 v20, s5
	ds_read2_b64 v[20:23], v20 offset1:1
	s_lshl_b32 s18, s2, 3
	s_add_i32 s8, s3, 0xffffffa0
	s_add_i32 s9, s8, s18
	s_mov_b32 s5, 0
	s_lshl_b64 s[6:7], s[4:5], 3
	s_waitcnt lgkmcnt(0)
	v_fma_f64 v[22:23], -v[26:27], v[22:23], v[16:17]
	v_mov_b32_e32 v16, s9
	ds_read_b64 v[24:25], v16
	s_add_i32 s4, s2, -2
	s_lshl_b32 s9, s4, 3
	s_add_i32 s8, s8, s9
	v_mov_b32_e32 v16, s8
	s_waitcnt lgkmcnt(0)
	v_fma_f64 v[14:15], -v[26:27], v[24:25], v[14:15]
	v_mul_f64 v[28:29], v[22:23], v[20:21]
	ds_read2_b64 v[16:19], v16 offset1:1
	s_add_i32 s12, s3, 0xffffff40
	s_add_i32 s13, s12, s18
	s_add_i32 s13, s13, -8
	v_mov_b32_e32 v20, s13
	s_lshl_b64 s[8:9], s[4:5], 3
	s_add_i32 s4, s2, -3
	s_waitcnt lgkmcnt(0)
	v_fma_f64 v[14:15], -v[28:29], v[18:19], v[14:15]
	ds_read2_b64 v[18:21], v20 offset1:1
	s_lshl_b32 s13, s4, 3
	s_add_i32 s12, s12, s13
	s_add_i32 s14, s3, 0xfffffee0
	v_mov_b32_e32 v22, s12
	s_add_i32 s12, s14, s18
	s_waitcnt lgkmcnt(0)
	v_fma_f64 v[20:21], -v[26:27], v[20:21], v[12:13]
	v_mov_b32_e32 v12, s12
	ds_read_b64 v[30:31], v12
	s_add_i32 s12, s12, -16
	v_mov_b32_e32 v12, s12
	v_mul_f64 v[32:33], v[14:15], v[16:17]
	ds_read2_b64 v[12:15], v12 offset1:1
	s_waitcnt lgkmcnt(1)
	v_fma_f64 v[10:11], -v[26:27], v[30:31], v[10:11]
	v_fma_f64 v[16:17], -v[28:29], v[18:19], v[20:21]
	ds_read2_b64 v[22:25], v22 offset1:1
	s_add_i32 s16, s3, 0xfffffe80
	s_add_i32 s17, s16, s18
	s_add_i32 s15, s17, -8
	s_lshl_b64 s[12:13], s[4:5], 3
	s_add_i32 s4, s2, -4
	s_waitcnt lgkmcnt(1)
	v_fma_f64 v[10:11], -v[28:29], v[14:15], v[10:11]
	s_sub_i32 s17, s17, 24
	s_add_i32 s19, s3, 0xfffffe20
	s_add_i32 s20, s19, s18
	s_addk_i32 s3, 0xfdc0
	s_add_i32 s18, s3, s18
	s_add_i32 s21, s18, -8
	global_store_dwordx2 v[4:5], v[26:27], off
	v_fma_f64 v[18:19], -v[32:33], v[12:13], v[10:11]
	v_mov_b32_e32 v10, s15
	ds_read2_b64 v[10:13], v10 offset1:1
	s_waitcnt lgkmcnt(1)
	v_fma_f64 v[14:15], -v[32:33], v[24:25], v[16:17]
	s_lshl_b32 s15, s4, 3
	s_add_i32 s14, s14, s15
	v_mov_b32_e32 v4, s21
	s_waitcnt lgkmcnt(0)
	v_fma_f64 v[8:9], -v[26:27], v[12:13], v[8:9]
	s_sub_i32 s21, s18, 24
	v_mul_f64 v[22:23], v[14:15], v[22:23]
	v_mov_b32_e32 v14, s14
	ds_read2_b64 v[14:17], v14 offset1:1
	s_lshl_b64 s[14:15], s[4:5], 3
	v_fma_f64 v[12:13], -v[28:29], v[10:11], v[8:9]
	v_mov_b32_e32 v8, s17
	ds_read2_b64 v[8:11], v8 offset1:1
	s_add_i32 s4, s2, -5
	s_waitcnt lgkmcnt(1)
	v_fma_f64 v[20:21], -v[22:23], v[16:17], v[18:19]
	v_mov_b32_e32 v16, s20
	ds_read_b64 v[24:25], v16
	s_lshl_b32 s17, s4, 3
	s_add_i32 s16, s16, s17
	v_mov_b32_e32 v16, s16
	s_add_i32 s16, s20, -16
	s_waitcnt lgkmcnt(0)
	v_fma_f64 v[6:7], -v[26:27], v[24:25], v[6:7]
	v_fma_f64 v[30:31], -v[32:33], v[10:11], v[12:13]
	v_mov_b32_e32 v10, s16
	ds_read2_b64 v[16:19], v16 offset1:1
	ds_read2_b64 v[10:13], v10 offset1:1
	v_mul_f64 v[24:25], v[20:21], v[14:15]
	s_sub_i32 s20, s20, 32
	s_lshl_b64 s[16:17], s[4:5], 3
	s_add_i32 s4, s2, -6
	s_waitcnt lgkmcnt(0)
	v_fma_f64 v[6:7], -v[28:29], v[12:13], v[6:7]
	v_fma_f64 v[8:9], -v[22:23], v[8:9], v[30:31]
	;; [unrolled: 1-line block ×3, first 2 shown]
	ds_read2_b64 v[4:7], v4 offset1:1
	v_fma_f64 v[30:31], -v[24:25], v[18:19], v[8:9]
	v_mov_b32_e32 v8, s21
	ds_read2_b64 v[8:11], v8 offset1:1
	s_waitcnt lgkmcnt(1)
	v_fma_f64 v[2:3], -v[26:27], v[6:7], v[2:3]
	v_mov_b32_e32 v6, s20
	ds_read2_b64 v[12:15], v6 offset1:1
	s_lshl_b32 s20, s4, 3
	s_add_i32 s19, s19, s20
	v_mov_b32_e32 v6, s19
	ds_read2_b64 v[18:21], v6 offset1:1
	s_waitcnt lgkmcnt(1)
	v_fma_f64 v[6:7], -v[22:23], v[14:15], v[34:35]
	v_fma_f64 v[2:3], -v[28:29], v[4:5], v[2:3]
	v_mov_b32_e32 v5, s7
	v_add_co_u32_e32 v4, vcc, s6, v0
	v_addc_co_u32_e32 v5, vcc, v1, v5, vcc
	global_store_dwordx2 v[4:5], v[28:29], off
	v_mul_f64 v[14:15], v[30:31], v[16:17]
	v_fma_f64 v[2:3], -v[32:33], v[10:11], v[2:3]
	v_fma_f64 v[4:5], -v[24:25], v[12:13], v[6:7]
	v_add_co_u32_e32 v6, vcc, s8, v0
	s_sub_i32 s8, s18, 40
	s_lshl_b64 s[6:7], s[4:5], 3
	s_add_i32 s4, s2, -7
	v_mov_b32_e32 v7, s9
	v_fma_f64 v[12:13], -v[22:23], v[8:9], v[2:3]
	v_mov_b32_e32 v2, s8
	s_waitcnt lgkmcnt(0)
	v_fma_f64 v[10:11], -v[14:15], v[20:21], v[4:5]
	ds_read2_b64 v[2:5], v2 offset1:1
	s_lshl_b32 s8, s4, 3
	v_addc_co_u32_e32 v7, vcc, v1, v7, vcc
	s_add_i32 s3, s3, s8
	global_store_dwordx2 v[6:7], v[32:33], off
	v_mov_b32_e32 v6, s3
	ds_read2_b64 v[6:9], v6 offset1:1
	s_waitcnt lgkmcnt(1)
	v_fma_f64 v[4:5], -v[24:25], v[4:5], v[12:13]
	v_mul_f64 v[10:11], v[10:11], v[18:19]
	v_mov_b32_e32 v13, s13
	v_add_co_u32_e32 v12, vcc, s12, v0
	v_addc_co_u32_e32 v13, vcc, v1, v13, vcc
	s_lshl_b64 s[4:5], s[4:5], 3
	v_fma_f64 v[2:3], -v[14:15], v[2:3], v[4:5]
	v_mov_b32_e32 v5, s15
	v_add_co_u32_e32 v4, vcc, s14, v0
	v_addc_co_u32_e32 v5, vcc, v1, v5, vcc
	global_store_dwordx2 v[4:5], v[24:25], off
	v_mov_b32_e32 v5, s17
	s_waitcnt lgkmcnt(0)
	v_fma_f64 v[2:3], -v[10:11], v[8:9], v[2:3]
	v_add_co_u32_e32 v4, vcc, s16, v0
	v_addc_co_u32_e32 v5, vcc, v1, v5, vcc
	global_store_dwordx2 v[4:5], v[14:15], off
	v_mov_b32_e32 v5, s7
	v_add_co_u32_e32 v4, vcc, s6, v0
	v_mul_f64 v[2:3], v[2:3], v[6:7]
	v_addc_co_u32_e32 v5, vcc, v1, v5, vcc
	global_store_dwordx2 v[4:5], v[10:11], off
	v_mov_b32_e32 v5, s5
	v_add_co_u32_e32 v4, vcc, s4, v0
	v_addc_co_u32_e32 v5, vcc, v1, v5, vcc
	s_add_i32 s2, s2, -8
	global_store_dwordx2 v[12:13], v[22:23], off
	global_store_dwordx2 v[4:5], v[2:3], off
.LBB80_16:
	s_cmp_lt_i32 s2, 0
	s_cbranch_scc1 .LBB80_29
; %bb.17:
	s_bitcmp1_b32 s2, 0
	s_cselect_b64 s[4:5], -1, 0
	s_and_b64 vcc, exec, s[4:5]
	s_mov_b32 s4, s2
	s_cbranch_vccnz .LBB80_22
; %bb.18:
	s_mov_b32 s5, 0
	s_mov_b32 s3, s5
	s_lshl_b64 s[6:7], s[2:3], 3
	v_mov_b32_e32 v3, s7
	v_add_co_u32_e32 v2, vcc, s6, v0
	v_addc_co_u32_e32 v3, vcc, v1, v3, vcc
	global_load_dwordx2 v[4:5], v[2:3], off
	s_cmp_le_i32 s11, s2
	s_waitcnt vmcnt(0)
	v_mul_f64 v[4:5], s[0:1], v[4:5]
	s_cbranch_scc1 .LBB80_21
; %bb.19:
	s_mul_i32 s3, s2, 0x60
	s_lshl_b32 s4, s22, 3
	s_add_i32 s3, s3, s4
	s_add_i32 s3, s3, -8
	s_mov_b32 s4, s11
.LBB80_20:                              ; =>This Inner Loop Header: Depth=1
	s_lshl_b64 s[6:7], s[4:5], 3
	v_mov_b32_e32 v7, s7
	v_add_co_u32_e32 v6, vcc, s6, v0
	v_addc_co_u32_e32 v7, vcc, v1, v7, vcc
	global_load_dwordx2 v[6:7], v[6:7], off
	v_mov_b32_e32 v8, s3
	ds_read_b64 v[8:9], v8
	s_add_i32 s4, s4, -1
	s_add_i32 s3, s3, -8
	s_cmp_gt_i32 s4, s2
	s_waitcnt vmcnt(0) lgkmcnt(0)
	v_fma_f64 v[4:5], -v[6:7], v[8:9], v[4:5]
	s_cbranch_scc1 .LBB80_20
.LBB80_21:
	s_mul_i32 s3, s2, 0x68
	v_mov_b32_e32 v6, s3
	ds_read_b64 v[6:7], v6
	s_add_i32 s4, s2, -1
	s_waitcnt lgkmcnt(0)
	v_mul_f64 v[4:5], v[4:5], v[6:7]
	global_store_dwordx2 v[2:3], v[4:5], off
.LBB80_22:
	s_cmp_eq_u32 s2, 0
	s_mov_b32 s3, 0
	s_cbranch_scc1 .LBB80_29
; %bb.23:
	s_mul_i32 s2, s4, 0x60
	s_lshl_b32 s5, s22, 3
	s_add_i32 s2, s2, s5
	s_add_i32 s6, s2, -8
	s_add_i32 s7, s2, 0xffffff98
	s_branch .LBB80_25
.LBB80_24:                              ;   in Loop: Header=BB80_25 Depth=1
	s_add_i32 s2, s5, 0xffffff98
	v_mov_b32_e32 v2, s2
	ds_read_b64 v[2:3], v2
	s_add_i32 s2, s4, -2
	s_addk_i32 s6, 0xff40
	s_addk_i32 s7, 0xff40
	s_cmp_lt_i32 s4, 2
	s_waitcnt lgkmcnt(0)
	v_mul_f64 v[2:3], v[6:7], v[2:3]
	s_mov_b32 s4, s2
	global_store_dwordx2 v[4:5], v[2:3], off
	s_cbranch_scc1 .LBB80_29
.LBB80_25:                              ; =>This Loop Header: Depth=1
                                        ;     Child Loop BB80_26 Depth 2
                                        ;     Child Loop BB80_28 Depth 2
	s_mov_b32 s5, s3
	s_lshl_b64 s[8:9], s[4:5], 3
	v_mov_b32_e32 v3, s9
	v_add_co_u32_e32 v2, vcc, s8, v0
	v_addc_co_u32_e32 v3, vcc, v1, v3, vcc
	global_load_dwordx2 v[4:5], v[2:3], off
	s_cmp_le_i32 s11, s4
	s_mov_b32 s5, s6
	s_mov_b32 s2, s11
	s_waitcnt vmcnt(0)
	v_mul_f64 v[6:7], s[0:1], v[4:5]
	s_cbranch_scc1 .LBB80_27
.LBB80_26:                              ;   Parent Loop BB80_25 Depth=1
                                        ; =>  This Inner Loop Header: Depth=2
	s_lshl_b64 s[8:9], s[2:3], 3
	v_mov_b32_e32 v5, s9
	v_add_co_u32_e32 v4, vcc, s8, v0
	v_addc_co_u32_e32 v5, vcc, v1, v5, vcc
	global_load_dwordx2 v[4:5], v[4:5], off
	v_mov_b32_e32 v8, s5
	ds_read_b64 v[8:9], v8
	s_add_i32 s2, s2, -1
	s_add_i32 s5, s5, -8
	s_cmp_gt_i32 s2, s4
	s_waitcnt vmcnt(0) lgkmcnt(0)
	v_fma_f64 v[6:7], -v[4:5], v[8:9], v[6:7]
	s_cbranch_scc1 .LBB80_26
.LBB80_27:                              ;   in Loop: Header=BB80_25 Depth=1
	s_add_i32 s2, s4, -1
	s_lshl_b64 s[8:9], s[2:3], 3
	v_mov_b32_e32 v5, s9
	v_add_co_u32_e32 v4, vcc, s8, v0
	v_addc_co_u32_e32 v5, vcc, v1, v5, vcc
	global_load_dwordx2 v[8:9], v[4:5], off
	s_mul_i32 s5, s4, 0x68
	v_mov_b32_e32 v10, s5
	ds_read_b64 v[10:11], v10
	s_cmp_le_i32 s22, s4
	s_mov_b32 s8, s7
	s_mov_b32 s2, s22
	s_waitcnt lgkmcnt(0)
	v_mul_f64 v[10:11], v[6:7], v[10:11]
	global_store_dwordx2 v[2:3], v[10:11], off
	s_waitcnt vmcnt(1)
	v_mul_f64 v[6:7], s[0:1], v[8:9]
	s_cbranch_scc1 .LBB80_24
.LBB80_28:                              ;   Parent Loop BB80_25 Depth=1
                                        ; =>  This Inner Loop Header: Depth=2
	s_add_i32 s2, s2, -1
	s_lshl_b64 s[12:13], s[2:3], 3
	v_mov_b32_e32 v3, s13
	v_add_co_u32_e32 v2, vcc, s12, v0
	v_addc_co_u32_e32 v3, vcc, v1, v3, vcc
	global_load_dwordx2 v[2:3], v[2:3], off
	v_mov_b32_e32 v8, s8
	ds_read_b64 v[8:9], v8
	s_add_i32 s8, s8, -8
	s_cmp_gt_i32 s2, s4
	s_waitcnt vmcnt(0) lgkmcnt(0)
	v_fma_f64 v[6:7], -v[2:3], v[8:9], v[6:7]
	s_cbranch_scc1 .LBB80_28
	s_branch .LBB80_24
.LBB80_29:
	s_mov_b64 s[2:3], 0
.LBB80_30:
	s_and_b64 vcc, exec, s[2:3]
	s_cbranch_vccz .LBB80_44
; %bb.31:
	s_cmp_gt_i32 s10, 11
	s_cselect_b64 s[2:3], -1, 0
	s_and_b64 vcc, exec, s[2:3]
	s_cbranch_vccz .LBB80_33
; %bb.32:
	global_load_dwordx4 v[2:5], v[0:1], off
	global_load_dwordx4 v[6:9], v[0:1], off offset:16
	global_load_dwordx4 v[10:13], v[0:1], off offset:32
	;; [unrolled: 1-line block ×3, first 2 shown]
	v_mov_b32_e32 v46, 0
	ds_read_b128 v[18:21], v46
	ds_read_b128 v[22:25], v46 offset:16
	ds_read_b128 v[26:29], v46 offset:32
	;; [unrolled: 1-line block ×3, first 2 shown]
	s_mov_b32 s4, 12
	s_waitcnt vmcnt(3)
	v_mul_f64 v[2:3], s[0:1], v[2:3]
	s_waitcnt lgkmcnt(3)
	v_mul_f64 v[2:3], v[2:3], v[18:19]
	v_mul_f64 v[34:35], v[2:3], v[20:21]
	s_waitcnt lgkmcnt(2)
	v_mul_f64 v[22:23], v[2:3], v[22:23]
	;; [unrolled: 3-line block ×4, first 2 shown]
	v_mul_f64 v[32:33], v[2:3], v[32:33]
	global_load_dwordx4 v[18:21], v[0:1], off offset:64
	v_fma_f64 v[34:35], s[0:1], v[4:5], -v[34:35]
	s_waitcnt vmcnt(3)
	v_fma_f64 v[36:37], s[0:1], v[6:7], -v[22:23]
	v_fma_f64 v[38:39], s[0:1], v[8:9], -v[24:25]
	ds_read_b128 v[4:7], v46 offset:64
	ds_read_b128 v[22:25], v46 offset:80
	s_waitcnt vmcnt(2)
	v_fma_f64 v[26:27], s[0:1], v[10:11], -v[26:27]
	v_fma_f64 v[28:29], s[0:1], v[12:13], -v[28:29]
	s_waitcnt vmcnt(1)
	v_fma_f64 v[30:31], s[0:1], v[14:15], -v[30:31]
	ds_read2_b64 v[8:11], v46 offset0:13 offset1:14
	ds_read2_b64 v[12:15], v46 offset0:15 offset1:16
	v_fma_f64 v[32:33], s[0:1], v[16:17], -v[32:33]
	s_waitcnt lgkmcnt(3)
	v_mul_f64 v[16:17], v[2:3], v[4:5]
	v_mul_f64 v[40:41], v[2:3], v[6:7]
	s_waitcnt lgkmcnt(1)
	v_mul_f64 v[4:5], v[34:35], v[8:9]
	global_load_dwordx4 v[6:9], v[0:1], off offset:80
	v_mul_f64 v[24:25], v[2:3], v[24:25]
	v_mul_f64 v[22:23], v[2:3], v[22:23]
	s_waitcnt lgkmcnt(0)
	v_fma_f64 v[26:27], -v[4:5], v[14:15], v[26:27]
	s_waitcnt vmcnt(1)
	v_fma_f64 v[34:35], s[0:1], v[18:19], -v[16:17]
	v_fma_f64 v[40:41], s[0:1], v[20:21], -v[40:41]
	ds_read2_b64 v[16:19], v46 offset0:17 offset1:18
	s_waitcnt lgkmcnt(0)
	v_fma_f64 v[28:29], -v[4:5], v[16:17], v[28:29]
	v_fma_f64 v[30:31], -v[4:5], v[18:19], v[30:31]
	s_waitcnt vmcnt(0)
	v_fma_f64 v[44:45], s[0:1], v[8:9], -v[24:25]
	v_fma_f64 v[24:25], -v[4:5], v[10:11], v[36:37]
	v_fma_f64 v[42:43], s[0:1], v[6:7], -v[22:23]
	ds_read2_b64 v[6:9], v46 offset0:21 offset1:22
	ds_read_b128 v[20:23], v46 offset:208
	v_fma_f64 v[36:37], -v[4:5], v[12:13], v[38:39]
	ds_read2_b64 v[10:13], v46 offset0:19 offset1:20
	ds_read_b128 v[16:19], v46 offset:256
	s_waitcnt lgkmcnt(2)
	v_mul_f64 v[14:15], v[24:25], v[20:21]
	s_waitcnt lgkmcnt(1)
	v_fma_f64 v[20:21], -v[4:5], v[10:11], v[32:33]
	v_fma_f64 v[24:25], -v[4:5], v[12:13], v[34:35]
	ds_read_b128 v[10:13], v46 offset:224
	v_fma_f64 v[32:33], -v[4:5], v[6:7], v[40:41]
	v_fma_f64 v[34:35], -v[4:5], v[8:9], v[42:43]
	ds_read_b128 v[6:9], v46 offset:240
	v_fma_f64 v[22:23], -v[14:15], v[22:23], v[36:37]
	s_waitcnt lgkmcnt(1)
	v_fma_f64 v[26:27], -v[14:15], v[10:11], v[26:27]
	v_fma_f64 v[28:29], -v[14:15], v[12:13], v[28:29]
	ds_read2_b64 v[10:13], v46 offset0:39 offset1:40
	s_waitcnt lgkmcnt(1)
	v_fma_f64 v[30:31], -v[14:15], v[6:7], v[30:31]
	v_fma_f64 v[36:37], -v[14:15], v[8:9], v[20:21]
	ds_read_b128 v[6:9], v46 offset:272
	v_fma_f64 v[38:39], -v[14:15], v[16:17], v[24:25]
	s_waitcnt lgkmcnt(1)
	v_mul_f64 v[16:17], v[22:23], v[10:11]
	ds_read2_b64 v[22:25], v46 offset0:23 offset1:47
	v_fma_f64 v[32:33], -v[14:15], v[18:19], v[32:33]
	ds_read2_b64 v[18:21], v46 offset0:41 offset1:42
	s_waitcnt lgkmcnt(1)
	v_fma_f64 v[10:11], -v[4:5], v[22:23], v[44:45]
	v_fma_f64 v[22:23], -v[14:15], v[6:7], v[34:35]
	;; [unrolled: 1-line block ×4, first 2 shown]
	ds_read_b128 v[10:13], v46 offset:416
	ds_read2_b64 v[6:9], v46 offset0:43 offset1:44
	s_waitcnt lgkmcnt(2)
	v_fma_f64 v[28:29], -v[16:17], v[18:19], v[28:29]
	v_fma_f64 v[30:31], -v[16:17], v[20:21], v[30:31]
	ds_read2_b64 v[18:21], v46 offset0:45 offset1:46
	s_waitcnt lgkmcnt(2)
	v_mul_f64 v[10:11], v[26:27], v[10:11]
	s_waitcnt lgkmcnt(1)
	v_fma_f64 v[36:37], -v[16:17], v[6:7], v[36:37]
	v_fma_f64 v[38:39], -v[16:17], v[8:9], v[38:39]
	ds_read_b128 v[6:9], v46 offset:432
	s_waitcnt lgkmcnt(1)
	v_fma_f64 v[32:33], -v[16:17], v[18:19], v[32:33]
	v_fma_f64 v[40:41], -v[16:17], v[20:21], v[22:23]
	;; [unrolled: 1-line block ×4, first 2 shown]
	ds_read2_b64 v[18:21], v46 offset0:65 offset1:66
	ds_read2_b64 v[26:29], v46 offset0:67 offset1:68
	ds_read_b128 v[22:25], v46 offset:624
	s_waitcnt lgkmcnt(2)
	v_mul_f64 v[12:13], v[12:13], v[18:19]
	v_fma_f64 v[18:19], -v[10:11], v[6:7], v[30:31]
	v_fma_f64 v[30:31], -v[10:11], v[8:9], v[36:37]
	ds_read_b128 v[6:9], v46 offset:448
	v_fma_f64 v[36:37], -v[12:13], v[20:21], v[18:19]
	ds_read_b128 v[18:21], v46 offset:464
	s_waitcnt lgkmcnt(1)
	v_fma_f64 v[38:39], -v[10:11], v[6:7], v[38:39]
	v_fma_f64 v[8:9], -v[10:11], v[8:9], v[32:33]
	;; [unrolled: 1-line block ×3, first 2 shown]
	s_waitcnt lgkmcnt(0)
	v_fma_f64 v[34:35], -v[10:11], v[20:21], v[34:35]
	v_fma_f64 v[32:33], -v[12:13], v[28:29], v[38:39]
	ds_read2_b64 v[26:29], v46 offset0:69 offset1:70
	v_mul_f64 v[6:7], v[36:37], v[22:23]
	v_fma_f64 v[36:37], -v[10:11], v[18:19], v[40:41]
	ds_read2_b64 v[18:21], v46 offset0:91 offset1:92
	s_waitcnt lgkmcnt(1)
	v_fma_f64 v[8:9], -v[12:13], v[26:27], v[8:9]
	v_fma_f64 v[30:31], -v[6:7], v[24:25], v[30:31]
	ds_read_b128 v[22:25], v46 offset:640
	v_fma_f64 v[36:37], -v[12:13], v[28:29], v[36:37]
	ds_read_b128 v[26:29], v46 offset:656
	s_waitcnt lgkmcnt(1)
	v_fma_f64 v[38:39], -v[6:7], v[22:23], v[32:33]
	v_fma_f64 v[40:41], -v[6:7], v[24:25], v[8:9]
	ds_read2_b64 v[22:25], v46 offset0:93 offset1:94
	v_mul_f64 v[8:9], v[30:31], v[18:19]
	ds_read2_b64 v[30:33], v46 offset0:71 offset1:95
	s_waitcnt lgkmcnt(0)
	v_fma_f64 v[30:31], -v[12:13], v[30:31], v[34:35]
	v_fma_f64 v[34:35], -v[6:7], v[26:27], v[36:37]
	;; [unrolled: 1-line block ×3, first 2 shown]
	ds_read_b128 v[18:21], v46 offset:832
	v_fma_f64 v[22:23], -v[8:9], v[22:23], v[40:41]
	v_fma_f64 v[30:31], -v[6:7], v[28:29], v[30:31]
	ds_read_b128 v[26:29], v46 offset:848
	s_waitcnt lgkmcnt(1)
	v_mul_f64 v[18:19], v[36:37], v[18:19]
	v_fma_f64 v[24:25], -v[8:9], v[24:25], v[34:35]
	v_fma_f64 v[36:37], -v[8:9], v[32:33], v[30:31]
	ds_read_b128 v[30:33], v46 offset:1040
	v_fma_f64 v[34:35], -v[18:19], v[20:21], v[22:23]
	ds_read2_b64 v[20:23], v46 offset0:117 offset1:118
	s_waitcnt lgkmcnt(2)
	v_fma_f64 v[24:25], -v[18:19], v[26:27], v[24:25]
	v_fma_f64 v[26:27], -v[18:19], v[28:29], v[36:37]
	s_waitcnt lgkmcnt(0)
	v_mul_f64 v[20:21], v[34:35], v[20:21]
	v_fma_f64 v[28:29], -v[20:21], v[22:23], v[24:25]
	ds_read2_b64 v[22:25], v46 offset0:119 offset1:143
	s_waitcnt lgkmcnt(0)
	v_fma_f64 v[26:27], -v[20:21], v[22:23], v[26:27]
	v_mul_f64 v[22:23], v[28:29], v[30:31]
	v_fma_f64 v[26:27], -v[22:23], v[32:33], v[26:27]
	v_mul_f64 v[24:25], v[26:27], v[24:25]
	global_store_dwordx4 v[0:1], v[2:5], off
	global_store_dwordx4 v[0:1], v[14:17], off offset:16
	global_store_dwordx4 v[0:1], v[10:13], off offset:32
	;; [unrolled: 1-line block ×5, first 2 shown]
	s_cmp_lt_i32 s4, s22
	s_cbranch_scc1 .LBB80_34
	s_branch .LBB80_44
.LBB80_33:
	s_mov_b32 s4, 0
	s_cmp_lt_i32 s4, s22
	s_cbranch_scc0 .LBB80_44
.LBB80_34:
	s_add_i32 s5, s4, 7
	s_cmp_ge_u32 s5, s22
	s_cbranch_scc1 .LBB80_39
; %bb.35:
	s_lshl_b32 s5, s4, 3
	v_add_co_u32_e32 v2, vcc, s5, v0
	v_addc_co_u32_e32 v3, vcc, 0, v1, vcc
	global_load_dwordx4 v[4:7], v[2:3], off
	global_load_dwordx4 v[8:11], v[2:3], off offset:16
	global_load_dwordx4 v[20:23], v[2:3], off offset:32
	;; [unrolled: 1-line block ×3, first 2 shown]
	s_andn2_b64 vcc, exec, s[2:3]
	s_waitcnt vmcnt(3)
	v_mul_f64 v[18:19], s[0:1], v[4:5]
	v_mul_f64 v[16:17], s[0:1], v[6:7]
	s_waitcnt vmcnt(2)
	v_mul_f64 v[14:15], s[0:1], v[8:9]
	v_mul_f64 v[12:13], s[0:1], v[10:11]
	;; [unrolled: 3-line block ×4, first 2 shown]
	s_cbranch_vccnz .LBB80_38
; %bb.36:
	v_mov_b32_e32 v21, v1
	v_mov_b32_e32 v20, v0
	s_mov_b32 s2, s4
.LBB80_37:                              ; =>This Inner Loop Header: Depth=1
	global_load_dwordx2 v[38:39], v[20:21], off
	v_mov_b32_e32 v34, s5
	ds_read_b128 v[22:25], v34
	ds_read_b128 v[26:29], v34 offset:16
	ds_read_b128 v[30:33], v34 offset:32
	;; [unrolled: 1-line block ×3, first 2 shown]
	s_add_i32 s2, s2, -1
	s_addk_i32 s5, 0x60
	v_add_co_u32_e32 v20, vcc, 8, v20
	s_cmp_lg_u32 s2, 0
	v_addc_co_u32_e32 v21, vcc, 0, v21, vcc
	s_waitcnt vmcnt(0) lgkmcnt(3)
	v_fma_f64 v[18:19], -v[38:39], v[22:23], v[18:19]
	v_fma_f64 v[16:17], -v[38:39], v[24:25], v[16:17]
	s_waitcnt lgkmcnt(2)
	v_fma_f64 v[14:15], -v[38:39], v[26:27], v[14:15]
	v_fma_f64 v[12:13], -v[38:39], v[28:29], v[12:13]
	s_waitcnt lgkmcnt(1)
	;; [unrolled: 3-line block ×3, first 2 shown]
	v_fma_f64 v[6:7], -v[38:39], v[34:35], v[6:7]
	v_fma_f64 v[4:5], -v[38:39], v[36:37], v[4:5]
	s_cbranch_scc1 .LBB80_37
.LBB80_38:
	s_lshl_b32 s2, s4, 3
	s_mul_i32 s3, s4, 0x60
	s_add_i32 s2, s2, s3
	v_mov_b32_e32 v42, s2
	ds_read_b128 v[20:23], v42
	ds_read_b128 v[24:27], v42 offset:16
	s_add_i32 s4, s4, 8
	s_waitcnt lgkmcnt(1)
	v_mul_f64 v[18:19], v[18:19], v[20:21]
	v_fma_f64 v[16:17], -v[18:19], v[22:23], v[16:17]
	ds_read2_b64 v[20:23], v42 offset0:13 offset1:14
	ds_read2_b64 v[28:31], v42 offset0:15 offset1:16
	s_waitcnt lgkmcnt(2)
	v_fma_f64 v[14:15], -v[18:19], v[24:25], v[14:15]
	s_waitcnt lgkmcnt(1)
	v_mul_f64 v[20:21], v[16:17], v[20:21]
	v_fma_f64 v[16:17], -v[18:19], v[26:27], v[12:13]
	v_fma_f64 v[26:27], -v[20:21], v[22:23], v[14:15]
	ds_read_b128 v[12:15], v42 offset:208
	ds_read_b128 v[22:25], v42 offset:32
	ds_read2_b64 v[32:35], v42 offset0:17 offset1:18
	s_waitcnt lgkmcnt(3)
	v_fma_f64 v[16:17], -v[20:21], v[28:29], v[16:17]
	s_waitcnt lgkmcnt(1)
	v_fma_f64 v[10:11], -v[18:19], v[22:23], v[10:11]
	v_fma_f64 v[40:41], -v[18:19], v[24:25], v[8:9]
	v_mul_f64 v[12:13], v[26:27], v[12:13]
	ds_read_b128 v[26:29], v42 offset:48
	v_fma_f64 v[30:31], -v[20:21], v[30:31], v[10:11]
	v_fma_f64 v[36:37], -v[12:13], v[14:15], v[16:17]
	ds_read2_b64 v[14:17], v42 offset0:39 offset1:40
	ds_read_b128 v[8:11], v42 offset:224
	ds_read2_b64 v[22:25], v42 offset0:41 offset1:42
	s_waitcnt lgkmcnt(3)
	v_fma_f64 v[6:7], -v[18:19], v[26:27], v[6:7]
	v_fma_f64 v[26:27], -v[20:21], v[32:33], v[40:41]
	s_waitcnt lgkmcnt(1)
	v_fma_f64 v[8:9], -v[12:13], v[8:9], v[30:31]
	v_fma_f64 v[30:31], -v[18:19], v[28:29], v[4:5]
	v_mul_f64 v[14:15], v[36:37], v[14:15]
	ds_read_b128 v[36:39], v42 offset:240
	v_fma_f64 v[32:33], -v[20:21], v[34:35], v[6:7]
	v_fma_f64 v[34:35], -v[12:13], v[10:11], v[26:27]
	;; [unrolled: 1-line block ×3, first 2 shown]
	ds_read2_b64 v[4:7], v42 offset0:19 offset1:43
	ds_read_b128 v[8:11], v42 offset:416
	ds_read_b128 v[26:29], v42 offset:432
	s_waitcnt lgkmcnt(3)
	v_fma_f64 v[32:33], -v[12:13], v[36:37], v[32:33]
	s_waitcnt lgkmcnt(2)
	v_fma_f64 v[30:31], -v[20:21], v[4:5], v[30:31]
	v_fma_f64 v[22:23], -v[14:15], v[22:23], v[34:35]
	s_waitcnt lgkmcnt(1)
	v_mul_f64 v[4:5], v[16:17], v[8:9]
	v_fma_f64 v[16:17], -v[12:13], v[38:39], v[30:31]
	v_fma_f64 v[30:31], -v[14:15], v[24:25], v[32:33]
	v_fma_f64 v[32:33], -v[4:5], v[10:11], v[22:23]
	ds_read2_b64 v[8:11], v42 offset0:65 offset1:66
	ds_read_b128 v[22:25], v42 offset:624
	v_fma_f64 v[16:17], -v[14:15], v[6:7], v[16:17]
	s_waitcnt lgkmcnt(2)
	v_fma_f64 v[26:27], -v[4:5], v[26:27], v[30:31]
	s_waitcnt lgkmcnt(1)
	v_mul_f64 v[6:7], v[32:33], v[8:9]
	v_fma_f64 v[16:17], -v[4:5], v[28:29], v[16:17]
	v_fma_f64 v[26:27], -v[6:7], v[10:11], v[26:27]
	ds_read2_b64 v[8:11], v42 offset0:67 offset1:91
	s_waitcnt lgkmcnt(0)
	v_fma_f64 v[16:17], -v[6:7], v[8:9], v[16:17]
	v_mul_f64 v[8:9], v[26:27], v[22:23]
	v_fma_f64 v[16:17], -v[8:9], v[24:25], v[16:17]
	v_mul_f64 v[10:11], v[16:17], v[10:11]
	global_store_dwordx4 v[2:3], v[18:21], off
	global_store_dwordx4 v[2:3], v[12:15], off offset:16
	global_store_dwordx4 v[2:3], v[4:7], off offset:32
	global_store_dwordx4 v[2:3], v[8:11], off offset:48
.LBB80_39:
	s_cmp_ge_i32 s4, s22
	s_cbranch_scc1 .LBB80_44
; %bb.40:
	s_lshl_b32 s2, s4, 3
	s_mov_b32 s5, 0
	s_branch .LBB80_42
.LBB80_41:                              ;   in Loop: Header=BB80_42 Depth=1
	s_mul_i32 s3, s4, 0x68
	v_mov_b32_e32 v6, s3
	ds_read_b64 v[6:7], v6
	s_add_i32 s4, s4, 1
	s_add_i32 s2, s2, 8
	s_cmp_ge_i32 s4, s22
	s_waitcnt lgkmcnt(0)
	v_mul_f64 v[4:5], v[4:5], v[6:7]
	global_store_dwordx2 v[2:3], v[4:5], off
	s_cbranch_scc1 .LBB80_44
.LBB80_42:                              ; =>This Loop Header: Depth=1
                                        ;     Child Loop BB80_43 Depth 2
	s_lshl_b64 s[6:7], s[4:5], 3
	v_mov_b32_e32 v3, s7
	v_add_co_u32_e32 v2, vcc, s6, v0
	v_addc_co_u32_e32 v3, vcc, v1, v3, vcc
	global_load_dwordx2 v[4:5], v[2:3], off
	v_mov_b32_e32 v7, v1
	s_cmp_eq_u32 s4, 0
	v_mov_b32_e32 v6, v0
	s_mov_b32 s3, s2
	s_mov_b32 s6, s4
	s_waitcnt vmcnt(0)
	v_mul_f64 v[4:5], s[0:1], v[4:5]
	s_cbranch_scc1 .LBB80_41
.LBB80_43:                              ;   Parent Loop BB80_42 Depth=1
                                        ; =>  This Inner Loop Header: Depth=2
	global_load_dwordx2 v[8:9], v[6:7], off
	v_mov_b32_e32 v10, s3
	ds_read_b64 v[10:11], v10
	s_add_i32 s6, s6, -1
	s_addk_i32 s3, 0x60
	v_add_co_u32_e32 v6, vcc, 8, v6
	s_cmp_lg_u32 s6, 0
	v_addc_co_u32_e32 v7, vcc, 0, v7, vcc
	s_waitcnt vmcnt(0) lgkmcnt(0)
	v_fma_f64 v[4:5], -v[8:9], v[10:11], v[4:5]
	s_cbranch_scc1 .LBB80_43
	s_branch .LBB80_41
.LBB80_44:
	s_endpgm
	.section	.rodata,"a",@progbits
	.p2align	6, 0x0
	.amdhsa_kernel _ZL30rocblas_trsm_small_left_deviceILi12ELi12ELb1EddPKdPdEv13rocblas_fill_18rocblas_operation_17rocblas_diagonal_iiT3_T4_lilT5_lili
		.amdhsa_group_segment_fixed_size 1152
		.amdhsa_private_segment_fixed_size 0
		.amdhsa_kernarg_size 360
		.amdhsa_user_sgpr_count 6
		.amdhsa_user_sgpr_private_segment_buffer 1
		.amdhsa_user_sgpr_dispatch_ptr 0
		.amdhsa_user_sgpr_queue_ptr 0
		.amdhsa_user_sgpr_kernarg_segment_ptr 1
		.amdhsa_user_sgpr_dispatch_id 0
		.amdhsa_user_sgpr_flat_scratch_init 0
		.amdhsa_user_sgpr_private_segment_size 0
		.amdhsa_uses_dynamic_stack 0
		.amdhsa_system_sgpr_private_segment_wavefront_offset 0
		.amdhsa_system_sgpr_workgroup_id_x 1
		.amdhsa_system_sgpr_workgroup_id_y 0
		.amdhsa_system_sgpr_workgroup_id_z 1
		.amdhsa_system_sgpr_workgroup_info 0
		.amdhsa_system_vgpr_workitem_id 0
		.amdhsa_next_free_vgpr 47
		.amdhsa_next_free_sgpr 26
		.amdhsa_reserve_vcc 1
		.amdhsa_reserve_flat_scratch 0
		.amdhsa_float_round_mode_32 0
		.amdhsa_float_round_mode_16_64 0
		.amdhsa_float_denorm_mode_32 3
		.amdhsa_float_denorm_mode_16_64 3
		.amdhsa_dx10_clamp 1
		.amdhsa_ieee_mode 1
		.amdhsa_fp16_overflow 0
		.amdhsa_exception_fp_ieee_invalid_op 0
		.amdhsa_exception_fp_denorm_src 0
		.amdhsa_exception_fp_ieee_div_zero 0
		.amdhsa_exception_fp_ieee_overflow 0
		.amdhsa_exception_fp_ieee_underflow 0
		.amdhsa_exception_fp_ieee_inexact 0
		.amdhsa_exception_int_div_zero 0
	.end_amdhsa_kernel
	.section	.text._ZL30rocblas_trsm_small_left_deviceILi12ELi12ELb1EddPKdPdEv13rocblas_fill_18rocblas_operation_17rocblas_diagonal_iiT3_T4_lilT5_lili,"axG",@progbits,_ZL30rocblas_trsm_small_left_deviceILi12ELi12ELb1EddPKdPdEv13rocblas_fill_18rocblas_operation_17rocblas_diagonal_iiT3_T4_lilT5_lili,comdat
.Lfunc_end80:
	.size	_ZL30rocblas_trsm_small_left_deviceILi12ELi12ELb1EddPKdPdEv13rocblas_fill_18rocblas_operation_17rocblas_diagonal_iiT3_T4_lilT5_lili, .Lfunc_end80-_ZL30rocblas_trsm_small_left_deviceILi12ELi12ELb1EddPKdPdEv13rocblas_fill_18rocblas_operation_17rocblas_diagonal_iiT3_T4_lilT5_lili
                                        ; -- End function
	.set _ZL30rocblas_trsm_small_left_deviceILi12ELi12ELb1EddPKdPdEv13rocblas_fill_18rocblas_operation_17rocblas_diagonal_iiT3_T4_lilT5_lili.num_vgpr, 47
	.set _ZL30rocblas_trsm_small_left_deviceILi12ELi12ELb1EddPKdPdEv13rocblas_fill_18rocblas_operation_17rocblas_diagonal_iiT3_T4_lilT5_lili.num_agpr, 0
	.set _ZL30rocblas_trsm_small_left_deviceILi12ELi12ELb1EddPKdPdEv13rocblas_fill_18rocblas_operation_17rocblas_diagonal_iiT3_T4_lilT5_lili.numbered_sgpr, 26
	.set _ZL30rocblas_trsm_small_left_deviceILi12ELi12ELb1EddPKdPdEv13rocblas_fill_18rocblas_operation_17rocblas_diagonal_iiT3_T4_lilT5_lili.num_named_barrier, 0
	.set _ZL30rocblas_trsm_small_left_deviceILi12ELi12ELb1EddPKdPdEv13rocblas_fill_18rocblas_operation_17rocblas_diagonal_iiT3_T4_lilT5_lili.private_seg_size, 0
	.set _ZL30rocblas_trsm_small_left_deviceILi12ELi12ELb1EddPKdPdEv13rocblas_fill_18rocblas_operation_17rocblas_diagonal_iiT3_T4_lilT5_lili.uses_vcc, 1
	.set _ZL30rocblas_trsm_small_left_deviceILi12ELi12ELb1EddPKdPdEv13rocblas_fill_18rocblas_operation_17rocblas_diagonal_iiT3_T4_lilT5_lili.uses_flat_scratch, 0
	.set _ZL30rocblas_trsm_small_left_deviceILi12ELi12ELb1EddPKdPdEv13rocblas_fill_18rocblas_operation_17rocblas_diagonal_iiT3_T4_lilT5_lili.has_dyn_sized_stack, 0
	.set _ZL30rocblas_trsm_small_left_deviceILi12ELi12ELb1EddPKdPdEv13rocblas_fill_18rocblas_operation_17rocblas_diagonal_iiT3_T4_lilT5_lili.has_recursion, 0
	.set _ZL30rocblas_trsm_small_left_deviceILi12ELi12ELb1EddPKdPdEv13rocblas_fill_18rocblas_operation_17rocblas_diagonal_iiT3_T4_lilT5_lili.has_indirect_call, 0
	.section	.AMDGPU.csdata,"",@progbits
; Kernel info:
; codeLenInByte = 6072
; TotalNumSgprs: 30
; NumVgprs: 47
; ScratchSize: 0
; MemoryBound: 1
; FloatMode: 240
; IeeeMode: 1
; LDSByteSize: 1152 bytes/workgroup (compile time only)
; SGPRBlocks: 3
; VGPRBlocks: 11
; NumSGPRsForWavesPerEU: 30
; NumVGPRsForWavesPerEU: 47
; Occupancy: 5
; WaveLimiterHint : 1
; COMPUTE_PGM_RSRC2:SCRATCH_EN: 0
; COMPUTE_PGM_RSRC2:USER_SGPR: 6
; COMPUTE_PGM_RSRC2:TRAP_HANDLER: 0
; COMPUTE_PGM_RSRC2:TGID_X_EN: 1
; COMPUTE_PGM_RSRC2:TGID_Y_EN: 0
; COMPUTE_PGM_RSRC2:TGID_Z_EN: 1
; COMPUTE_PGM_RSRC2:TIDIG_COMP_CNT: 0
	.section	.text._ZL31rocblas_trsm_small_right_deviceIddPKdPdLi12EEv13rocblas_fill_18rocblas_operation_17rocblas_diagonal_iiT0_T1_lilT2_lili,"axG",@progbits,_ZL31rocblas_trsm_small_right_deviceIddPKdPdLi12EEv13rocblas_fill_18rocblas_operation_17rocblas_diagonal_iiT0_T1_lilT2_lili,comdat
	.globl	_ZL31rocblas_trsm_small_right_deviceIddPKdPdLi12EEv13rocblas_fill_18rocblas_operation_17rocblas_diagonal_iiT0_T1_lilT2_lili ; -- Begin function _ZL31rocblas_trsm_small_right_deviceIddPKdPdLi12EEv13rocblas_fill_18rocblas_operation_17rocblas_diagonal_iiT0_T1_lilT2_lili
	.p2align	8
	.type	_ZL31rocblas_trsm_small_right_deviceIddPKdPdLi12EEv13rocblas_fill_18rocblas_operation_17rocblas_diagonal_iiT0_T1_lilT2_lili,@function
_ZL31rocblas_trsm_small_right_deviceIddPKdPdLi12EEv13rocblas_fill_18rocblas_operation_17rocblas_diagonal_iiT0_T1_lilT2_lili: ; @_ZL31rocblas_trsm_small_right_deviceIddPKdPdLi12EEv13rocblas_fill_18rocblas_operation_17rocblas_diagonal_iiT0_T1_lilT2_lili
; %bb.0:
	s_load_dwordx4 s[8:11], s[4:5], 0x0
	s_load_dword s22, s[4:5], 0x10
	s_load_dwordx4 s[12:15], s[4:5], 0x18
	s_load_dwordx2 s[20:21], s[4:5], 0x28
	s_load_dwordx4 s[0:3], s[4:5], 0x38
	s_load_dwordx2 s[16:17], s[4:5], 0x48
	s_waitcnt lgkmcnt(0)
	s_min_i32 s23, s22, 12
	v_cmp_gt_i32_e32 vcc, s23, v0
	s_and_saveexec_b64 s[18:19], vcc
	s_cbranch_execz .LBB81_5
; %bb.1:
	s_load_dword s24, s[4:5], 0x30
	s_mul_i32 s1, s1, s7
	s_mul_hi_u32 s25, s0, s7
	s_mul_i32 s0, s0, s7
	s_add_i32 s1, s25, s1
	s_waitcnt lgkmcnt(0)
	s_ashr_i32 s25, s24, 31
	s_lshl_b64 s[0:1], s[0:1], 3
	s_add_u32 s14, s14, s0
	s_addc_u32 s15, s15, s1
	s_lshl_b64 s[0:1], s[20:21], 3
	s_add_u32 s0, s14, s0
	s_addc_u32 s1, s15, s1
	v_lshlrev_b32_e32 v3, 3, v0
	v_mov_b32_e32 v2, s1
	v_add_co_u32_e32 v1, vcc, s0, v3
	s_lshl_b64 s[0:1], s[24:25], 3
	v_addc_co_u32_e32 v2, vcc, 0, v2, vcc
	v_mov_b32_e32 v4, s1
	v_mov_b32_e32 v5, v3
	s_mov_b32 s1, s23
.LBB81_2:                               ; =>This Inner Loop Header: Depth=1
	global_load_dwordx2 v[6:7], v[1:2], off
	v_add_co_u32_e32 v1, vcc, s0, v1
	s_add_i32 s1, s1, -1
	v_addc_co_u32_e32 v2, vcc, v2, v4, vcc
	s_cmp_eq_u32 s1, 0
	s_waitcnt vmcnt(0)
	ds_write_b64 v5, v[6:7]
	v_add_u32_e32 v5, 0x60, v5
	s_cbranch_scc0 .LBB81_2
; %bb.3:
	s_cmpk_eq_i32 s10, 0x84
	s_cbranch_scc0 .LBB81_5
; %bb.4:
	s_movk_i32 s0, 0x60
	v_mad_u32_u24 v3, v0, s0, v3
	v_mov_b32_e32 v1, 0
	v_mov_b32_e32 v2, 0x3ff00000
	ds_write_b64 v3, v[1:2]
.LBB81_5:
	s_or_b64 exec, exec, s[18:19]
	s_load_dword s0, s[4:5], 0x68
	s_load_dwordx2 s[14:15], s[4:5], 0x58
	s_load_dword s10, s[4:5], 0x50
	s_waitcnt lgkmcnt(0)
	s_mul_i32 s1, s15, s7
	s_mul_hi_u32 s5, s14, s7
	s_mul_i32 s4, s14, s7
	s_add_i32 s5, s5, s1
	s_lshl_b64 s[4:5], s[4:5], 3
	s_add_u32 s1, s2, s4
	s_addc_u32 s4, s3, s5
	s_lshl_b64 s[2:3], s[16:17], 3
	s_add_u32 s1, s1, s2
	s_addc_u32 s2, s4, s3
	s_mul_i32 s3, s6, -12
	s_add_i32 s0, s0, -1
	s_add_i32 s3, s11, s3
	s_cmp_ge_u32 s6, s0
	s_cselect_b32 s0, s3, 12
	s_mul_hi_i32 s3, s6, 0x60
	s_mulk_i32 s6, 0x60
	s_add_u32 s14, s1, s6
	s_addc_u32 s15, s2, s3
	v_cmp_gt_i32_e64 s[0:1], s0, v0
	s_and_saveexec_b64 s[2:3], s[0:1]
	s_cbranch_execz .LBB81_9
; %bb.6:
	s_cmp_lt_i32 s22, 1
	s_cbranch_scc1 .LBB81_9
; %bb.7:
	s_ashr_i32 s11, s10, 31
	v_lshlrev_b32_e32 v3, 3, v0
	v_mov_b32_e32 v2, s15
	v_add_co_u32_e32 v1, vcc, s14, v3
	s_lshl_b64 s[4:5], s[10:11], 3
	v_addc_co_u32_e32 v2, vcc, 0, v2, vcc
	v_or_b32_e32 v3, 0x480, v3
	v_mov_b32_e32 v4, s5
	s_mov_b32 s5, s22
.LBB81_8:                               ; =>This Inner Loop Header: Depth=1
	global_load_dwordx2 v[5:6], v[1:2], off
	s_add_i32 s5, s5, -1
	v_add_co_u32_e32 v1, vcc, s4, v1
	v_addc_co_u32_e32 v2, vcc, v2, v4, vcc
	s_cmp_lg_u32 s5, 0
	s_waitcnt vmcnt(0)
	v_mul_f64 v[5:6], s[12:13], v[5:6]
	ds_write_b64 v3, v[5:6]
	v_add_u32_e32 v3, 0x60, v3
	s_cbranch_scc1 .LBB81_8
.LBB81_9:
	s_or_b64 exec, exec, s[2:3]
	s_cmpk_eq_i32 s9, 0x6f
	s_cselect_b64 s[2:3], -1, 0
	s_cmpk_lg_i32 s8, 0x79
	s_cselect_b64 s[4:5], -1, 0
	s_cmpk_eq_i32 s8, 0x79
	s_cselect_b64 s[6:7], -1, 0
	s_and_b64 s[6:7], s[6:7], s[2:3]
	s_andn2_b64 vcc, exec, s[6:7]
	s_mov_b64 s[6:7], -1
	s_waitcnt lgkmcnt(0)
	; wave barrier
	s_cbranch_vccz .LBB81_66
; %bb.10:
	s_cmpk_lg_i32 s8, 0x7a
	s_cselect_b64 s[12:13], -1, 0
	s_xor_b64 s[2:3], s[2:3], -1
	s_add_i32 s8, s23, -1
	s_or_b64 s[12:13], s[12:13], s[2:3]
	v_mov_b32_e32 v1, 0x480
	s_cmp_gt_i32 s22, 3
	v_lshl_or_b32 v9, v0, 3, v1
	s_cselect_b64 s[2:3], -1, 0
	s_and_b64 vcc, exec, s[12:13]
	s_cbranch_vccz .LBB81_45
; %bb.11:
	s_andn2_b64 vcc, exec, s[4:5]
	s_mov_b64 s[4:5], -1
	s_cbranch_vccnz .LBB81_24
; %bb.12:
	s_andn2_b64 vcc, exec, s[2:3]
	s_mov_b32 s6, 0
	s_cbranch_vccnz .LBB81_18
; %bb.13:
	v_mov_b32_e32 v1, 0x480
	v_lshl_or_b32 v10, v0, 3, v1
	s_mov_b32 s4, 0
	s_mov_b32 s5, 0
.LBB81_14:                              ; =>This Loop Header: Depth=1
                                        ;     Child Loop BB81_15 Depth 2
	s_or_b32 s7, s5, 3
	s_mul_i32 s6, s5, 0x60
	v_add_u32_e32 v11, s6, v9
	s_mulk_i32 s7, 0x60
	ds_read2_b64 v[1:4], v11 offset1:12
	v_add_u32_e32 v12, s7, v9
	ds_read_b64 v[7:8], v11 offset:192
	ds_read_b64 v[5:6], v12
	s_cmp_eq_u32 s5, 0
	v_mov_b32_e32 v13, v10
	s_mov_b32 s7, s4
	s_mov_b32 s9, s5
	s_cbranch_scc1 .LBB81_16
.LBB81_15:                              ;   Parent Loop BB81_14 Depth=1
                                        ; =>  This Inner Loop Header: Depth=2
	v_mov_b32_e32 v18, s7
	ds_read_b64 v[22:23], v13
	ds_read_b128 v[14:17], v18
	ds_read_b128 v[18:21], v18 offset:16
	s_add_i32 s9, s9, -1
	s_addk_i32 s7, 0x60
	s_cmp_eq_u32 s9, 0
	s_waitcnt lgkmcnt(1)
	v_fma_f64 v[1:2], -v[22:23], v[14:15], v[1:2]
	v_fma_f64 v[3:4], -v[22:23], v[16:17], v[3:4]
	s_waitcnt lgkmcnt(0)
	v_fma_f64 v[7:8], -v[22:23], v[18:19], v[7:8]
	v_fma_f64 v[5:6], -v[22:23], v[20:21], v[5:6]
	v_add_u32_e32 v13, 0x60, v13
	s_cbranch_scc0 .LBB81_15
.LBB81_16:                              ;   in Loop: Header=BB81_14 Depth=1
	s_lshl_b32 s9, s5, 3
	s_add_i32 s11, s9, s6
	v_mov_b32_e32 v33, s11
	ds_read_b128 v[13:16], v33
	ds_read_b128 v[17:20], v33 offset:16
	s_addk_i32 s11, 0x68
	s_add_i32 s4, s4, 32
	s_waitcnt lgkmcnt(1)
	v_div_scale_f64 v[21:22], s[6:7], v[13:14], v[13:14], v[1:2]
	v_rcp_f64_e32 v[23:24], v[21:22]
	v_fma_f64 v[25:26], -v[21:22], v[23:24], 1.0
	v_fma_f64 v[23:24], v[23:24], v[25:26], v[23:24]
	v_div_scale_f64 v[25:26], vcc, v[1:2], v[13:14], v[1:2]
	v_fma_f64 v[27:28], -v[21:22], v[23:24], 1.0
	v_fma_f64 v[23:24], v[23:24], v[27:28], v[23:24]
	v_mul_f64 v[27:28], v[25:26], v[23:24]
	v_fma_f64 v[21:22], -v[21:22], v[27:28], v[25:26]
	v_div_fmas_f64 v[21:22], v[21:22], v[23:24], v[27:28]
	v_div_fixup_f64 v[21:22], v[21:22], v[13:14], v[1:2]
	v_fma_f64 v[23:24], -v[21:22], v[15:16], v[3:4]
	ds_read2_b64 v[1:4], v33 offset0:13 offset1:14
	ds_read_b128 v[13:16], v33 offset:208
	s_waitcnt lgkmcnt(2)
	v_fma_f64 v[7:8], -v[21:22], v[17:18], v[7:8]
	v_fma_f64 v[5:6], -v[21:22], v[19:20], v[5:6]
	s_waitcnt lgkmcnt(1)
	v_div_scale_f64 v[25:26], s[6:7], v[1:2], v[1:2], v[23:24]
	v_rcp_f64_e32 v[27:28], v[25:26]
	v_fma_f64 v[29:30], -v[25:26], v[27:28], 1.0
	v_fma_f64 v[27:28], v[27:28], v[29:30], v[27:28]
	v_div_scale_f64 v[29:30], vcc, v[23:24], v[1:2], v[23:24]
	v_fma_f64 v[31:32], -v[25:26], v[27:28], 1.0
	v_fma_f64 v[27:28], v[27:28], v[31:32], v[27:28]
	v_mul_f64 v[31:32], v[29:30], v[27:28]
	v_fma_f64 v[25:26], -v[25:26], v[31:32], v[29:30]
	v_div_fmas_f64 v[25:26], v[25:26], v[27:28], v[31:32]
	v_div_fixup_f64 v[1:2], v[25:26], v[1:2], v[23:24]
	v_fma_f64 v[3:4], -v[1:2], v[3:4], v[7:8]
	s_waitcnt lgkmcnt(0)
	v_div_scale_f64 v[7:8], s[6:7], v[13:14], v[13:14], v[3:4]
	s_or_b32 s6, s9, 8
	s_sub_i32 s6, s11, s6
	s_add_i32 s6, s6, s9
	v_rcp_f64_e32 v[17:18], v[7:8]
	v_fma_f64 v[23:24], -v[7:8], v[17:18], 1.0
	v_fma_f64 v[17:18], v[17:18], v[23:24], v[17:18]
	v_div_scale_f64 v[23:24], vcc, v[3:4], v[13:14], v[3:4]
	v_fma_f64 v[25:26], -v[7:8], v[17:18], 1.0
	v_fma_f64 v[17:18], v[17:18], v[25:26], v[17:18]
	v_mul_f64 v[25:26], v[23:24], v[17:18]
	v_fma_f64 v[7:8], -v[7:8], v[25:26], v[23:24]
	v_div_fmas_f64 v[7:8], v[7:8], v[17:18], v[25:26]
	v_mov_b32_e32 v17, s6
	ds_read_b64 v[17:18], v17 offset:24
	ds_read_b64 v[19:20], v33 offset:312
	s_waitcnt lgkmcnt(1)
	v_fma_f64 v[5:6], -v[1:2], v[17:18], v[5:6]
	v_div_fixup_f64 v[3:4], v[7:8], v[13:14], v[3:4]
	ds_write2_b64 v11, v[21:22], v[1:2] offset1:12
	ds_write_b64 v11, v[3:4] offset:192
	v_fma_f64 v[5:6], -v[3:4], v[15:16], v[5:6]
	s_waitcnt lgkmcnt(2)
	v_div_scale_f64 v[7:8], s[6:7], v[19:20], v[19:20], v[5:6]
	v_div_scale_f64 v[17:18], vcc, v[5:6], v[19:20], v[5:6]
	s_add_i32 s6, s5, 4
	s_add_i32 s5, s5, 7
	s_cmp_ge_i32 s5, s23
	v_rcp_f64_e32 v[13:14], v[7:8]
	v_fma_f64 v[15:16], -v[7:8], v[13:14], 1.0
	v_fma_f64 v[13:14], v[13:14], v[15:16], v[13:14]
	v_fma_f64 v[15:16], -v[7:8], v[13:14], 1.0
	v_fma_f64 v[13:14], v[13:14], v[15:16], v[13:14]
	v_mul_f64 v[15:16], v[17:18], v[13:14]
	v_fma_f64 v[7:8], -v[7:8], v[15:16], v[17:18]
	v_div_fmas_f64 v[7:8], v[7:8], v[13:14], v[15:16]
	v_div_fixup_f64 v[5:6], v[7:8], v[19:20], v[5:6]
	ds_write_b64 v12, v[5:6]
	s_cbranch_scc1 .LBB81_18
; %bb.17:                               ;   in Loop: Header=BB81_14 Depth=1
	s_mov_b32 s5, s6
	s_branch .LBB81_14
.LBB81_18:
	s_cmp_ge_i32 s6, s23
	s_cbranch_scc1 .LBB81_23
; %bb.19:
	v_mov_b32_e32 v1, 0x480
	s_lshl_b32 s4, s6, 3
	v_lshl_or_b32 v3, v0, 3, v1
	s_branch .LBB81_21
.LBB81_20:                              ;   in Loop: Header=BB81_21 Depth=1
	s_lshl_b32 s7, s6, 3
	s_add_i32 s5, s7, s5
	v_mov_b32_e32 v5, s5
	ds_read_b64 v[5:6], v5
	s_add_i32 s6, s6, 1
	s_add_i32 s4, s4, 8
	s_cmp_ge_i32 s6, s23
	s_waitcnt lgkmcnt(0)
	v_div_scale_f64 v[7:8], s[12:13], v[5:6], v[5:6], v[1:2]
	v_div_scale_f64 v[14:15], vcc, v[1:2], v[5:6], v[1:2]
	v_rcp_f64_e32 v[10:11], v[7:8]
	v_fma_f64 v[12:13], -v[7:8], v[10:11], 1.0
	v_fma_f64 v[10:11], v[10:11], v[12:13], v[10:11]
	v_fma_f64 v[12:13], -v[7:8], v[10:11], 1.0
	v_fma_f64 v[10:11], v[10:11], v[12:13], v[10:11]
	v_mul_f64 v[12:13], v[14:15], v[10:11]
	v_fma_f64 v[7:8], -v[7:8], v[12:13], v[14:15]
	v_div_fmas_f64 v[7:8], v[7:8], v[10:11], v[12:13]
	v_div_fixup_f64 v[1:2], v[7:8], v[5:6], v[1:2]
	ds_write_b64 v4, v[1:2]
	s_cbranch_scc1 .LBB81_23
.LBB81_21:                              ; =>This Loop Header: Depth=1
                                        ;     Child Loop BB81_22 Depth 2
	s_mul_i32 s5, s6, 0x60
	v_add_u32_e32 v4, s5, v9
	ds_read_b64 v[1:2], v4
	s_cmp_eq_u32 s6, 0
	v_mov_b32_e32 v5, v3
	s_mov_b32 s7, s4
	s_mov_b32 s9, s6
	s_cbranch_scc1 .LBB81_20
.LBB81_22:                              ;   Parent Loop BB81_21 Depth=1
                                        ; =>  This Inner Loop Header: Depth=2
	v_mov_b32_e32 v8, s7
	ds_read_b64 v[6:7], v5
	ds_read_b64 v[10:11], v8
	s_add_i32 s9, s9, -1
	s_addk_i32 s7, 0x60
	s_cmp_eq_u32 s9, 0
	v_add_u32_e32 v5, 0x60, v5
	s_waitcnt lgkmcnt(0)
	v_fma_f64 v[1:2], -v[6:7], v[10:11], v[1:2]
	s_cbranch_scc0 .LBB81_22
	s_branch .LBB81_20
.LBB81_23:
	s_mov_b64 s[4:5], 0
.LBB81_24:
	s_and_b64 vcc, exec, s[4:5]
	s_cbranch_vccz .LBB81_44
; %bb.25:
	s_andn2_b64 vcc, exec, s[2:3]
	s_mov_b32 s6, s8
	s_cbranch_vccnz .LBB81_31
; %bb.26:
	s_mul_i32 s5, s23, 0x60
	s_mul_i32 s4, s23, 0x68
	v_lshl_add_u32 v1, v0, 3, s5
	s_addk_i32 s4, 0xff80
	v_add_u32_e32 v10, 0x420, v1
	s_mov_b32 s5, s8
.LBB81_27:                              ; =>This Loop Header: Depth=1
                                        ;     Child Loop BB81_28 Depth 2
	s_mul_i32 s6, s5, 0x60
	v_add_u32_e32 v11, s6, v9
	s_add_i32 s7, s6, 0xfffffee0
	v_add_u32_e32 v13, 0xffffffa0, v11
	v_add_u32_e32 v14, 0xffffff40, v11
	;; [unrolled: 1-line block ×3, first 2 shown]
	ds_read_b64 v[7:8], v11
	ds_read_b64 v[5:6], v13
	;; [unrolled: 1-line block ×4, first 2 shown]
	s_cmp_le_i32 s8, s5
	v_mov_b32_e32 v15, v10
	s_mov_b32 s9, s4
	s_mov_b32 s11, s8
	s_cbranch_scc1 .LBB81_29
.LBB81_28:                              ;   Parent Loop BB81_27 Depth=1
                                        ; =>  This Inner Loop Header: Depth=2
	v_mov_b32_e32 v20, s9
	ds_read_b64 v[24:25], v15
	ds_read2_b64 v[16:19], v20 offset0:2 offset1:3
	ds_read2_b64 v[20:23], v20 offset1:1
	s_add_i32 s11, s11, -1
	s_addk_i32 s9, 0xffa0
	s_cmp_le_i32 s11, s5
	s_waitcnt lgkmcnt(1)
	v_fma_f64 v[7:8], -v[24:25], v[18:19], v[7:8]
	v_fma_f64 v[5:6], -v[24:25], v[16:17], v[5:6]
	s_waitcnt lgkmcnt(0)
	v_fma_f64 v[3:4], -v[24:25], v[22:23], v[3:4]
	v_fma_f64 v[1:2], -v[24:25], v[20:21], v[1:2]
	v_add_u32_e32 v15, 0xffffffa0, v15
	s_cbranch_scc0 .LBB81_28
.LBB81_29:                              ;   in Loop: Header=BB81_27 Depth=1
	s_lshl_b32 s11, s5, 3
	s_add_i32 s16, s11, s6
	s_add_i32 s12, s16, -8
	v_mov_b32_e32 v15, s12
	ds_read2_b64 v[15:18], v15 offset1:1
	s_add_i32 s12, s16, 0xffffff98
	v_mov_b32_e32 v19, s12
	ds_read_b64 v[19:20], v19
	s_add_i32 s9, s5, -3
	s_waitcnt lgkmcnt(1)
	v_div_scale_f64 v[21:22], s[12:13], v[17:18], v[17:18], v[7:8]
	s_lshl_b32 s9, s9, 3
	s_add_i32 s6, s6, s9
	s_add_i32 s9, s6, 0xffffffa0
	s_addk_i32 s6, 0xff40
	s_add_i32 s11, s11, s7
	s_sub_i32 s4, s4, 32
	v_rcp_f64_e32 v[23:24], v[21:22]
	v_fma_f64 v[25:26], -v[21:22], v[23:24], 1.0
	v_fma_f64 v[23:24], v[23:24], v[25:26], v[23:24]
	v_div_scale_f64 v[25:26], vcc, v[7:8], v[17:18], v[7:8]
	v_fma_f64 v[27:28], -v[21:22], v[23:24], 1.0
	v_fma_f64 v[23:24], v[23:24], v[27:28], v[23:24]
	v_mul_f64 v[27:28], v[25:26], v[23:24]
	v_fma_f64 v[21:22], -v[21:22], v[27:28], v[25:26]
	v_div_fmas_f64 v[21:22], v[21:22], v[23:24], v[27:28]
	v_div_fixup_f64 v[21:22], v[21:22], v[17:18], v[7:8]
	v_fma_f64 v[23:24], -v[21:22], v[15:16], v[5:6]
	s_waitcnt lgkmcnt(0)
	v_div_scale_f64 v[5:6], s[12:13], v[19:20], v[19:20], v[23:24]
	s_sub_i32 s12, s16, 24
	v_rcp_f64_e32 v[7:8], v[5:6]
	v_fma_f64 v[15:16], -v[5:6], v[7:8], 1.0
	v_fma_f64 v[7:8], v[7:8], v[15:16], v[7:8]
	v_div_scale_f64 v[15:16], vcc, v[23:24], v[19:20], v[23:24]
	v_fma_f64 v[17:18], -v[5:6], v[7:8], 1.0
	v_fma_f64 v[7:8], v[7:8], v[17:18], v[7:8]
	v_mul_f64 v[17:18], v[15:16], v[7:8]
	v_fma_f64 v[5:6], -v[5:6], v[17:18], v[15:16]
	v_mov_b32_e32 v15, s9
	v_div_fmas_f64 v[25:26], v[5:6], v[7:8], v[17:18]
	v_mov_b32_e32 v5, s12
	ds_read2_b64 v[5:8], v5 offset1:1
	ds_read2_b64 v[15:18], v15 offset1:1
	s_waitcnt lgkmcnt(1)
	v_fma_f64 v[3:4], -v[21:22], v[7:8], v[3:4]
	v_fma_f64 v[1:2], -v[21:22], v[5:6], v[1:2]
	v_div_fixup_f64 v[7:8], v[25:26], v[19:20], v[23:24]
	s_waitcnt lgkmcnt(0)
	v_fma_f64 v[3:4], -v[7:8], v[17:18], v[3:4]
	v_mov_b32_e32 v17, s6
	ds_read2_b64 v[17:20], v17 offset1:1
	s_sub_i32 s6, s11, 24
	v_mov_b32_e32 v23, s6
	ds_read_b64 v[23:24], v23
	v_fma_f64 v[1:2], -v[7:8], v[15:16], v[1:2]
	s_waitcnt lgkmcnt(1)
	v_div_scale_f64 v[25:26], s[6:7], v[19:20], v[19:20], v[3:4]
	v_rcp_f64_e32 v[27:28], v[25:26]
	v_fma_f64 v[29:30], -v[25:26], v[27:28], 1.0
	v_fma_f64 v[27:28], v[27:28], v[29:30], v[27:28]
	v_fma_f64 v[29:30], -v[25:26], v[27:28], 1.0
	v_fma_f64 v[27:28], v[27:28], v[29:30], v[27:28]
	v_div_scale_f64 v[29:30], vcc, v[3:4], v[19:20], v[3:4]
	v_mul_f64 v[31:32], v[29:30], v[27:28]
	v_fma_f64 v[25:26], -v[25:26], v[31:32], v[29:30]
	s_nop 1
	v_div_fmas_f64 v[25:26], v[25:26], v[27:28], v[31:32]
	v_div_fixup_f64 v[3:4], v[25:26], v[19:20], v[3:4]
	ds_write_b64 v11, v[21:22]
	ds_write_b64 v13, v[7:8]
	;; [unrolled: 1-line block ×3, first 2 shown]
	v_fma_f64 v[1:2], -v[3:4], v[17:18], v[1:2]
	s_waitcnt lgkmcnt(3)
	v_div_scale_f64 v[5:6], s[6:7], v[23:24], v[23:24], v[1:2]
	v_div_scale_f64 v[19:20], vcc, v[1:2], v[23:24], v[1:2]
	s_add_i32 s6, s5, -4
	s_cmp_lt_i32 s5, 7
	v_rcp_f64_e32 v[15:16], v[5:6]
	v_fma_f64 v[17:18], -v[5:6], v[15:16], 1.0
	v_fma_f64 v[15:16], v[15:16], v[17:18], v[15:16]
	v_fma_f64 v[17:18], -v[5:6], v[15:16], 1.0
	v_fma_f64 v[15:16], v[15:16], v[17:18], v[15:16]
	v_mul_f64 v[17:18], v[19:20], v[15:16]
	v_fma_f64 v[5:6], -v[5:6], v[17:18], v[19:20]
	v_div_fmas_f64 v[5:6], v[5:6], v[15:16], v[17:18]
	v_div_fixup_f64 v[1:2], v[5:6], v[23:24], v[1:2]
	ds_write_b64 v12, v[1:2]
	s_cbranch_scc1 .LBB81_31
; %bb.30:                               ;   in Loop: Header=BB81_27 Depth=1
	s_mov_b32 s5, s6
	s_branch .LBB81_27
.LBB81_31:
	s_cmp_lt_i32 s6, 0
	s_cbranch_scc1 .LBB81_44
; %bb.32:
	s_bitcmp1_b32 s6, 0
	s_cselect_b64 s[4:5], -1, 0
	s_and_b64 vcc, exec, s[4:5]
	s_mov_b32 s4, s6
	s_cbranch_vccnz .LBB81_37
; %bb.33:
	s_mul_i32 s4, s6, 0x60
	v_add_u32_e32 v3, s4, v9
	ds_read_b64 v[1:2], v3
	s_cmp_le_i32 s8, s6
	s_cbranch_scc1 .LBB81_36
; %bb.34:
	s_mul_i32 s7, s23, 0x60
	s_lshl_b32 s5, s6, 3
	s_add_i32 s5, s7, s5
	v_lshl_add_u32 v4, v0, 3, s7
	s_addk_i32 s5, 0xffa0
	v_add_u32_e32 v4, 0x420, v4
	s_mov_b32 s7, s8
.LBB81_35:                              ; =>This Inner Loop Header: Depth=1
	v_mov_b32_e32 v7, s5
	ds_read_b64 v[5:6], v4
	ds_read_b64 v[7:8], v7
	s_add_i32 s7, s7, -1
	s_addk_i32 s5, 0xffa0
	s_cmp_gt_u32 s7, s6
	v_add_u32_e32 v4, 0xffffffa0, v4
	s_waitcnt lgkmcnt(0)
	v_fma_f64 v[1:2], -v[5:6], v[7:8], v[1:2]
	s_cbranch_scc1 .LBB81_35
.LBB81_36:
	s_lshl_b32 s5, s6, 3
	s_add_i32 s4, s5, s4
	v_mov_b32_e32 v4, s4
	ds_read_b64 v[4:5], v4
	s_waitcnt lgkmcnt(0)
	v_div_scale_f64 v[6:7], s[4:5], v[4:5], v[4:5], v[1:2]
	s_add_i32 s4, s6, -1
	v_rcp_f64_e32 v[10:11], v[6:7]
	v_fma_f64 v[12:13], -v[6:7], v[10:11], 1.0
	v_fma_f64 v[10:11], v[10:11], v[12:13], v[10:11]
	v_div_scale_f64 v[12:13], vcc, v[1:2], v[4:5], v[1:2]
	v_fma_f64 v[14:15], -v[6:7], v[10:11], 1.0
	v_fma_f64 v[10:11], v[10:11], v[14:15], v[10:11]
	v_mul_f64 v[14:15], v[12:13], v[10:11]
	v_fma_f64 v[6:7], -v[6:7], v[14:15], v[12:13]
	v_div_fmas_f64 v[6:7], v[6:7], v[10:11], v[14:15]
	v_div_fixup_f64 v[1:2], v[6:7], v[4:5], v[1:2]
	ds_write_b64 v3, v[1:2]
.LBB81_37:
	s_cmp_eq_u32 s6, 0
	s_cbranch_scc1 .LBB81_44
; %bb.38:
	s_mul_i32 s6, s23, 0x60
	s_lshl_b32 s5, s4, 3
	s_add_i32 s7, s6, s5
	v_lshl_add_u32 v1, v0, 3, s6
	s_add_i32 s5, s7, 0xffffffa0
	v_add_u32_e32 v5, 0x420, v1
	s_add_i32 s6, s7, 0xffffff98
	s_branch .LBB81_40
.LBB81_39:                              ;   in Loop: Header=BB81_40 Depth=1
	s_mul_i32 s11, s9, 0x60
	s_add_i32 s7, s7, s11
	s_add_i32 s7, s7, -8
	v_mov_b32_e32 v3, s7
	ds_read_b64 v[3:4], v3
	s_add_i32 s4, s4, -2
	s_add_i32 s5, s5, -16
	;; [unrolled: 1-line block ×3, first 2 shown]
	s_cmp_eq_u32 s9, 0
	s_waitcnt lgkmcnt(0)
	v_div_scale_f64 v[10:11], s[12:13], v[3:4], v[3:4], v[1:2]
	v_div_scale_f64 v[16:17], vcc, v[1:2], v[3:4], v[1:2]
	v_rcp_f64_e32 v[12:13], v[10:11]
	v_fma_f64 v[14:15], -v[10:11], v[12:13], 1.0
	v_fma_f64 v[12:13], v[12:13], v[14:15], v[12:13]
	v_fma_f64 v[14:15], -v[10:11], v[12:13], 1.0
	v_fma_f64 v[12:13], v[12:13], v[14:15], v[12:13]
	v_mul_f64 v[14:15], v[16:17], v[12:13]
	v_fma_f64 v[10:11], -v[10:11], v[14:15], v[16:17]
	v_div_fmas_f64 v[10:11], v[10:11], v[12:13], v[14:15]
	v_div_fixup_f64 v[1:2], v[10:11], v[3:4], v[1:2]
	ds_write_b64 v7, v[1:2]
	s_cbranch_scc1 .LBB81_44
.LBB81_40:                              ; =>This Loop Header: Depth=1
                                        ;     Child Loop BB81_41 Depth 2
                                        ;     Child Loop BB81_43 Depth 2
	s_mul_i32 s9, s4, 0x60
	v_add_u32_e32 v6, s9, v9
	ds_read_b64 v[3:4], v6
	s_cmp_le_i32 s8, s4
	v_mov_b32_e32 v1, v5
	s_mov_b32 s7, s5
	s_mov_b32 s11, s8
	s_cbranch_scc1 .LBB81_42
.LBB81_41:                              ;   Parent Loop BB81_40 Depth=1
                                        ; =>  This Inner Loop Header: Depth=2
	v_mov_b32_e32 v2, s7
	ds_read_b64 v[7:8], v1
	ds_read_b64 v[10:11], v2
	s_add_i32 s11, s11, -1
	s_addk_i32 s7, 0xffa0
	s_cmp_le_u32 s11, s4
	v_add_u32_e32 v1, 0xffffffa0, v1
	s_waitcnt lgkmcnt(0)
	v_fma_f64 v[3:4], -v[7:8], v[10:11], v[3:4]
	s_cbranch_scc0 .LBB81_41
.LBB81_42:                              ;   in Loop: Header=BB81_40 Depth=1
	s_lshl_b32 s7, s4, 3
	s_add_i32 s11, s7, s9
	v_mov_b32_e32 v1, s11
	ds_read_b64 v[10:11], v1
	s_addk_i32 s9, 0xffa0
	v_add_u32_e32 v7, s9, v9
	ds_read_b64 v[1:2], v7
	s_add_i32 s9, s4, -1
	s_waitcnt lgkmcnt(1)
	v_div_scale_f64 v[12:13], s[12:13], v[10:11], v[10:11], v[3:4]
	s_mov_b32 s11, s6
	s_cmp_le_i32 s23, s4
	s_mov_b32 s12, s8
	v_rcp_f64_e32 v[14:15], v[12:13]
	v_fma_f64 v[16:17], -v[12:13], v[14:15], 1.0
	v_fma_f64 v[14:15], v[14:15], v[16:17], v[14:15]
	v_div_scale_f64 v[16:17], vcc, v[3:4], v[10:11], v[3:4]
	v_fma_f64 v[18:19], -v[12:13], v[14:15], 1.0
	v_fma_f64 v[14:15], v[14:15], v[18:19], v[14:15]
	v_mul_f64 v[18:19], v[16:17], v[14:15]
	v_fma_f64 v[12:13], -v[12:13], v[18:19], v[16:17]
	v_div_fmas_f64 v[12:13], v[12:13], v[14:15], v[18:19]
	v_div_fixup_f64 v[10:11], v[12:13], v[10:11], v[3:4]
	v_mov_b32_e32 v3, v5
	ds_write_b64 v6, v[10:11]
	s_cbranch_scc1 .LBB81_39
.LBB81_43:                              ;   Parent Loop BB81_40 Depth=1
                                        ; =>  This Inner Loop Header: Depth=2
	v_mov_b32_e32 v4, s11
	ds_read_b64 v[10:11], v3
	ds_read_b64 v[12:13], v4
	s_add_i32 s12, s12, -1
	s_addk_i32 s11, 0xffa0
	s_cmp_gt_u32 s12, s9
	v_add_u32_e32 v3, 0xffffffa0, v3
	s_waitcnt lgkmcnt(0)
	v_fma_f64 v[1:2], -v[10:11], v[12:13], v[1:2]
	s_cbranch_scc1 .LBB81_43
	s_branch .LBB81_39
.LBB81_44:
	s_mov_b64 s[6:7], 0
.LBB81_45:
	s_andn2_b64 vcc, exec, s[6:7]
	s_cbranch_vccnz .LBB81_65
; %bb.46:
	s_andn2_b64 vcc, exec, s[2:3]
	s_mov_b32 s4, s8
	s_cbranch_vccnz .LBB81_52
; %bb.47:
	s_mul_i32 s2, s23, 0x60
	v_lshl_add_u32 v1, v0, 3, s2
	s_mul_i32 s2, s23, 0x68
	v_add_u32_e32 v10, 0x420, v1
	s_addk_i32 s2, 0xfe78
	s_mov_b32 s3, s8
.LBB81_48:                              ; =>This Loop Header: Depth=1
                                        ;     Child Loop BB81_49 Depth 2
	s_mul_i32 s4, s3, 12
	v_lshl_add_u32 v12, s4, 3, v9
	v_add_u32_e32 v13, 0xffffffa0, v12
	v_add_u32_e32 v14, 0xffffff40, v12
	;; [unrolled: 1-line block ×3, first 2 shown]
	ds_read_b64 v[7:8], v12
	ds_read_b64 v[5:6], v13
	;; [unrolled: 1-line block ×4, first 2 shown]
	s_cmp_le_i32 s8, s3
	s_mov_b32 s5, s2
	v_mov_b32_e32 v15, v10
	s_mov_b32 s6, s8
	s_cbranch_scc1 .LBB81_50
.LBB81_49:                              ;   Parent Loop BB81_48 Depth=1
                                        ; =>  This Inner Loop Header: Depth=2
	v_mov_b32_e32 v20, s5
	ds_read_b64 v[24:25], v15
	ds_read2_b64 v[16:19], v20 offset0:24 offset1:36
	ds_read2_b64 v[20:23], v20 offset1:12
	s_add_i32 s6, s6, -1
	s_add_i32 s5, s5, -8
	s_cmp_le_i32 s6, s3
	s_waitcnt lgkmcnt(1)
	v_fma_f64 v[7:8], -v[24:25], v[18:19], v[7:8]
	v_fma_f64 v[5:6], -v[24:25], v[16:17], v[5:6]
	s_waitcnt lgkmcnt(0)
	v_fma_f64 v[3:4], -v[24:25], v[22:23], v[3:4]
	v_fma_f64 v[1:2], -v[24:25], v[20:21], v[1:2]
	v_add_u32_e32 v15, 0xffffffa0, v15
	s_cbranch_scc0 .LBB81_49
.LBB81_50:                              ;   in Loop: Header=BB81_48 Depth=1
	s_mul_i32 s5, s3, 0x68
	v_mov_b32_e32 v15, s5
	ds_read_b64 v[19:20], v15
	s_lshl_b32 s4, s4, 3
	s_lshl_b32 s5, s3, 3
	s_add_i32 s6, s4, s5
	s_add_i32 s4, s6, 0xffffff98
	v_mov_b32_e32 v15, s4
	s_waitcnt lgkmcnt(0)
	v_div_scale_f64 v[21:22], s[4:5], v[19:20], v[19:20], v[7:8]
	ds_read2_b64 v[15:18], v15 offset1:1
	s_addk_i32 s2, 0xfe80
	v_rcp_f64_e32 v[23:24], v[21:22]
	v_fma_f64 v[25:26], -v[21:22], v[23:24], 1.0
	v_fma_f64 v[23:24], v[23:24], v[25:26], v[23:24]
	v_div_scale_f64 v[25:26], vcc, v[7:8], v[19:20], v[7:8]
	v_fma_f64 v[27:28], -v[21:22], v[23:24], 1.0
	v_fma_f64 v[23:24], v[23:24], v[27:28], v[23:24]
	v_mul_f64 v[27:28], v[25:26], v[23:24]
	v_fma_f64 v[21:22], -v[21:22], v[27:28], v[25:26]
	v_div_fmas_f64 v[21:22], v[21:22], v[23:24], v[27:28]
	v_div_fixup_f64 v[23:24], v[21:22], v[19:20], v[7:8]
	s_waitcnt lgkmcnt(0)
	v_fma_f64 v[17:18], -v[23:24], v[17:18], v[5:6]
	v_div_scale_f64 v[5:6], s[4:5], v[15:16], v[15:16], v[17:18]
	s_add_i32 s4, s6, 0xffffff40
	v_rcp_f64_e32 v[7:8], v[5:6]
	v_fma_f64 v[19:20], -v[5:6], v[7:8], 1.0
	v_fma_f64 v[7:8], v[7:8], v[19:20], v[7:8]
	v_div_scale_f64 v[19:20], vcc, v[17:18], v[15:16], v[17:18]
	v_fma_f64 v[21:22], -v[5:6], v[7:8], 1.0
	v_fma_f64 v[7:8], v[7:8], v[21:22], v[7:8]
	v_mul_f64 v[21:22], v[19:20], v[7:8]
	v_fma_f64 v[5:6], -v[5:6], v[21:22], v[19:20]
	v_div_fmas_f64 v[19:20], v[5:6], v[7:8], v[21:22]
	v_mov_b32_e32 v5, s4
	ds_read_b64 v[21:22], v5
	s_add_i32 s4, s6, 0xffffff30
	v_mov_b32_e32 v5, s4
	ds_read2_b64 v[5:8], v5 offset1:1
	s_waitcnt lgkmcnt(1)
	v_fma_f64 v[3:4], -v[23:24], v[21:22], v[3:4]
	v_div_fixup_f64 v[25:26], v[19:20], v[15:16], v[17:18]
	s_waitcnt lgkmcnt(0)
	v_fma_f64 v[3:4], -v[25:26], v[7:8], v[3:4]
	v_div_scale_f64 v[7:8], s[4:5], v[5:6], v[5:6], v[3:4]
	s_add_i32 s4, s6, 0xfffffed8
	v_rcp_f64_e32 v[15:16], v[7:8]
	v_fma_f64 v[17:18], -v[7:8], v[15:16], 1.0
	v_fma_f64 v[15:16], v[15:16], v[17:18], v[15:16]
	v_div_scale_f64 v[17:18], vcc, v[3:4], v[5:6], v[3:4]
	v_fma_f64 v[19:20], -v[7:8], v[15:16], 1.0
	v_fma_f64 v[15:16], v[15:16], v[19:20], v[15:16]
	v_mul_f64 v[19:20], v[17:18], v[15:16]
	v_fma_f64 v[7:8], -v[7:8], v[19:20], v[17:18]
	v_div_fmas_f64 v[7:8], v[7:8], v[15:16], v[19:20]
	v_mov_b32_e32 v15, s4
	ds_read2_b64 v[15:18], v15 offset1:1
	s_add_i32 s4, s6, 0xfffffec8
	v_mov_b32_e32 v19, s4
	ds_read2_b64 v[19:22], v19 offset1:1
	s_waitcnt lgkmcnt(1)
	v_fma_f64 v[1:2], -v[23:24], v[17:18], v[1:2]
	v_fma_f64 v[1:2], -v[25:26], v[15:16], v[1:2]
	v_div_fixup_f64 v[3:4], v[7:8], v[5:6], v[3:4]
	ds_write_b64 v12, v[23:24]
	ds_write_b64 v13, v[25:26]
	;; [unrolled: 1-line block ×3, first 2 shown]
	s_waitcnt lgkmcnt(3)
	v_fma_f64 v[1:2], -v[3:4], v[21:22], v[1:2]
	v_div_scale_f64 v[5:6], s[4:5], v[19:20], v[19:20], v[1:2]
	v_div_scale_f64 v[17:18], vcc, v[1:2], v[19:20], v[1:2]
	s_add_i32 s4, s3, -4
	s_cmp_lt_i32 s3, 7
	v_rcp_f64_e32 v[7:8], v[5:6]
	v_fma_f64 v[15:16], -v[5:6], v[7:8], 1.0
	v_fma_f64 v[7:8], v[7:8], v[15:16], v[7:8]
	v_fma_f64 v[15:16], -v[5:6], v[7:8], 1.0
	v_fma_f64 v[7:8], v[7:8], v[15:16], v[7:8]
	v_mul_f64 v[15:16], v[17:18], v[7:8]
	v_fma_f64 v[5:6], -v[5:6], v[15:16], v[17:18]
	v_div_fmas_f64 v[5:6], v[5:6], v[7:8], v[15:16]
	v_div_fixup_f64 v[1:2], v[5:6], v[19:20], v[1:2]
	ds_write_b64 v11, v[1:2]
	s_cbranch_scc1 .LBB81_52
; %bb.51:                               ;   in Loop: Header=BB81_48 Depth=1
	s_mov_b32 s3, s4
	s_branch .LBB81_48
.LBB81_52:
	s_cmp_lt_i32 s4, 0
	s_cbranch_scc1 .LBB81_65
; %bb.53:
	s_bitcmp1_b32 s4, 0
	s_cselect_b64 s[2:3], -1, 0
	s_and_b64 vcc, exec, s[2:3]
	s_mov_b32 s2, s4
	s_cbranch_vccnz .LBB81_58
; %bb.54:
	s_mul_i32 s2, s4, 0x60
	v_add_u32_e32 v3, s2, v9
	ds_read_b64 v[1:2], v3
	s_cmp_le_i32 s8, s4
	s_cbranch_scc1 .LBB81_57
; %bb.55:
	s_lshl_b32 s3, s23, 3
	s_add_i32 s2, s2, s3
	s_mul_i32 s3, s23, 0x60
	v_lshl_add_u32 v4, v0, 3, s3
	s_add_i32 s2, s2, -8
	v_add_u32_e32 v4, 0x420, v4
	s_mov_b32 s3, s8
.LBB81_56:                              ; =>This Inner Loop Header: Depth=1
	v_mov_b32_e32 v7, s2
	ds_read_b64 v[5:6], v4
	ds_read_b64 v[7:8], v7
	s_add_i32 s3, s3, -1
	s_add_i32 s2, s2, -8
	s_cmp_gt_u32 s3, s4
	v_add_u32_e32 v4, 0xffffffa0, v4
	s_waitcnt lgkmcnt(0)
	v_fma_f64 v[1:2], -v[5:6], v[7:8], v[1:2]
	s_cbranch_scc1 .LBB81_56
.LBB81_57:
	s_mul_i32 s2, s4, 0x68
	v_mov_b32_e32 v4, s2
	ds_read_b64 v[4:5], v4
	s_waitcnt lgkmcnt(0)
	v_div_scale_f64 v[6:7], s[2:3], v[4:5], v[4:5], v[1:2]
	s_add_i32 s2, s4, -1
	v_rcp_f64_e32 v[10:11], v[6:7]
	v_fma_f64 v[12:13], -v[6:7], v[10:11], 1.0
	v_fma_f64 v[10:11], v[10:11], v[12:13], v[10:11]
	v_div_scale_f64 v[12:13], vcc, v[1:2], v[4:5], v[1:2]
	v_fma_f64 v[14:15], -v[6:7], v[10:11], 1.0
	v_fma_f64 v[10:11], v[10:11], v[14:15], v[10:11]
	v_mul_f64 v[14:15], v[12:13], v[10:11]
	v_fma_f64 v[6:7], -v[6:7], v[14:15], v[12:13]
	v_div_fmas_f64 v[6:7], v[6:7], v[10:11], v[14:15]
	v_div_fixup_f64 v[1:2], v[6:7], v[4:5], v[1:2]
	ds_write_b64 v3, v[1:2]
.LBB81_58:
	s_cmp_eq_u32 s4, 0
	s_cbranch_scc1 .LBB81_65
; %bb.59:
	s_mul_i32 s3, s23, 0x60
	v_lshl_add_u32 v1, v0, 3, s3
	s_mul_i32 s3, s2, 0x60
	s_lshl_b32 s4, s23, 3
	s_add_i32 s4, s3, s4
	v_add_u32_e32 v5, 0x420, v1
	s_add_i32 s3, s4, -8
	s_addk_i32 s4, 0xff98
	s_branch .LBB81_61
.LBB81_60:                              ;   in Loop: Header=BB81_61 Depth=1
	s_addk_i32 s5, 0xff98
	v_mov_b32_e32 v3, s5
	ds_read_b64 v[3:4], v3
	s_add_i32 s2, s2, -2
	s_addk_i32 s3, 0xff40
	s_addk_i32 s4, 0xff40
	s_cmp_eq_u32 s6, 0
	s_waitcnt lgkmcnt(0)
	v_div_scale_f64 v[10:11], s[12:13], v[3:4], v[3:4], v[1:2]
	v_div_scale_f64 v[16:17], vcc, v[1:2], v[3:4], v[1:2]
	v_rcp_f64_e32 v[12:13], v[10:11]
	v_fma_f64 v[14:15], -v[10:11], v[12:13], 1.0
	v_fma_f64 v[12:13], v[12:13], v[14:15], v[12:13]
	v_fma_f64 v[14:15], -v[10:11], v[12:13], 1.0
	v_fma_f64 v[12:13], v[12:13], v[14:15], v[12:13]
	v_mul_f64 v[14:15], v[16:17], v[12:13]
	v_fma_f64 v[10:11], -v[10:11], v[14:15], v[16:17]
	v_div_fmas_f64 v[10:11], v[10:11], v[12:13], v[14:15]
	v_div_fixup_f64 v[1:2], v[10:11], v[3:4], v[1:2]
	ds_write_b64 v7, v[1:2]
	s_cbranch_scc1 .LBB81_65
.LBB81_61:                              ; =>This Loop Header: Depth=1
                                        ;     Child Loop BB81_62 Depth 2
                                        ;     Child Loop BB81_64 Depth 2
	s_mul_i32 s5, s2, 0x60
	v_add_u32_e32 v6, s5, v9
	ds_read_b64 v[3:4], v6
	s_cmp_le_i32 s8, s2
	s_mov_b32 s5, s3
	v_mov_b32_e32 v1, v5
	s_mov_b32 s6, s8
	s_cbranch_scc1 .LBB81_63
.LBB81_62:                              ;   Parent Loop BB81_61 Depth=1
                                        ; =>  This Inner Loop Header: Depth=2
	v_mov_b32_e32 v2, s5
	ds_read_b64 v[7:8], v1
	ds_read_b64 v[10:11], v2
	s_add_i32 s6, s6, -1
	s_add_i32 s5, s5, -8
	s_cmp_le_u32 s6, s2
	v_add_u32_e32 v1, 0xffffffa0, v1
	s_waitcnt lgkmcnt(0)
	v_fma_f64 v[3:4], -v[7:8], v[10:11], v[3:4]
	s_cbranch_scc0 .LBB81_62
.LBB81_63:                              ;   in Loop: Header=BB81_61 Depth=1
	s_mul_i32 s5, s2, 0x68
	v_mov_b32_e32 v1, s5
	ds_read_b64 v[10:11], v1
	v_add_u32_e32 v7, 0xffffffa0, v6
	ds_read_b64 v[1:2], v7
	s_mov_b32 s9, s8
	s_waitcnt lgkmcnt(1)
	v_div_scale_f64 v[12:13], s[6:7], v[10:11], v[10:11], v[3:4]
	s_add_i32 s6, s2, -1
	s_mov_b32 s7, s4
	s_cmp_le_i32 s23, s2
	v_rcp_f64_e32 v[14:15], v[12:13]
	v_fma_f64 v[16:17], -v[12:13], v[14:15], 1.0
	v_fma_f64 v[14:15], v[14:15], v[16:17], v[14:15]
	v_div_scale_f64 v[16:17], vcc, v[3:4], v[10:11], v[3:4]
	v_fma_f64 v[18:19], -v[12:13], v[14:15], 1.0
	v_fma_f64 v[14:15], v[14:15], v[18:19], v[14:15]
	v_mul_f64 v[18:19], v[16:17], v[14:15]
	v_fma_f64 v[12:13], -v[12:13], v[18:19], v[16:17]
	v_div_fmas_f64 v[12:13], v[12:13], v[14:15], v[18:19]
	v_div_fixup_f64 v[10:11], v[12:13], v[10:11], v[3:4]
	v_mov_b32_e32 v3, v5
	ds_write_b64 v6, v[10:11]
	s_cbranch_scc1 .LBB81_60
.LBB81_64:                              ;   Parent Loop BB81_61 Depth=1
                                        ; =>  This Inner Loop Header: Depth=2
	v_mov_b32_e32 v4, s7
	ds_read_b64 v[10:11], v3
	ds_read_b64 v[12:13], v4
	s_add_i32 s9, s9, -1
	s_add_i32 s7, s7, -8
	s_cmp_gt_u32 s9, s6
	v_add_u32_e32 v3, 0xffffffa0, v3
	s_waitcnt lgkmcnt(0)
	v_fma_f64 v[1:2], -v[10:11], v[12:13], v[1:2]
	s_cbranch_scc1 .LBB81_64
	s_branch .LBB81_60
.LBB81_65:
	s_mov_b64 s[6:7], 0
.LBB81_66:
	s_andn2_b64 vcc, exec, s[6:7]
	s_cbranch_vccnz .LBB81_78
; %bb.67:
	v_mov_b32_e32 v1, 0x480
	v_lshl_or_b32 v9, v0, 3, v1
	s_cmp_lt_i32 s22, 4
	s_mov_b32 s4, 0
	s_cbranch_scc1 .LBB81_73
; %bb.68:
	s_mov_b32 s2, 0
	s_mov_b32 s3, 0
.LBB81_69:                              ; =>This Loop Header: Depth=1
                                        ;     Child Loop BB81_70 Depth 2
	s_mul_i32 s4, s3, 12
	v_lshl_add_u32 v10, s4, 3, v9
	ds_read2_b64 v[5:8], v10 offset1:12
	ds_read2_b64 v[1:4], v10 offset0:24 offset1:36
	s_cmp_eq_u32 s3, 0
	s_mov_b32 s5, s2
	v_mov_b32_e32 v11, v9
	s_mov_b32 s6, s3
	s_cbranch_scc1 .LBB81_71
.LBB81_70:                              ;   Parent Loop BB81_69 Depth=1
                                        ; =>  This Inner Loop Header: Depth=2
	v_mov_b32_e32 v16, s5
	ds_read_b64 v[20:21], v11
	ds_read2_b64 v[12:15], v16 offset1:12
	ds_read2_b64 v[16:19], v16 offset0:24 offset1:36
	s_add_i32 s6, s6, -1
	s_add_i32 s5, s5, 8
	s_cmp_eq_u32 s6, 0
	s_waitcnt lgkmcnt(1)
	v_fma_f64 v[5:6], -v[20:21], v[12:13], v[5:6]
	v_fma_f64 v[7:8], -v[20:21], v[14:15], v[7:8]
	s_waitcnt lgkmcnt(0)
	v_fma_f64 v[1:2], -v[20:21], v[16:17], v[1:2]
	v_fma_f64 v[3:4], -v[20:21], v[18:19], v[3:4]
	v_add_u32_e32 v11, 0x60, v11
	s_cbranch_scc0 .LBB81_70
.LBB81_71:                              ;   in Loop: Header=BB81_69 Depth=1
	s_mul_i32 s5, s3, 0x68
	v_mov_b32_e32 v11, s5
	ds_read_b64 v[15:16], v11
	s_lshl_b32 s4, s4, 3
	s_lshl_b32 s5, s3, 3
	s_add_i32 s4, s4, s5
	v_mov_b32_e32 v25, s4
	s_waitcnt lgkmcnt(0)
	v_div_scale_f64 v[17:18], s[4:5], v[15:16], v[15:16], v[5:6]
	ds_read_b128 v[11:14], v25 offset:96
	s_addk_i32 s2, 0x180
	v_rcp_f64_e32 v[19:20], v[17:18]
	v_fma_f64 v[21:22], -v[17:18], v[19:20], 1.0
	v_fma_f64 v[19:20], v[19:20], v[21:22], v[19:20]
	v_div_scale_f64 v[21:22], vcc, v[5:6], v[15:16], v[5:6]
	v_fma_f64 v[23:24], -v[17:18], v[19:20], 1.0
	v_fma_f64 v[19:20], v[19:20], v[23:24], v[19:20]
	v_mul_f64 v[23:24], v[21:22], v[19:20]
	v_fma_f64 v[17:18], -v[17:18], v[23:24], v[21:22]
	v_div_fmas_f64 v[17:18], v[17:18], v[19:20], v[23:24]
	v_div_fixup_f64 v[15:16], v[17:18], v[15:16], v[5:6]
	s_waitcnt lgkmcnt(0)
	v_fma_f64 v[11:12], -v[15:16], v[11:12], v[7:8]
	v_div_scale_f64 v[5:6], s[4:5], v[13:14], v[13:14], v[11:12]
	v_rcp_f64_e32 v[7:8], v[5:6]
	v_fma_f64 v[17:18], -v[5:6], v[7:8], 1.0
	v_fma_f64 v[7:8], v[7:8], v[17:18], v[7:8]
	v_div_scale_f64 v[17:18], vcc, v[11:12], v[13:14], v[11:12]
	v_fma_f64 v[19:20], -v[5:6], v[7:8], 1.0
	v_fma_f64 v[7:8], v[7:8], v[19:20], v[7:8]
	v_mul_f64 v[19:20], v[17:18], v[7:8]
	v_fma_f64 v[5:6], -v[5:6], v[19:20], v[17:18]
	v_div_fmas_f64 v[17:18], v[5:6], v[7:8], v[19:20]
	ds_read_b128 v[5:8], v25 offset:192
	ds_read_b64 v[19:20], v25 offset:208
	s_waitcnt lgkmcnt(1)
	v_fma_f64 v[1:2], -v[15:16], v[5:6], v[1:2]
	v_div_fixup_f64 v[17:18], v[17:18], v[13:14], v[11:12]
	v_fma_f64 v[1:2], -v[17:18], v[7:8], v[1:2]
	s_waitcnt lgkmcnt(0)
	v_div_scale_f64 v[5:6], s[4:5], v[19:20], v[19:20], v[1:2]
	v_rcp_f64_e32 v[7:8], v[5:6]
	v_fma_f64 v[11:12], -v[5:6], v[7:8], 1.0
	v_fma_f64 v[7:8], v[7:8], v[11:12], v[7:8]
	v_div_scale_f64 v[11:12], vcc, v[1:2], v[19:20], v[1:2]
	v_fma_f64 v[13:14], -v[5:6], v[7:8], 1.0
	v_fma_f64 v[7:8], v[7:8], v[13:14], v[7:8]
	v_mul_f64 v[13:14], v[11:12], v[7:8]
	v_fma_f64 v[5:6], -v[5:6], v[13:14], v[11:12]
	v_div_fmas_f64 v[21:22], v[5:6], v[7:8], v[13:14]
	ds_read_b128 v[5:8], v25 offset:288
	ds_read_b128 v[11:14], v25 offset:304
	ds_write2_b64 v10, v[15:16], v[17:18] offset1:12
	s_waitcnt lgkmcnt(2)
	v_fma_f64 v[3:4], -v[15:16], v[5:6], v[3:4]
	v_fma_f64 v[3:4], -v[17:18], v[7:8], v[3:4]
	v_div_fixup_f64 v[1:2], v[21:22], v[19:20], v[1:2]
	s_waitcnt lgkmcnt(1)
	v_fma_f64 v[3:4], -v[1:2], v[11:12], v[3:4]
	v_div_scale_f64 v[5:6], s[4:5], v[13:14], v[13:14], v[3:4]
	v_div_scale_f64 v[19:20], vcc, v[3:4], v[13:14], v[3:4]
	s_add_i32 s4, s3, 4
	s_add_i32 s3, s3, 7
	s_cmp_ge_i32 s3, s23
	v_rcp_f64_e32 v[7:8], v[5:6]
	v_fma_f64 v[11:12], -v[5:6], v[7:8], 1.0
	v_fma_f64 v[7:8], v[7:8], v[11:12], v[7:8]
	v_fma_f64 v[11:12], -v[5:6], v[7:8], 1.0
	v_fma_f64 v[7:8], v[7:8], v[11:12], v[7:8]
	v_mul_f64 v[11:12], v[19:20], v[7:8]
	v_fma_f64 v[5:6], -v[5:6], v[11:12], v[19:20]
	v_div_fmas_f64 v[5:6], v[5:6], v[7:8], v[11:12]
	v_div_fixup_f64 v[3:4], v[5:6], v[13:14], v[3:4]
	ds_write2_b64 v10, v[1:2], v[3:4] offset0:24 offset1:36
	s_cbranch_scc1 .LBB81_73
; %bb.72:                               ;   in Loop: Header=BB81_69 Depth=1
	s_mov_b32 s3, s4
	s_branch .LBB81_69
.LBB81_73:
	s_cmp_ge_i32 s4, s23
	s_cbranch_scc1 .LBB81_78
; %bb.74:
	v_mov_b32_e32 v1, 0x480
	v_lshl_or_b32 v3, v0, 3, v1
	s_mul_i32 s2, s4, 0x60
	s_branch .LBB81_76
.LBB81_75:                              ;   in Loop: Header=BB81_76 Depth=1
	s_mul_i32 s3, s4, 0x68
	v_mov_b32_e32 v5, s3
	ds_read_b64 v[5:6], v5
	s_add_i32 s4, s4, 1
	s_addk_i32 s2, 0x60
	s_cmp_ge_i32 s4, s23
	s_waitcnt lgkmcnt(0)
	v_div_scale_f64 v[7:8], s[6:7], v[5:6], v[5:6], v[1:2]
	v_div_scale_f64 v[14:15], vcc, v[1:2], v[5:6], v[1:2]
	v_rcp_f64_e32 v[10:11], v[7:8]
	v_fma_f64 v[12:13], -v[7:8], v[10:11], 1.0
	v_fma_f64 v[10:11], v[10:11], v[12:13], v[10:11]
	v_fma_f64 v[12:13], -v[7:8], v[10:11], 1.0
	v_fma_f64 v[10:11], v[10:11], v[12:13], v[10:11]
	v_mul_f64 v[12:13], v[14:15], v[10:11]
	v_fma_f64 v[7:8], -v[7:8], v[12:13], v[14:15]
	v_div_fmas_f64 v[7:8], v[7:8], v[10:11], v[12:13]
	v_div_fixup_f64 v[1:2], v[7:8], v[5:6], v[1:2]
	ds_write_b64 v4, v[1:2]
	s_cbranch_scc1 .LBB81_78
.LBB81_76:                              ; =>This Loop Header: Depth=1
                                        ;     Child Loop BB81_77 Depth 2
	s_mul_i32 s3, s4, 0x60
	v_add_u32_e32 v4, s3, v9
	ds_read_b64 v[1:2], v4
	s_cmp_eq_u32 s4, 0
	s_mov_b32 s3, s2
	v_mov_b32_e32 v5, v3
	s_mov_b32 s5, s4
	s_cbranch_scc1 .LBB81_75
.LBB81_77:                              ;   Parent Loop BB81_76 Depth=1
                                        ; =>  This Inner Loop Header: Depth=2
	v_mov_b32_e32 v8, s3
	ds_read_b64 v[6:7], v5
	ds_read_b64 v[10:11], v8
	s_add_i32 s5, s5, -1
	s_add_i32 s3, s3, 8
	s_cmp_eq_u32 s5, 0
	v_add_u32_e32 v5, 0x60, v5
	s_waitcnt lgkmcnt(0)
	v_fma_f64 v[1:2], -v[6:7], v[10:11], v[1:2]
	s_cbranch_scc0 .LBB81_77
	s_branch .LBB81_75
.LBB81_78:
	s_and_saveexec_b64 s[2:3], s[0:1]
	s_cbranch_execz .LBB81_82
; %bb.79:
	s_cmp_lt_i32 s22, 1
	s_cbranch_scc1 .LBB81_82
; %bb.80:
	s_ashr_i32 s11, s10, 31
	v_lshlrev_b32_e32 v2, 3, v0
	v_mov_b32_e32 v1, s15
	v_add_co_u32_e32 v0, vcc, s14, v2
	s_lshl_b64 s[0:1], s[10:11], 3
	v_addc_co_u32_e32 v1, vcc, 0, v1, vcc
	v_or_b32_e32 v2, 0x480, v2
	v_mov_b32_e32 v3, s1
.LBB81_81:                              ; =>This Inner Loop Header: Depth=1
	ds_read_b64 v[4:5], v2
	s_add_i32 s22, s22, -1
	v_add_u32_e32 v2, 0x60, v2
	s_cmp_lg_u32 s22, 0
	s_waitcnt lgkmcnt(0)
	global_store_dwordx2 v[0:1], v[4:5], off
	v_add_co_u32_e32 v0, vcc, s0, v0
	v_addc_co_u32_e32 v1, vcc, v1, v3, vcc
	s_cbranch_scc1 .LBB81_81
.LBB81_82:
	s_endpgm
	.section	.rodata,"a",@progbits
	.p2align	6, 0x0
	.amdhsa_kernel _ZL31rocblas_trsm_small_right_deviceIddPKdPdLi12EEv13rocblas_fill_18rocblas_operation_17rocblas_diagonal_iiT0_T1_lilT2_lili
		.amdhsa_group_segment_fixed_size 2304
		.amdhsa_private_segment_fixed_size 0
		.amdhsa_kernarg_size 360
		.amdhsa_user_sgpr_count 6
		.amdhsa_user_sgpr_private_segment_buffer 1
		.amdhsa_user_sgpr_dispatch_ptr 0
		.amdhsa_user_sgpr_queue_ptr 0
		.amdhsa_user_sgpr_kernarg_segment_ptr 1
		.amdhsa_user_sgpr_dispatch_id 0
		.amdhsa_user_sgpr_flat_scratch_init 0
		.amdhsa_user_sgpr_private_segment_size 0
		.amdhsa_uses_dynamic_stack 0
		.amdhsa_system_sgpr_private_segment_wavefront_offset 0
		.amdhsa_system_sgpr_workgroup_id_x 1
		.amdhsa_system_sgpr_workgroup_id_y 0
		.amdhsa_system_sgpr_workgroup_id_z 1
		.amdhsa_system_sgpr_workgroup_info 0
		.amdhsa_system_vgpr_workitem_id 0
		.amdhsa_next_free_vgpr 34
		.amdhsa_next_free_sgpr 77
		.amdhsa_reserve_vcc 1
		.amdhsa_reserve_flat_scratch 0
		.amdhsa_float_round_mode_32 0
		.amdhsa_float_round_mode_16_64 0
		.amdhsa_float_denorm_mode_32 3
		.amdhsa_float_denorm_mode_16_64 3
		.amdhsa_dx10_clamp 1
		.amdhsa_ieee_mode 1
		.amdhsa_fp16_overflow 0
		.amdhsa_exception_fp_ieee_invalid_op 0
		.amdhsa_exception_fp_denorm_src 0
		.amdhsa_exception_fp_ieee_div_zero 0
		.amdhsa_exception_fp_ieee_overflow 0
		.amdhsa_exception_fp_ieee_underflow 0
		.amdhsa_exception_fp_ieee_inexact 0
		.amdhsa_exception_int_div_zero 0
	.end_amdhsa_kernel
	.section	.text._ZL31rocblas_trsm_small_right_deviceIddPKdPdLi12EEv13rocblas_fill_18rocblas_operation_17rocblas_diagonal_iiT0_T1_lilT2_lili,"axG",@progbits,_ZL31rocblas_trsm_small_right_deviceIddPKdPdLi12EEv13rocblas_fill_18rocblas_operation_17rocblas_diagonal_iiT0_T1_lilT2_lili,comdat
.Lfunc_end81:
	.size	_ZL31rocblas_trsm_small_right_deviceIddPKdPdLi12EEv13rocblas_fill_18rocblas_operation_17rocblas_diagonal_iiT0_T1_lilT2_lili, .Lfunc_end81-_ZL31rocblas_trsm_small_right_deviceIddPKdPdLi12EEv13rocblas_fill_18rocblas_operation_17rocblas_diagonal_iiT0_T1_lilT2_lili
                                        ; -- End function
	.set _ZL31rocblas_trsm_small_right_deviceIddPKdPdLi12EEv13rocblas_fill_18rocblas_operation_17rocblas_diagonal_iiT0_T1_lilT2_lili.num_vgpr, 34
	.set _ZL31rocblas_trsm_small_right_deviceIddPKdPdLi12EEv13rocblas_fill_18rocblas_operation_17rocblas_diagonal_iiT0_T1_lilT2_lili.num_agpr, 0
	.set _ZL31rocblas_trsm_small_right_deviceIddPKdPdLi12EEv13rocblas_fill_18rocblas_operation_17rocblas_diagonal_iiT0_T1_lilT2_lili.numbered_sgpr, 26
	.set _ZL31rocblas_trsm_small_right_deviceIddPKdPdLi12EEv13rocblas_fill_18rocblas_operation_17rocblas_diagonal_iiT0_T1_lilT2_lili.num_named_barrier, 0
	.set _ZL31rocblas_trsm_small_right_deviceIddPKdPdLi12EEv13rocblas_fill_18rocblas_operation_17rocblas_diagonal_iiT0_T1_lilT2_lili.private_seg_size, 0
	.set _ZL31rocblas_trsm_small_right_deviceIddPKdPdLi12EEv13rocblas_fill_18rocblas_operation_17rocblas_diagonal_iiT0_T1_lilT2_lili.uses_vcc, 1
	.set _ZL31rocblas_trsm_small_right_deviceIddPKdPdLi12EEv13rocblas_fill_18rocblas_operation_17rocblas_diagonal_iiT0_T1_lilT2_lili.uses_flat_scratch, 0
	.set _ZL31rocblas_trsm_small_right_deviceIddPKdPdLi12EEv13rocblas_fill_18rocblas_operation_17rocblas_diagonal_iiT0_T1_lilT2_lili.has_dyn_sized_stack, 0
	.set _ZL31rocblas_trsm_small_right_deviceIddPKdPdLi12EEv13rocblas_fill_18rocblas_operation_17rocblas_diagonal_iiT0_T1_lilT2_lili.has_recursion, 0
	.set _ZL31rocblas_trsm_small_right_deviceIddPKdPdLi12EEv13rocblas_fill_18rocblas_operation_17rocblas_diagonal_iiT0_T1_lilT2_lili.has_indirect_call, 0
	.section	.AMDGPU.csdata,"",@progbits
; Kernel info:
; codeLenInByte = 5924
; TotalNumSgprs: 30
; NumVgprs: 34
; ScratchSize: 0
; MemoryBound: 0
; FloatMode: 240
; IeeeMode: 1
; LDSByteSize: 2304 bytes/workgroup (compile time only)
; SGPRBlocks: 10
; VGPRBlocks: 8
; NumSGPRsForWavesPerEU: 81
; NumVGPRsForWavesPerEU: 34
; Occupancy: 7
; WaveLimiterHint : 0
; COMPUTE_PGM_RSRC2:SCRATCH_EN: 0
; COMPUTE_PGM_RSRC2:USER_SGPR: 6
; COMPUTE_PGM_RSRC2:TRAP_HANDLER: 0
; COMPUTE_PGM_RSRC2:TGID_X_EN: 1
; COMPUTE_PGM_RSRC2:TGID_Y_EN: 0
; COMPUTE_PGM_RSRC2:TGID_Z_EN: 1
; COMPUTE_PGM_RSRC2:TIDIG_COMP_CNT: 0
	.section	.text._ZL38rocblas_trsm_small_left_device_sharedBILi16ELi16ELb0EddPKdPdEv13rocblas_fill_18rocblas_operation_17rocblas_diagonal_iiT3_T4_lilT5_lili,"axG",@progbits,_ZL38rocblas_trsm_small_left_device_sharedBILi16ELi16ELb0EddPKdPdEv13rocblas_fill_18rocblas_operation_17rocblas_diagonal_iiT3_T4_lilT5_lili,comdat
	.globl	_ZL38rocblas_trsm_small_left_device_sharedBILi16ELi16ELb0EddPKdPdEv13rocblas_fill_18rocblas_operation_17rocblas_diagonal_iiT3_T4_lilT5_lili ; -- Begin function _ZL38rocblas_trsm_small_left_device_sharedBILi16ELi16ELb0EddPKdPdEv13rocblas_fill_18rocblas_operation_17rocblas_diagonal_iiT3_T4_lilT5_lili
	.p2align	8
	.type	_ZL38rocblas_trsm_small_left_device_sharedBILi16ELi16ELb0EddPKdPdEv13rocblas_fill_18rocblas_operation_17rocblas_diagonal_iiT3_T4_lilT5_lili,@function
_ZL38rocblas_trsm_small_left_device_sharedBILi16ELi16ELb0EddPKdPdEv13rocblas_fill_18rocblas_operation_17rocblas_diagonal_iiT3_T4_lilT5_lili: ; @_ZL38rocblas_trsm_small_left_device_sharedBILi16ELi16ELb0EddPKdPdEv13rocblas_fill_18rocblas_operation_17rocblas_diagonal_iiT3_T4_lilT5_lili
; %bb.0:
	s_load_dwordx4 s[8:11], s[4:5], 0x4
	s_load_dwordx4 s[12:15], s[4:5], 0x18
	s_load_dwordx2 s[20:21], s[4:5], 0x28
	s_load_dwordx4 s[0:3], s[4:5], 0x38
	s_load_dwordx2 s[16:17], s[4:5], 0x48
	s_waitcnt lgkmcnt(0)
	s_min_i32 s22, s10, 16
	v_cmp_gt_i32_e32 vcc, s22, v0
	s_and_saveexec_b64 s[18:19], vcc
	s_cbranch_execz .LBB82_6
; %bb.1:
	s_load_dword s24, s[4:5], 0x30
	s_mul_i32 s1, s1, s7
	s_mul_hi_u32 s23, s0, s7
	s_mul_i32 s0, s0, s7
	s_add_i32 s1, s23, s1
	s_waitcnt lgkmcnt(0)
	s_ashr_i32 s25, s24, 31
	s_lshl_b64 s[0:1], s[0:1], 3
	s_add_u32 s14, s14, s0
	s_addc_u32 s15, s15, s1
	s_lshl_b64 s[0:1], s[20:21], 3
	s_add_u32 s0, s14, s0
	s_addc_u32 s1, s15, s1
	v_lshlrev_b32_e32 v3, 3, v0
	v_mov_b32_e32 v2, s1
	v_add_co_u32_e32 v1, vcc, s0, v3
	s_lshl_b64 s[0:1], s[24:25], 3
	v_addc_co_u32_e32 v2, vcc, 0, v2, vcc
	v_mov_b32_e32 v4, s1
	v_mov_b32_e32 v5, v3
	s_mov_b32 s1, s22
.LBB82_2:                               ; =>This Inner Loop Header: Depth=1
	global_load_dwordx2 v[6:7], v[1:2], off
	v_add_co_u32_e32 v1, vcc, s0, v1
	s_add_i32 s1, s1, -1
	v_addc_co_u32_e32 v2, vcc, v2, v4, vcc
	s_cmp_eq_u32 s1, 0
	s_waitcnt vmcnt(0)
	ds_write_b64 v5, v[6:7]
	v_add_u32_e32 v5, 0x80, v5
	s_cbranch_scc0 .LBB82_2
; %bb.3:
	v_lshlrev_b32_e32 v4, 7, v0
	v_mov_b32_e32 v1, 0
	s_cmpk_lg_i32 s9, 0x84
	v_mov_b32_e32 v2, 0x3ff00000
	v_add_u32_e32 v3, v3, v4
	s_cbranch_scc0 .LBB82_5
; %bb.4:
	ds_read_b64 v[1:2], v3
	s_waitcnt lgkmcnt(0)
	v_div_scale_f64 v[4:5], s[0:1], v[1:2], v[1:2], 1.0
	v_div_scale_f64 v[10:11], vcc, 1.0, v[1:2], 1.0
	v_rcp_f64_e32 v[6:7], v[4:5]
	v_fma_f64 v[8:9], -v[4:5], v[6:7], 1.0
	v_fma_f64 v[6:7], v[6:7], v[8:9], v[6:7]
	v_fma_f64 v[8:9], -v[4:5], v[6:7], 1.0
	v_fma_f64 v[6:7], v[6:7], v[8:9], v[6:7]
	v_mul_f64 v[8:9], v[10:11], v[6:7]
	v_fma_f64 v[4:5], -v[4:5], v[8:9], v[10:11]
	v_div_fmas_f64 v[4:5], v[4:5], v[6:7], v[8:9]
	v_div_fixup_f64 v[1:2], v[4:5], v[1:2], 1.0
.LBB82_5:
	ds_write_b64 v3, v[1:2]
.LBB82_6:
	s_or_b64 exec, exec, s[18:19]
	s_load_dword s0, s[4:5], 0x68
	s_load_dwordx2 s[14:15], s[4:5], 0x58
	s_load_dword s9, s[4:5], 0x50
	s_waitcnt lgkmcnt(0)
	s_mul_i32 s1, s15, s7
	s_mul_hi_u32 s5, s14, s7
	s_mul_i32 s4, s14, s7
	s_add_i32 s5, s5, s1
	s_lshl_b64 s[4:5], s[4:5], 3
	s_add_u32 s1, s2, s4
	s_addc_u32 s4, s3, s5
	s_lshl_b64 s[2:3], s[16:17], 3
	s_add_u32 s2, s1, s2
	s_addc_u32 s3, s4, s3
	s_lshl_b32 s4, s6, 4
	s_add_i32 s0, s0, -1
	s_sub_i32 s1, s11, s4
	s_cmp_ge_u32 s6, s0
	s_cselect_b32 s5, s1, 16
	s_mul_hi_i32 s1, s9, s4
	s_mul_i32 s0, s9, s4
	s_lshl_b64 s[0:1], s[0:1], 3
	s_add_u32 s6, s2, s0
	s_addc_u32 s7, s3, s1
	s_cmp_gt_i32 s10, 0
	v_cmp_gt_i32_e64 s[0:1], s5, v0
	s_cselect_b64 s[2:3], -1, 0
	s_and_b64 s[14:15], s[0:1], s[2:3]
	s_and_saveexec_b64 s[4:5], s[14:15]
	s_cbranch_execz .LBB82_9
; %bb.7:
	v_mad_i64_i32 v[1:2], s[14:15], s9, v0, 0
	v_mov_b32_e32 v3, s7
	s_mov_b32 s11, s22
	v_lshlrev_b64 v[1:2], 3, v[1:2]
	v_add_co_u32_e32 v1, vcc, s6, v1
	v_addc_co_u32_e32 v2, vcc, v3, v2, vcc
	v_mov_b32_e32 v3, 0x800
	v_lshl_or_b32 v3, v0, 3, v3
.LBB82_8:                               ; =>This Inner Loop Header: Depth=1
	global_load_dwordx2 v[4:5], v[1:2], off
	s_add_i32 s11, s11, -1
	v_add_co_u32_e32 v1, vcc, 8, v1
	v_addc_co_u32_e32 v2, vcc, 0, v2, vcc
	s_cmp_lg_u32 s11, 0
	s_waitcnt vmcnt(0)
	v_mul_f64 v[4:5], s[12:13], v[4:5]
	ds_write_b64 v3, v[4:5]
	v_add_u32_e32 v3, 0x80, v3
	s_cbranch_scc1 .LBB82_8
.LBB82_9:
	s_or_b64 exec, exec, s[4:5]
	v_mov_b32_e32 v1, 0x800
	s_cmpk_eq_i32 s8, 0x6f
	v_lshl_or_b32 v25, v0, 3, v1
	s_mov_b64 s[4:5], -1
	s_waitcnt lgkmcnt(0)
	; wave barrier
	s_cbranch_scc1 .LBB82_24
; %bb.10:
	s_cmp_gt_i32 s10, 15
	s_cselect_b64 s[4:5], -1, 0
	s_and_b64 vcc, exec, s[4:5]
	s_cbranch_vccz .LBB82_12
; %bb.11:
	v_mov_b32_e32 v5, 0
	ds_read2_b64 v[1:4], v25 offset1:16
	ds_read2_b64 v[6:9], v5 offset1:34
	ds_read_b128 v[10:13], v5 offset:128
	ds_read2_b64 v[14:17], v25 offset0:32 offset1:48
	ds_read_b128 v[18:21], v5 offset:256
	ds_read2_b64 v[26:29], v25 offset0:64 offset1:80
	ds_read2_b64 v[30:33], v25 offset0:96 offset1:112
	;; [unrolled: 1-line block ×3, first 2 shown]
	ds_read_b128 v[38:41], v5 offset:384
	s_mov_b32 s8, 16
	s_waitcnt lgkmcnt(7)
	v_mul_f64 v[1:2], v[1:2], v[6:7]
	s_waitcnt lgkmcnt(6)
	v_fma_f64 v[3:4], -v[1:2], v[10:11], v[3:4]
	s_waitcnt lgkmcnt(0)
	v_fma_f64 v[22:23], -v[1:2], v[38:39], v[16:17]
	v_fma_f64 v[6:7], -v[1:2], v[18:19], v[14:15]
	v_mul_f64 v[3:4], v[3:4], v[12:13]
	ds_read_b128 v[10:13], v5 offset:512
	ds_read_b128 v[42:45], v5 offset:640
	;; [unrolled: 1-line block ×4, first 2 shown]
	s_waitcnt lgkmcnt(3)
	v_fma_f64 v[10:11], -v[1:2], v[10:11], v[26:27]
	s_waitcnt lgkmcnt(2)
	v_fma_f64 v[38:39], -v[1:2], v[42:43], v[28:29]
	ds_read_b128 v[26:29], v5 offset:1024
	s_waitcnt lgkmcnt(2)
	v_fma_f64 v[14:15], -v[1:2], v[14:15], v[30:31]
	v_fma_f64 v[22:23], -v[3:4], v[40:41], v[22:23]
	s_waitcnt lgkmcnt(1)
	v_fma_f64 v[40:41], -v[1:2], v[46:47], v[32:33]
	ds_read_b128 v[30:33], v5 offset:1152
	s_waitcnt lgkmcnt(1)
	v_fma_f64 v[26:27], -v[1:2], v[26:27], v[34:35]
	v_fma_f64 v[6:7], -v[3:4], v[20:21], v[6:7]
	ds_read2_b64 v[18:21], v25 offset0:160 offset1:176
	v_fma_f64 v[42:43], -v[3:4], v[12:13], v[10:11]
	ds_read2_b64 v[10:13], v25 offset0:192 offset1:208
	v_fma_f64 v[44:45], -v[3:4], v[44:45], v[38:39]
	v_fma_f64 v[34:35], -v[3:4], v[16:17], v[14:15]
	ds_read_b128 v[14:17], v5 offset:1280
	v_fma_f64 v[46:47], -v[3:4], v[48:49], v[40:41]
	ds_read_b128 v[38:41], v5 offset:1408
	;; [unrolled: 2-line block ×3, first 2 shown]
	s_waitcnt lgkmcnt(5)
	v_fma_f64 v[30:31], -v[1:2], v[30:31], v[36:37]
	v_mul_f64 v[36:37], v[6:7], v[8:9]
	s_waitcnt lgkmcnt(2)
	v_fma_f64 v[14:15], -v[1:2], v[14:15], v[18:19]
	s_waitcnt lgkmcnt(1)
	v_fma_f64 v[38:39], -v[1:2], v[38:39], v[20:21]
	ds_read_b128 v[18:21], v5 offset:1664
	s_waitcnt lgkmcnt(1)
	v_fma_f64 v[10:11], -v[1:2], v[26:27], v[10:11]
	ds_read_b128 v[6:9], v5 offset:400
	v_fma_f64 v[50:51], -v[3:4], v[32:33], v[30:31]
	s_waitcnt lgkmcnt(1)
	v_fma_f64 v[18:19], -v[1:2], v[18:19], v[12:13]
	ds_read2_b64 v[30:33], v25 offset0:224 offset1:240
	v_fma_f64 v[26:27], -v[3:4], v[40:41], v[38:39]
	v_fma_f64 v[28:29], -v[3:4], v[28:29], v[10:11]
	ds_read_b128 v[10:13], v5 offset:656
	s_waitcnt lgkmcnt(2)
	v_fma_f64 v[6:7], -v[36:37], v[6:7], v[22:23]
	v_fma_f64 v[22:23], -v[3:4], v[16:17], v[14:15]
	ds_read_b128 v[14:17], v5 offset:528
	s_waitcnt lgkmcnt(1)
	v_fma_f64 v[10:11], -v[36:37], v[10:11], v[44:45]
	v_mul_f64 v[38:39], v[6:7], v[8:9]
	ds_read_b128 v[6:9], v5 offset:1792
	s_waitcnt lgkmcnt(0)
	v_fma_f64 v[6:7], -v[1:2], v[6:7], v[30:31]
	v_fma_f64 v[30:31], -v[3:4], v[20:21], v[18:19]
	ds_read_b128 v[18:21], v5 offset:1920
	s_waitcnt lgkmcnt(0)
	v_fma_f64 v[18:19], -v[1:2], v[18:19], v[32:33]
	v_fma_f64 v[32:33], -v[3:4], v[8:9], v[6:7]
	ds_read_b128 v[6:9], v5 offset:784
	s_waitcnt lgkmcnt(0)
	v_fma_f64 v[6:7], -v[36:37], v[6:7], v[34:35]
	v_fma_f64 v[34:35], -v[3:4], v[20:21], v[18:19]
	ds_read_b128 v[18:21], v5 offset:672
	v_fma_f64 v[14:15], -v[36:37], v[14:15], v[42:43]
	v_fma_f64 v[42:43], -v[38:39], v[12:13], v[10:11]
	ds_read_b128 v[10:13], v5 offset:912
	v_fma_f64 v[40:41], -v[38:39], v[16:17], v[14:15]
	ds_read2_b64 v[14:17], v5 offset0:68 offset1:102
	s_waitcnt lgkmcnt(0)
	v_mul_f64 v[40:41], v[40:41], v[14:15]
	v_fma_f64 v[14:15], -v[40:41], v[18:19], v[42:43]
	v_fma_f64 v[42:43], -v[38:39], v[8:9], v[6:7]
	ds_read_b128 v[6:9], v5 offset:1040
	v_fma_f64 v[10:11], -v[36:37], v[10:11], v[46:47]
	s_waitcnt lgkmcnt(0)
	v_fma_f64 v[6:7], -v[36:37], v[6:7], v[48:49]
	v_mul_f64 v[46:47], v[14:15], v[20:21]
	ds_read_b128 v[18:21], v5 offset:800
	v_fma_f64 v[44:45], -v[38:39], v[12:13], v[10:11]
	ds_read_b128 v[10:13], v5 offset:1168
	s_waitcnt lgkmcnt(0)
	v_fma_f64 v[10:11], -v[36:37], v[10:11], v[50:51]
	v_fma_f64 v[48:49], -v[38:39], v[12:13], v[10:11]
	ds_read_b128 v[10:13], v5 offset:928
	v_fma_f64 v[14:15], -v[40:41], v[18:19], v[42:43]
	v_fma_f64 v[42:43], -v[38:39], v[8:9], v[6:7]
	ds_read_b128 v[6:9], v5 offset:1296
	s_waitcnt lgkmcnt(1)
	v_fma_f64 v[10:11], -v[40:41], v[10:11], v[44:45]
	v_fma_f64 v[14:15], -v[46:47], v[20:21], v[14:15]
	ds_read_b128 v[18:21], v5 offset:1424
	v_mul_f64 v[44:45], v[14:15], v[16:17]
	ds_read_b128 v[14:17], v5 offset:1184
	s_waitcnt lgkmcnt(2)
	v_fma_f64 v[6:7], -v[36:37], v[6:7], v[22:23]
	s_waitcnt lgkmcnt(0)
	v_fma_f64 v[14:15], -v[40:41], v[14:15], v[48:49]
	v_fma_f64 v[22:23], -v[38:39], v[8:9], v[6:7]
	ds_read_b128 v[6:9], v5 offset:1552
	v_fma_f64 v[18:19], -v[36:37], v[18:19], v[26:27]
	v_fma_f64 v[26:27], -v[46:47], v[12:13], v[10:11]
	ds_read_b128 v[10:13], v5 offset:1056
	v_fma_f64 v[48:49], -v[46:47], v[16:17], v[14:15]
	s_waitcnt lgkmcnt(1)
	v_fma_f64 v[6:7], -v[36:37], v[6:7], v[28:29]
	ds_read_b128 v[14:17], v5 offset:1072
	v_fma_f64 v[28:29], -v[38:39], v[20:21], v[18:19]
	ds_read_b128 v[18:21], v5 offset:944
	s_waitcnt lgkmcnt(2)
	v_fma_f64 v[10:11], -v[40:41], v[10:11], v[42:43]
	s_waitcnt lgkmcnt(0)
	v_fma_f64 v[18:19], -v[44:45], v[18:19], v[26:27]
	v_fma_f64 v[26:27], -v[38:39], v[8:9], v[6:7]
	ds_read_b128 v[6:9], v5 offset:1312
	v_fma_f64 v[42:43], -v[46:47], v[12:13], v[10:11]
	ds_read_b128 v[10:13], v5 offset:1440
	s_waitcnt lgkmcnt(1)
	v_fma_f64 v[6:7], -v[40:41], v[6:7], v[22:23]
	v_mul_f64 v[22:23], v[18:19], v[20:21]
	ds_read_b128 v[18:21], v5 offset:1200
	s_waitcnt lgkmcnt(1)
	v_fma_f64 v[10:11], -v[40:41], v[10:11], v[28:29]
	v_fma_f64 v[14:15], -v[44:45], v[14:15], v[42:43]
	s_waitcnt lgkmcnt(0)
	v_fma_f64 v[18:19], -v[44:45], v[18:19], v[48:49]
	v_fma_f64 v[28:29], -v[46:47], v[8:9], v[6:7]
	ds_read_b128 v[6:9], v5 offset:1680
	v_fma_f64 v[42:43], -v[46:47], v[12:13], v[10:11]
	ds_read_b128 v[10:13], v5 offset:1808
	v_fma_f64 v[48:49], -v[22:23], v[16:17], v[14:15]
	s_waitcnt lgkmcnt(1)
	v_fma_f64 v[6:7], -v[36:37], v[6:7], v[30:31]
	ds_read_b128 v[14:17], v5 offset:1328
	v_fma_f64 v[30:31], -v[22:23], v[20:21], v[18:19]
	ds_read_b128 v[18:21], v5 offset:1568
	s_waitcnt lgkmcnt(2)
	v_fma_f64 v[10:11], -v[36:37], v[10:11], v[32:33]
	s_waitcnt lgkmcnt(0)
	v_fma_f64 v[18:19], -v[40:41], v[18:19], v[26:27]
	v_fma_f64 v[26:27], -v[38:39], v[8:9], v[6:7]
	ds_read_b128 v[6:9], v5 offset:1456
	v_fma_f64 v[14:15], -v[44:45], v[14:15], v[28:29]
	v_fma_f64 v[28:29], -v[38:39], v[12:13], v[10:11]
	ds_read_b128 v[10:13], v5 offset:1936
	s_waitcnt lgkmcnt(1)
	v_fma_f64 v[6:7], -v[44:45], v[6:7], v[42:43]
	v_fma_f64 v[42:43], -v[46:47], v[20:21], v[18:19]
	ds_read_b128 v[18:21], v5 offset:1696
	s_waitcnt lgkmcnt(1)
	v_fma_f64 v[10:11], -v[36:37], v[10:11], v[34:35]
	v_fma_f64 v[32:33], -v[22:23], v[16:17], v[14:15]
	ds_read2_b64 v[14:17], v5 offset0:136 offset1:170
	s_waitcnt lgkmcnt(0)
	v_mul_f64 v[34:35], v[48:49], v[14:15]
	v_fma_f64 v[14:15], -v[40:41], v[18:19], v[26:27]
	v_fma_f64 v[26:27], -v[22:23], v[8:9], v[6:7]
	ds_read_b128 v[6:9], v5 offset:1216
	v_fma_f64 v[48:49], -v[38:39], v[12:13], v[10:11]
	ds_read_b128 v[10:13], v5 offset:1584
	s_waitcnt lgkmcnt(1)
	v_fma_f64 v[6:7], -v[34:35], v[6:7], v[30:31]
	v_fma_f64 v[14:15], -v[46:47], v[20:21], v[14:15]
	ds_read_b128 v[18:21], v5 offset:1824
	s_waitcnt lgkmcnt(1)
	v_fma_f64 v[10:11], -v[44:45], v[10:11], v[42:43]
	s_waitcnt lgkmcnt(0)
	v_fma_f64 v[18:19], -v[40:41], v[18:19], v[28:29]
	v_mul_f64 v[28:29], v[6:7], v[8:9]
	ds_read_b128 v[6:9], v5 offset:1344
	v_fma_f64 v[30:31], -v[22:23], v[12:13], v[10:11]
	ds_read_b128 v[10:13], v5 offset:1472
	s_waitcnt lgkmcnt(1)
	v_fma_f64 v[6:7], -v[34:35], v[6:7], v[32:33]
	v_fma_f64 v[32:33], -v[46:47], v[20:21], v[18:19]
	ds_read_b128 v[18:21], v5 offset:1952
	s_waitcnt lgkmcnt(1)
	v_fma_f64 v[10:11], -v[34:35], v[10:11], v[26:27]
	s_waitcnt lgkmcnt(0)
	v_fma_f64 v[18:19], -v[40:41], v[18:19], v[48:49]
	v_fma_f64 v[26:27], -v[28:29], v[8:9], v[6:7]
	ds_read_b128 v[6:9], v5 offset:1712
	v_fma_f64 v[42:43], -v[28:29], v[12:13], v[10:11]
	ds_read_b128 v[10:13], v5 offset:1600
	s_waitcnt lgkmcnt(1)
	v_fma_f64 v[6:7], -v[44:45], v[6:7], v[14:15]
	v_fma_f64 v[48:49], -v[46:47], v[20:21], v[18:19]
	ds_read_b128 v[18:21], v5 offset:1840
	s_waitcnt lgkmcnt(1)
	v_fma_f64 v[10:11], -v[34:35], v[10:11], v[30:31]
	v_mul_f64 v[26:27], v[26:27], v[16:17]
	ds_read_b128 v[14:17], v5 offset:1968
	s_waitcnt lgkmcnt(1)
	v_fma_f64 v[18:19], -v[44:45], v[18:19], v[32:33]
	v_fma_f64 v[30:31], -v[22:23], v[8:9], v[6:7]
	ds_read_b128 v[6:9], v5 offset:1488
	s_waitcnt lgkmcnt(1)
	v_fma_f64 v[14:15], -v[44:45], v[14:15], v[48:49]
	v_fma_f64 v[32:33], -v[28:29], v[12:13], v[10:11]
	ds_read_b128 v[10:13], v5 offset:1728
	v_fma_f64 v[48:49], -v[22:23], v[20:21], v[18:19]
	ds_read_b128 v[18:21], v5 offset:1856
	s_waitcnt lgkmcnt(1)
	v_fma_f64 v[10:11], -v[34:35], v[10:11], v[30:31]
	v_fma_f64 v[30:31], -v[22:23], v[16:17], v[14:15]
	ds_read_b128 v[14:17], v5 offset:1616
	v_fma_f64 v[6:7], -v[26:27], v[6:7], v[42:43]
	s_waitcnt lgkmcnt(1)
	v_fma_f64 v[18:19], -v[34:35], v[18:19], v[48:49]
	s_waitcnt lgkmcnt(0)
	v_fma_f64 v[14:15], -v[26:27], v[14:15], v[32:33]
	v_fma_f64 v[42:43], -v[28:29], v[12:13], v[10:11]
	v_mul_f64 v[32:33], v[6:7], v[8:9]
	ds_read_b128 v[6:9], v5 offset:1984
	ds_read_b128 v[10:13], v5 offset:1744
	s_waitcnt lgkmcnt(1)
	v_fma_f64 v[6:7], -v[34:35], v[6:7], v[30:31]
	v_fma_f64 v[30:31], -v[28:29], v[20:21], v[18:19]
	s_waitcnt lgkmcnt(0)
	v_fma_f64 v[10:11], -v[26:27], v[10:11], v[42:43]
	v_fma_f64 v[42:43], -v[32:33], v[16:17], v[14:15]
	ds_read_b128 v[14:17], v5 offset:1872
	ds_read2_b64 v[18:21], v5 offset0:204 offset1:238
	v_fma_f64 v[48:49], -v[28:29], v[8:9], v[6:7]
	s_waitcnt lgkmcnt(1)
	v_fma_f64 v[14:15], -v[26:27], v[14:15], v[30:31]
	v_fma_f64 v[30:31], -v[32:33], v[12:13], v[10:11]
	s_waitcnt lgkmcnt(0)
	v_mul_f64 v[18:19], v[42:43], v[18:19]
	ds_read_b128 v[6:9], v5 offset:2000
	ds_read_b128 v[10:13], v5 offset:1760
	s_waitcnt lgkmcnt(1)
	v_fma_f64 v[6:7], -v[26:27], v[6:7], v[48:49]
	v_fma_f64 v[42:43], -v[32:33], v[16:17], v[14:15]
	ds_read_b128 v[14:17], v5 offset:1888
	s_waitcnt lgkmcnt(1)
	v_fma_f64 v[10:11], -v[18:19], v[10:11], v[30:31]
	v_fma_f64 v[30:31], -v[32:33], v[8:9], v[6:7]
	ds_read_b128 v[6:9], v5 offset:2016
	s_waitcnt lgkmcnt(1)
	v_fma_f64 v[14:15], -v[18:19], v[14:15], v[42:43]
	v_mul_f64 v[10:11], v[10:11], v[12:13]
	s_waitcnt lgkmcnt(0)
	v_fma_f64 v[6:7], -v[18:19], v[6:7], v[30:31]
	v_fma_f64 v[12:13], -v[10:11], v[16:17], v[14:15]
	;; [unrolled: 1-line block ×3, first 2 shown]
	ds_read_b128 v[5:8], v5 offset:2032
	v_mul_f64 v[12:13], v[12:13], v[20:21]
	s_waitcnt lgkmcnt(0)
	v_fma_f64 v[5:6], -v[12:13], v[5:6], v[14:15]
	v_mul_f64 v[5:6], v[5:6], v[7:8]
	ds_write2_b64 v25, v[1:2], v[3:4] offset1:16
	ds_write2_b64 v25, v[36:37], v[38:39] offset0:32 offset1:48
	ds_write2_b64 v25, v[40:41], v[46:47] offset0:64 offset1:80
	;; [unrolled: 1-line block ×7, first 2 shown]
	s_cmp_lt_i32 s8, s22
	s_cbranch_scc1 .LBB82_13
	s_branch .LBB82_23
.LBB82_12:
	s_mov_b32 s8, 0
	s_cmp_lt_i32 s8, s22
	s_cbranch_scc0 .LBB82_23
.LBB82_13:
	s_or_b32 s11, s8, 11
	s_cmp_ge_u32 s11, s22
	s_cbranch_scc1 .LBB82_18
; %bb.14:
	s_lshl_b32 s12, s8, 7
	v_add_u32_e32 v26, s12, v25
	ds_read2_b64 v[17:20], v26 offset1:16
	ds_read2_b64 v[5:8], v26 offset0:32 offset1:48
	ds_read2_b64 v[1:4], v26 offset0:64 offset1:80
	;; [unrolled: 1-line block ×4, first 2 shown]
	s_lshl_b32 s11, s11, 7
	v_add_u32_e32 v27, s11, v25
	ds_read_b64 v[23:24], v26 offset:1280
	ds_read_b64 v[21:22], v27
	s_andn2_b64 vcc, exec, s[4:5]
	s_cbranch_vccnz .LBB82_17
; %bb.15:
	v_mov_b32_e32 v28, 0x800
	v_lshl_or_b32 v28, v0, 3, v28
	s_mov_b32 s4, s8
	s_mov_b32 s5, s12
.LBB82_16:                              ; =>This Inner Loop Header: Depth=1
	v_mov_b32_e32 v77, s5
	ds_read2_b64 v[29:32], v28 offset1:16
	ds_read_b128 v[33:36], v77
	ds_read_b128 v[37:40], v77 offset:128
	ds_read_b128 v[41:44], v77 offset:256
	;; [unrolled: 1-line block ×11, first 2 shown]
	s_add_i32 s5, s5, 16
	s_add_i32 s4, s4, -2
	s_cmp_lg_u32 s4, 0
	s_waitcnt lgkmcnt(11)
	v_fma_f64 v[17:18], -v[29:30], v[33:34], v[17:18]
	s_waitcnt lgkmcnt(10)
	v_fma_f64 v[19:20], -v[29:30], v[37:38], v[19:20]
	;; [unrolled: 2-line block ×12, first 2 shown]
	v_fma_f64 v[17:18], -v[31:32], v[35:36], v[17:18]
	v_fma_f64 v[19:20], -v[31:32], v[39:40], v[19:20]
	;; [unrolled: 1-line block ×12, first 2 shown]
	v_add_u32_e32 v28, 0x100, v28
	s_cbranch_scc1 .LBB82_16
.LBB82_17:
	s_lshl_b32 s17, s8, 3
	s_add_i32 s4, s17, s12
	v_mov_b32_e32 v60, s4
	ds_read2_b64 v[28:31], v60 offset1:34
	s_or_b32 s4, s12, 0x80
	s_add_i32 s15, s17, s4
	s_or_b32 s5, s12, 0x100
	s_add_i32 s16, s17, s5
	s_waitcnt lgkmcnt(0)
	v_mul_f64 v[48:49], v[17:18], v[28:29]
	v_mov_b32_e32 v17, s15
	ds_read_b128 v[32:35], v17
	v_mov_b32_e32 v17, s16
	ds_read_b128 v[36:39], v17
	s_or_b32 s13, s12, 0x180
	s_add_i32 s21, s17, s13
	v_mov_b32_e32 v28, s21
	s_waitcnt lgkmcnt(1)
	v_fma_f64 v[17:18], -v[48:49], v[32:33], v[19:20]
	s_waitcnt lgkmcnt(0)
	v_fma_f64 v[5:6], -v[48:49], v[36:37], v[5:6]
	s_or_b32 s14, s12, 0x200
	s_add_i32 s21, s17, s14
	v_mov_b32_e32 v36, s21
	s_or_b32 s15, s12, 0x280
	s_add_i32 s23, s17, s15
	v_mov_b32_e32 v40, s23
	v_mul_f64 v[50:51], v[17:18], v[34:35]
	ds_read_b128 v[17:20], v28
	ds_read_b128 v[32:35], v28 offset:16
	s_or_b32 s16, s12, 0x300
	s_add_i32 s21, s17, s16
	v_mov_b32_e32 v56, s21
	s_waitcnt lgkmcnt(1)
	v_fma_f64 v[17:18], -v[48:49], v[17:18], v[7:8]
	s_or_b32 s18, s12, 0x380
	v_fma_f64 v[28:29], -v[50:51], v[38:39], v[5:6]
	ds_read_b128 v[5:8], v36
	ds_read_b128 v[36:39], v36 offset:16
	s_add_i32 s24, s17, s18
	v_mov_b32_e32 v61, s24
	s_or_b32 s19, s12, 0x400
	s_waitcnt lgkmcnt(1)
	v_fma_f64 v[1:2], -v[48:49], v[5:6], v[1:2]
	v_fma_f64 v[5:6], -v[50:51], v[19:20], v[17:18]
	v_mul_f64 v[52:53], v[28:29], v[30:31]
	ds_read_b128 v[17:20], v40
	ds_read_b128 v[28:31], v40 offset:16
	ds_read_b128 v[40:43], v40 offset:32
	ds_read_b128 v[44:47], v56
	s_add_i32 s21, s17, s19
	v_mov_b32_e32 v62, s21
	s_or_b32 s20, s12, 0x480
	s_waitcnt lgkmcnt(3)
	v_fma_f64 v[17:18], -v[48:49], v[17:18], v[3:4]
	v_fma_f64 v[7:8], -v[50:51], v[7:8], v[1:2]
	;; [unrolled: 1-line block ×3, first 2 shown]
	ds_read_b128 v[1:4], v61
	s_waitcnt lgkmcnt(1)
	v_fma_f64 v[13:14], -v[48:49], v[44:45], v[13:14]
	s_add_i32 s23, s17, s20
	v_mov_b32_e32 v63, s23
	s_or_b32 s12, s12, 0x500
	v_fma_f64 v[17:18], -v[50:51], v[19:20], v[17:18]
	v_fma_f64 v[19:20], -v[52:53], v[36:37], v[7:8]
	v_mul_f64 v[44:45], v[5:6], v[34:35]
	ds_read_b128 v[5:8], v61 offset:16
	s_waitcnt lgkmcnt(1)
	v_fma_f64 v[1:2], -v[48:49], v[1:2], v[15:16]
	v_fma_f64 v[46:47], -v[50:51], v[46:47], v[13:14]
	s_add_i32 s24, s17, s12
	v_mov_b32_e32 v64, s24
	v_fma_f64 v[28:29], -v[52:53], v[28:29], v[17:18]
	s_add_i32 s11, s17, s11
	v_fma_f64 v[54:55], -v[44:45], v[38:39], v[19:20]
	ds_read_b128 v[13:16], v56 offset:16
	ds_read2_b64 v[17:20], v60 offset0:68 offset1:102
	ds_read_b128 v[32:35], v56 offset:32
	ds_read_b128 v[36:39], v62
	v_fma_f64 v[56:57], -v[50:51], v[3:4], v[1:2]
	s_waitcnt lgkmcnt(3)
	v_fma_f64 v[13:14], -v[52:53], v[13:14], v[46:47]
	ds_read_b128 v[1:4], v62 offset:16
	v_mov_b32_e32 v65, s11
	v_fma_f64 v[46:47], -v[44:45], v[30:31], v[28:29]
	s_waitcnt lgkmcnt(1)
	v_fma_f64 v[9:10], -v[48:49], v[36:37], v[9:10]
	v_mul_f64 v[54:55], v[54:55], v[17:18]
	ds_read_b128 v[28:31], v63
	v_fma_f64 v[5:6], -v[52:53], v[5:6], v[56:57]
	v_fma_f64 v[17:18], -v[44:45], v[15:16], v[13:14]
	ds_read_b128 v[13:16], v63 offset:16
	s_or_b32 s8, s8, 12
	s_waitcnt lgkmcnt(1)
	v_fma_f64 v[28:29], -v[48:49], v[28:29], v[11:12]
	v_fma_f64 v[40:41], -v[54:55], v[40:41], v[46:47]
	;; [unrolled: 1-line block ×3, first 2 shown]
	ds_read_b128 v[36:39], v64
	v_fma_f64 v[56:57], -v[44:45], v[7:8], v[5:6]
	v_fma_f64 v[17:18], -v[54:55], v[32:33], v[17:18]
	ds_read_b128 v[5:8], v61 offset:32
	ds_read_b128 v[9:12], v61 offset:48
	s_waitcnt lgkmcnt(2)
	v_fma_f64 v[23:24], -v[48:49], v[36:37], v[23:24]
	v_mul_f64 v[58:59], v[40:41], v[42:43]
	v_fma_f64 v[1:2], -v[52:53], v[1:2], v[46:47]
	v_fma_f64 v[36:37], -v[50:51], v[30:31], v[28:29]
	ds_read_b128 v[40:43], v65
	s_waitcnt lgkmcnt(2)
	v_fma_f64 v[5:6], -v[54:55], v[5:6], v[56:57]
	v_fma_f64 v[23:24], -v[50:51], v[38:39], v[23:24]
	;; [unrolled: 1-line block ×4, first 2 shown]
	s_waitcnt lgkmcnt(0)
	v_fma_f64 v[21:22], -v[48:49], v[40:41], v[21:22]
	v_fma_f64 v[13:14], -v[52:53], v[13:14], v[36:37]
	ds_read_b128 v[28:31], v62 offset:32
	ds_read_b128 v[32:35], v65 offset:16
	v_fma_f64 v[36:37], -v[58:59], v[7:8], v[5:6]
	ds_read_b128 v[1:4], v64 offset:16
	ds_read_b128 v[5:8], v62 offset:48
	v_mul_f64 v[38:39], v[17:18], v[19:20]
	s_waitcnt lgkmcnt(3)
	v_fma_f64 v[28:29], -v[54:55], v[28:29], v[46:47]
	v_fma_f64 v[40:41], -v[50:51], v[42:43], v[21:22]
	s_waitcnt lgkmcnt(1)
	v_fma_f64 v[1:2], -v[52:53], v[1:2], v[23:24]
	v_fma_f64 v[42:43], -v[44:45], v[15:16], v[13:14]
	ds_read_b128 v[13:16], v63 offset:32
	ds_read_b128 v[21:24], v63 offset:48
	;; [unrolled: 1-line block ×3, first 2 shown]
	v_fma_f64 v[9:10], -v[38:39], v[9:10], v[36:37]
	v_fma_f64 v[28:29], -v[58:59], v[30:31], v[28:29]
	;; [unrolled: 1-line block ×4, first 2 shown]
	s_waitcnt lgkmcnt(2)
	v_fma_f64 v[3:4], -v[54:55], v[13:14], v[42:43]
	v_fma_f64 v[5:6], -v[38:39], v[5:6], v[28:29]
	v_mul_f64 v[28:29], v[9:10], v[11:12]
	v_fma_f64 v[13:14], -v[44:45], v[34:35], v[30:31]
	s_waitcnt lgkmcnt(0)
	v_fma_f64 v[17:18], -v[54:55], v[17:18], v[1:2]
	v_fma_f64 v[15:16], -v[58:59], v[15:16], v[3:4]
	ds_read_b128 v[1:4], v65 offset:32
	ds_read_b128 v[9:12], v65 offset:48
	v_fma_f64 v[32:33], -v[28:29], v[7:8], v[5:6]
	s_waitcnt lgkmcnt(1)
	v_fma_f64 v[1:2], -v[54:55], v[1:2], v[13:14]
	v_fma_f64 v[30:31], -v[58:59], v[19:20], v[17:18]
	;; [unrolled: 1-line block ×3, first 2 shown]
	ds_read_b128 v[5:8], v64 offset:48
	ds_read2_b64 v[13:16], v60 offset0:136 offset1:170
	ds_read_b128 v[17:20], v64 offset:64
	s_waitcnt lgkmcnt(1)
	v_mul_f64 v[13:14], v[32:33], v[13:14]
	v_fma_f64 v[34:35], -v[58:59], v[3:4], v[1:2]
	v_fma_f64 v[5:6], -v[38:39], v[5:6], v[30:31]
	v_fma_f64 v[21:22], -v[28:29], v[23:24], v[21:22]
	ds_read_b128 v[1:4], v63 offset:64
	v_fma_f64 v[9:10], -v[38:39], v[9:10], v[34:35]
	v_fma_f64 v[5:6], -v[28:29], v[7:8], v[5:6]
	s_waitcnt lgkmcnt(0)
	v_fma_f64 v[1:2], -v[13:14], v[1:2], v[21:22]
	v_fma_f64 v[9:10], -v[28:29], v[11:12], v[9:10]
	;; [unrolled: 1-line block ×3, first 2 shown]
	v_mul_f64 v[17:18], v[1:2], v[3:4]
	ds_read_b128 v[1:4], v65 offset:64
	ds_read_b128 v[5:8], v65 offset:80
	s_waitcnt lgkmcnt(1)
	v_fma_f64 v[1:2], -v[13:14], v[1:2], v[9:10]
	v_fma_f64 v[9:10], -v[17:18], v[19:20], v[11:12]
	v_add_u32_e32 v12, s14, v25
	v_add_u32_e32 v11, s13, v25
	;; [unrolled: 1-line block ×4, first 2 shown]
	v_fma_f64 v[1:2], -v[17:18], v[3:4], v[1:2]
	v_mul_f64 v[3:4], v[9:10], v[15:16]
	v_add_u32_e32 v9, s4, v25
	v_add_u32_e32 v10, s5, v25
	;; [unrolled: 1-line block ×4, first 2 shown]
	ds_write_b64 v26, v[48:49]
	ds_write_b64 v9, v[50:51]
	;; [unrolled: 1-line block ×4, first 2 shown]
	s_waitcnt lgkmcnt(4)
	v_fma_f64 v[1:2], -v[3:4], v[5:6], v[1:2]
	v_add_u32_e32 v5, s19, v25
	v_add_u32_e32 v6, s20, v25
	v_mul_f64 v[1:2], v[1:2], v[7:8]
	ds_write_b64 v12, v[54:55]
	ds_write_b64 v15, v[58:59]
	;; [unrolled: 1-line block ×8, first 2 shown]
.LBB82_18:
	s_cmp_ge_i32 s8, s22
	s_cbranch_scc1 .LBB82_23
; %bb.19:
	v_mov_b32_e32 v1, 0x800
	s_lshl_b32 s4, s8, 7
	v_lshl_or_b32 v3, v0, 3, v1
	s_branch .LBB82_21
.LBB82_20:                              ;   in Loop: Header=BB82_21 Depth=1
	s_mul_i32 s5, s8, 0x88
	v_mov_b32_e32 v5, s5
	ds_read_b64 v[5:6], v5
	s_add_i32 s8, s8, 1
	s_addk_i32 s4, 0x80
	s_cmp_ge_i32 s8, s22
	s_waitcnt lgkmcnt(0)
	v_mul_f64 v[1:2], v[1:2], v[5:6]
	ds_write_b64 v4, v[1:2]
	s_cbranch_scc1 .LBB82_23
.LBB82_21:                              ; =>This Loop Header: Depth=1
                                        ;     Child Loop BB82_22 Depth 2
	s_lshl_b32 s5, s8, 7
	v_add_u32_e32 v4, s5, v25
	ds_read_b64 v[1:2], v4
	s_cmp_eq_u32 s8, 0
	v_mov_b32_e32 v5, v3
	s_mov_b32 s5, s8
	s_mov_b32 s11, s4
	s_cbranch_scc1 .LBB82_20
.LBB82_22:                              ;   Parent Loop BB82_21 Depth=1
                                        ; =>  This Inner Loop Header: Depth=2
	v_mov_b32_e32 v8, s11
	ds_read_b64 v[6:7], v5
	ds_read_b64 v[8:9], v8
	s_add_i32 s11, s11, 8
	s_add_i32 s5, s5, -1
	s_cmp_lg_u32 s5, 0
	v_add_u32_e32 v5, 0x80, v5
	s_waitcnt lgkmcnt(0)
	v_fma_f64 v[1:2], -v[6:7], v[8:9], v[1:2]
	s_cbranch_scc1 .LBB82_22
	s_branch .LBB82_20
.LBB82_23:
	s_mov_b64 s[4:5], 0
.LBB82_24:
	s_and_b64 vcc, exec, s[4:5]
	s_cbranch_vccz .LBB82_50
; %bb.25:
	s_add_i32 s4, s22, -1
	s_cmp_gt_i32 s10, 15
	s_mov_b32 s5, -1
	s_cbranch_scc0 .LBB82_27
; %bb.26:
	ds_read2_b64 v[5:8], v25 offset0:224 offset1:240
	v_mov_b32_e32 v11, 0
	ds_read_b128 v[12:15], v11 offset:2032
	ds_read2_b64 v[16:19], v25 offset0:192 offset1:208
	ds_read2_b64 v[20:23], v25 offset0:160 offset1:176
	;; [unrolled: 1-line block ×6, first 2 shown]
	ds_read_b128 v[42:45], v11 offset:2016
	ds_read2_b64 v[1:4], v11 offset0:204 offset1:238
	s_waitcnt lgkmcnt(8)
	v_mul_f64 v[9:10], v[7:8], v[14:15]
	v_fma_f64 v[50:51], -v[9:10], v[12:13], v[5:6]
	ds_read_b128 v[5:8], v11 offset:1760
	ds_read_b128 v[12:15], v11 offset:2000
	;; [unrolled: 1-line block ×3, first 2 shown]
	s_waitcnt lgkmcnt(4)
	v_fma_f64 v[44:45], -v[9:10], v[44:45], v[18:19]
	v_fma_f64 v[42:43], -v[9:10], v[42:43], v[16:17]
	ds_read_b128 v[16:19], v11 offset:1968
	s_waitcnt lgkmcnt(2)
	v_fma_f64 v[52:53], -v[9:10], v[14:15], v[22:23]
	s_waitcnt lgkmcnt(1)
	v_fma_f64 v[48:49], -v[9:10], v[48:49], v[28:29]
	v_fma_f64 v[46:47], -v[9:10], v[46:47], v[26:27]
	v_mul_f64 v[3:4], v[50:51], v[3:4]
	v_fma_f64 v[50:51], -v[9:10], v[12:13], v[20:21]
	ds_read_b128 v[12:15], v11 offset:1888
	ds_read_b128 v[20:23], v11 offset:1952
	s_waitcnt lgkmcnt(2)
	v_fma_f64 v[30:31], -v[9:10], v[16:17], v[30:31]
	v_fma_f64 v[32:33], -v[9:10], v[18:19], v[32:33]
	ds_read_b128 v[26:29], v11 offset:1920
	s_waitcnt lgkmcnt(2)
	v_fma_f64 v[44:45], -v[3:4], v[14:15], v[44:45]
	ds_read_b128 v[14:17], v11 offset:1936
	s_waitcnt lgkmcnt(2)
	v_fma_f64 v[36:37], -v[9:10], v[22:23], v[36:37]
	v_fma_f64 v[22:23], -v[3:4], v[12:13], v[42:43]
	;; [unrolled: 1-line block ×3, first 2 shown]
	ds_read2_b64 v[18:21], v25 offset1:16
	s_waitcnt lgkmcnt(1)
	v_fma_f64 v[38:39], -v[9:10], v[14:15], v[38:39]
	ds_read_b128 v[12:15], v11 offset:1872
	v_mul_f64 v[42:43], v[44:45], v[7:8]
	v_fma_f64 v[40:41], -v[9:10], v[16:17], v[40:41]
	s_waitcnt lgkmcnt(1)
	v_fma_f64 v[28:29], -v[9:10], v[28:29], v[20:21]
	v_fma_f64 v[26:27], -v[9:10], v[26:27], v[18:19]
	s_waitcnt lgkmcnt(0)
	v_fma_f64 v[20:21], -v[3:4], v[14:15], v[52:53]
	v_fma_f64 v[44:45], -v[3:4], v[12:13], v[50:51]
	ds_read_b128 v[12:15], v11 offset:1840
	ds_read_b128 v[16:19], v11 offset:1856
	v_fma_f64 v[22:23], -v[42:43], v[5:6], v[22:23]
	ds_read_b128 v[5:8], v11 offset:1744
	s_waitcnt lgkmcnt(2)
	v_fma_f64 v[32:33], -v[3:4], v[14:15], v[32:33]
	v_fma_f64 v[30:31], -v[3:4], v[12:13], v[30:31]
	ds_read_b128 v[12:15], v11 offset:1728
	s_waitcnt lgkmcnt(1)
	v_fma_f64 v[50:51], -v[42:43], v[7:8], v[20:21]
	v_fma_f64 v[44:45], -v[42:43], v[5:6], v[44:45]
	ds_read_b128 v[5:8], v11 offset:1808
	v_fma_f64 v[46:47], -v[3:4], v[16:17], v[46:47]
	v_mul_f64 v[1:2], v[22:23], v[1:2]
	v_fma_f64 v[48:49], -v[3:4], v[18:19], v[48:49]
	ds_read_b128 v[16:19], v11 offset:1616
	ds_read_b128 v[20:23], v11 offset:1824
	s_waitcnt lgkmcnt(2)
	v_fma_f64 v[40:41], -v[3:4], v[7:8], v[40:41]
	v_fma_f64 v[38:39], -v[3:4], v[5:6], v[38:39]
	ds_read_b128 v[5:8], v11 offset:1792
	v_fma_f64 v[12:13], -v[42:43], v[12:13], v[46:47]
	s_waitcnt lgkmcnt(1)
	v_fma_f64 v[36:37], -v[3:4], v[22:23], v[36:37]
	v_fma_f64 v[34:35], -v[3:4], v[20:21], v[34:35]
	;; [unrolled: 1-line block ×3, first 2 shown]
	s_waitcnt lgkmcnt(0)
	v_fma_f64 v[46:47], -v[3:4], v[7:8], v[28:29]
	v_fma_f64 v[52:53], -v[3:4], v[5:6], v[26:27]
	ds_read_b128 v[5:8], v11 offset:1712
	v_fma_f64 v[22:23], -v[1:2], v[18:19], v[50:51]
	ds_read_b128 v[18:21], v11 offset:1488
	;; [unrolled: 2-line block ×3, first 2 shown]
	s_waitcnt lgkmcnt(2)
	v_fma_f64 v[32:33], -v[42:43], v[7:8], v[32:33]
	v_fma_f64 v[30:31], -v[42:43], v[5:6], v[30:31]
	ds_read_b128 v[5:8], v11 offset:1680
	s_waitcnt lgkmcnt(2)
	v_mul_f64 v[50:51], v[22:23], v[20:21]
	s_waitcnt lgkmcnt(1)
	v_fma_f64 v[26:27], -v[1:2], v[16:17], v[48:49]
	ds_read_b128 v[20:23], v11 offset:1472
	v_fma_f64 v[28:29], -v[50:51], v[18:19], v[44:45]
	v_fma_f64 v[44:45], -v[1:2], v[14:15], v[12:13]
	ds_read_b128 v[16:19], v11 offset:1696
	ds_read2_b64 v[12:15], v11 offset0:136 offset1:170
	s_waitcnt lgkmcnt(0)
	v_mul_f64 v[48:49], v[28:29], v[14:15]
	v_fma_f64 v[28:29], -v[42:43], v[16:17], v[34:35]
	ds_read_b128 v[14:17], v11 offset:1344
	v_fma_f64 v[22:23], -v[50:51], v[22:23], v[26:27]
	v_fma_f64 v[26:27], -v[42:43], v[18:19], v[36:37]
	;; [unrolled: 1-line block ×3, first 2 shown]
	ds_read_b128 v[18:21], v11 offset:1584
	v_fma_f64 v[36:37], -v[42:43], v[7:8], v[40:41]
	v_fma_f64 v[38:39], -v[42:43], v[5:6], v[38:39]
	ds_read_b128 v[5:8], v11 offset:1216
	s_waitcnt lgkmcnt(1)
	v_fma_f64 v[32:33], -v[1:2], v[20:21], v[32:33]
	v_fma_f64 v[30:31], -v[1:2], v[18:19], v[30:31]
	;; [unrolled: 1-line block ×3, first 2 shown]
	ds_read_b128 v[16:19], v11 offset:1568
	ds_read_b128 v[20:23], v11 offset:1456
	v_fma_f64 v[34:35], -v[48:49], v[14:15], v[34:35]
	s_waitcnt lgkmcnt(1)
	v_fma_f64 v[26:27], -v[1:2], v[18:19], v[26:27]
	s_waitcnt lgkmcnt(0)
	v_fma_f64 v[22:23], -v[50:51], v[22:23], v[32:33]
	v_fma_f64 v[30:31], -v[50:51], v[20:21], v[30:31]
	;; [unrolled: 1-line block ×3, first 2 shown]
	ds_read_b128 v[14:17], v11 offset:1440
	ds_read_b128 v[18:21], v11 offset:1328
	s_waitcnt lgkmcnt(0)
	v_fma_f64 v[22:23], -v[48:49], v[20:21], v[22:23]
	v_fma_f64 v[30:31], -v[48:49], v[18:19], v[30:31]
	ds_read_b128 v[18:21], v11 offset:1312
	v_mul_f64 v[40:41], v[40:41], v[7:8]
	v_fma_f64 v[44:45], -v[50:51], v[14:15], v[28:29]
	v_fma_f64 v[32:33], -v[40:41], v[5:6], v[34:35]
	ds_read_b128 v[5:8], v11 offset:1200
	v_fma_f64 v[34:35], -v[50:51], v[16:17], v[26:27]
	ds_read_b128 v[14:17], v11 offset:1664
	ds_read_b128 v[26:29], v11 offset:1072
	s_waitcnt lgkmcnt(2)
	v_fma_f64 v[22:23], -v[40:41], v[7:8], v[22:23]
	v_fma_f64 v[30:31], -v[40:41], v[5:6], v[30:31]
	v_mul_f64 v[32:33], v[32:33], v[12:13]
	s_waitcnt lgkmcnt(1)
	v_fma_f64 v[52:53], -v[42:43], v[14:15], v[52:53]
	ds_read_b128 v[12:15], v11 offset:1552
	v_fma_f64 v[20:21], -v[48:49], v[20:21], v[34:35]
	v_fma_f64 v[46:47], -v[42:43], v[16:17], v[46:47]
	;; [unrolled: 1-line block ×3, first 2 shown]
	ds_read_b128 v[16:19], v11 offset:1184
	ds_read_b128 v[5:8], v11 offset:1424
	s_waitcnt lgkmcnt(3)
	v_fma_f64 v[22:23], -v[32:33], v[28:29], v[22:23]
	s_waitcnt lgkmcnt(2)
	v_fma_f64 v[28:29], -v[1:2], v[14:15], v[36:37]
	v_fma_f64 v[36:37], -v[1:2], v[12:13], v[38:39]
	ds_read_b128 v[12:15], v11 offset:944
	s_waitcnt lgkmcnt(2)
	v_fma_f64 v[38:39], -v[40:41], v[18:19], v[20:21]
	v_fma_f64 v[26:27], -v[32:33], v[26:27], v[30:31]
	v_fma_f64 v[34:35], -v[40:41], v[16:17], v[34:35]
	ds_read_b128 v[16:19], v11 offset:1056
	s_waitcnt lgkmcnt(1)
	v_mul_f64 v[30:31], v[22:23], v[14:15]
	ds_read_b128 v[20:23], v11 offset:1296
	v_fma_f64 v[44:45], -v[50:51], v[7:8], v[28:29]
	v_fma_f64 v[36:37], -v[50:51], v[5:6], v[36:37]
	ds_read_b128 v[5:8], v11 offset:1536
	v_fma_f64 v[12:13], -v[30:31], v[12:13], v[26:27]
	ds_read_b128 v[26:29], v11 offset:928
	s_waitcnt lgkmcnt(3)
	v_fma_f64 v[38:39], -v[32:33], v[18:19], v[38:39]
	s_waitcnt lgkmcnt(1)
	v_fma_f64 v[46:47], -v[1:2], v[7:8], v[46:47]
	v_fma_f64 v[52:53], -v[1:2], v[5:6], v[52:53]
	;; [unrolled: 1-line block ×4, first 2 shown]
	ds_read_b128 v[14:17], v11 offset:1408
	ds_read2_b64 v[5:8], v11 offset0:68 offset1:102
	v_fma_f64 v[36:37], -v[48:49], v[20:21], v[36:37]
	ds_read_b128 v[18:21], v11 offset:1168
	s_waitcnt lgkmcnt(3)
	v_fma_f64 v[38:39], -v[30:31], v[28:29], v[38:39]
	s_waitcnt lgkmcnt(2)
	v_fma_f64 v[52:53], -v[50:51], v[14:15], v[52:53]
	s_waitcnt lgkmcnt(1)
	v_mul_f64 v[44:45], v[12:13], v[7:8]
	v_fma_f64 v[7:8], -v[50:51], v[16:17], v[46:47]
	s_waitcnt lgkmcnt(0)
	v_fma_f64 v[46:47], -v[40:41], v[20:21], v[22:23]
	v_fma_f64 v[34:35], -v[30:31], v[26:27], v[34:35]
	ds_read_b128 v[26:29], v11 offset:800
	v_fma_f64 v[36:37], -v[40:41], v[18:19], v[36:37]
	ds_read_b128 v[16:19], v11 offset:1040
	ds_read_b128 v[12:15], v11 offset:1280
	;; [unrolled: 1-line block ×3, first 2 shown]
	s_waitcnt lgkmcnt(3)
	v_fma_f64 v[38:39], -v[44:45], v[28:29], v[38:39]
	s_waitcnt lgkmcnt(2)
	v_fma_f64 v[18:19], -v[32:33], v[18:19], v[46:47]
	;; [unrolled: 2-line block ×3, first 2 shown]
	v_fma_f64 v[46:47], -v[48:49], v[12:13], v[52:53]
	v_fma_f64 v[34:35], -v[44:45], v[26:27], v[34:35]
	;; [unrolled: 1-line block ×3, first 2 shown]
	ds_read_b128 v[14:17], v11 offset:912
	ds_read_b128 v[26:29], v11 offset:672
	s_waitcnt lgkmcnt(2)
	v_fma_f64 v[7:8], -v[40:41], v[22:23], v[7:8]
	s_waitcnt lgkmcnt(1)
	v_fma_f64 v[52:53], -v[30:31], v[16:17], v[18:19]
	s_waitcnt lgkmcnt(0)
	v_mul_f64 v[28:29], v[38:39], v[28:29]
	v_fma_f64 v[38:39], -v[40:41], v[20:21], v[46:47]
	v_fma_f64 v[36:37], -v[30:31], v[14:15], v[36:37]
	ds_read_b128 v[12:15], v11 offset:1024
	ds_read_b128 v[20:23], v11 offset:896
	;; [unrolled: 1-line block ×3, first 2 shown]
	s_waitcnt lgkmcnt(2)
	v_fma_f64 v[7:8], -v[32:33], v[14:15], v[7:8]
	v_fma_f64 v[26:27], -v[28:29], v[26:27], v[34:35]
	v_fma_f64 v[34:35], -v[32:33], v[12:13], v[38:39]
	ds_read_b128 v[12:15], v11 offset:656
	s_waitcnt lgkmcnt(1)
	v_fma_f64 v[18:19], -v[44:45], v[18:19], v[52:53]
	v_fma_f64 v[36:37], -v[44:45], v[16:17], v[36:37]
	;; [unrolled: 1-line block ×3, first 2 shown]
	v_mul_f64 v[26:27], v[26:27], v[5:6]
	v_fma_f64 v[34:35], -v[30:31], v[20:21], v[34:35]
	s_waitcnt lgkmcnt(0)
	v_fma_f64 v[18:19], -v[28:29], v[14:15], v[18:19]
	ds_read_b128 v[5:8], v11 offset:768
	ds_read_b128 v[14:17], v11 offset:528
	v_fma_f64 v[12:13], -v[28:29], v[12:13], v[36:37]
	s_waitcnt lgkmcnt(1)
	v_fma_f64 v[7:8], -v[44:45], v[7:8], v[22:23]
	s_waitcnt lgkmcnt(0)
	v_fma_f64 v[36:37], -v[26:27], v[16:17], v[18:19]
	ds_read_b128 v[16:19], v11 offset:640
	ds_read_b128 v[20:23], v11 offset:400
	v_fma_f64 v[12:13], -v[26:27], v[14:15], v[12:13]
	v_fma_f64 v[14:15], -v[44:45], v[5:6], v[34:35]
	s_waitcnt lgkmcnt(1)
	v_fma_f64 v[18:19], -v[28:29], v[18:19], v[7:8]
	ds_read_b128 v[5:8], v11 offset:512
	s_waitcnt lgkmcnt(1)
	v_mul_f64 v[22:23], v[36:37], v[22:23]
	v_fma_f64 v[34:35], -v[28:29], v[16:17], v[14:15]
	s_waitcnt lgkmcnt(0)
	v_fma_f64 v[7:8], -v[26:27], v[7:8], v[18:19]
	v_fma_f64 v[20:21], -v[22:23], v[20:21], v[12:13]
	ds_read_b128 v[12:15], v11 offset:384
	ds_read2_b64 v[16:19], v11 offset1:34
	s_waitcnt lgkmcnt(1)
	v_fma_f64 v[14:15], -v[22:23], v[14:15], v[7:8]
	s_waitcnt lgkmcnt(0)
	v_mul_f64 v[18:19], v[20:21], v[18:19]
	v_fma_f64 v[20:21], -v[26:27], v[5:6], v[34:35]
	ds_read_b128 v[5:8], v11 offset:256
	s_waitcnt lgkmcnt(0)
	v_fma_f64 v[7:8], -v[18:19], v[7:8], v[14:15]
	v_fma_f64 v[20:21], -v[22:23], v[12:13], v[20:21]
	ds_read_b128 v[11:14], v11 offset:128
	s_waitcnt lgkmcnt(0)
	v_mul_f64 v[7:8], v[7:8], v[13:14]
	v_fma_f64 v[5:6], -v[18:19], v[5:6], v[20:21]
	v_fma_f64 v[5:6], -v[7:8], v[11:12], v[5:6]
	v_mul_f64 v[5:6], v[5:6], v[16:17]
	ds_write2_b64 v25, v[3:4], v[9:10] offset0:224 offset1:240
	ds_write2_b64 v25, v[1:2], v[42:43] offset0:192 offset1:208
	;; [unrolled: 1-line block ×7, first 2 shown]
	ds_write2_b64 v25, v[5:6], v[7:8] offset1:16
	s_cmp_gt_i32 s5, -1
	s_cbranch_scc1 .LBB82_28
	s_branch .LBB82_50
.LBB82_27:
	s_mov_b32 s5, s4
	s_cmp_gt_i32 s5, -1
	s_cbranch_scc0 .LBB82_50
.LBB82_28:
	s_cmp_lt_u32 s5, 11
	s_cbranch_scc1 .LBB82_33
; %bb.29:
	s_lshl_b32 s8, s5, 7
	v_add_u32_e32 v26, s8, v25
	v_add_u32_e32 v1, 0xffffff80, v26
	v_add_u32_e32 v2, 0xffffff00, v26
	v_add_u32_e32 v3, 0xfffffe80, v26
	ds_read_b64 v[7:8], v26
	ds_read_b64 v[23:24], v1
	ds_read_b64 v[19:20], v2
	ds_read_b64 v[17:18], v3
	v_add_u32_e32 v1, 0xfffffe00, v26
	v_add_u32_e32 v2, 0xfffffd80, v26
	v_add_u32_e32 v3, 0xfffffd00, v26
	v_add_u32_e32 v4, 0xfffffc80, v26
	ds_read_b64 v[21:22], v1
	ds_read_b64 v[15:16], v2
	ds_read_b64 v[13:14], v3
	ds_read_b64 v[11:12], v4
	;; [unrolled: 8-line block ×3, first 2 shown]
	s_cmp_le_i32 s4, s5
	s_cbranch_scc1 .LBB82_32
; %bb.30:
	s_lshl_b32 s10, s22, 7
	s_lshl_b32 s11, s5, 3
	v_lshl_or_b32 v27, v0, 3, s10
	s_add_i32 s10, s10, s11
	v_add_u32_e32 v27, 0x780, v27
	s_addk_i32 s10, 0xff28
	s_mov_b32 s11, s4
.LBB82_31:                              ; =>This Inner Loop Header: Depth=1
	v_mov_b32_e32 v48, s10
	ds_read_b64 v[52:53], v27
	ds_read2_b64 v[28:31], v48 offset0:10 offset1:11
	ds_read2_b64 v[32:35], v48 offset0:8 offset1:9
	;; [unrolled: 1-line block ×5, first 2 shown]
	ds_read2_b64 v[48:51], v48 offset1:1
	s_add_i32 s11, s11, -1
	s_addk_i32 s10, 0xff80
	s_cmp_gt_i32 s11, s5
	s_waitcnt lgkmcnt(5)
	v_fma_f64 v[7:8], -v[52:53], v[30:31], v[7:8]
	v_fma_f64 v[23:24], -v[52:53], v[28:29], v[23:24]
	s_waitcnt lgkmcnt(4)
	v_fma_f64 v[19:20], -v[52:53], v[34:35], v[19:20]
	v_fma_f64 v[17:18], -v[52:53], v[32:33], v[17:18]
	;; [unrolled: 3-line block ×6, first 2 shown]
	v_add_u32_e32 v27, 0xffffff80, v27
	s_cbranch_scc1 .LBB82_31
.LBB82_32:
	s_add_i32 s10, s5, -1
	s_lshl_b32 s11, s10, 3
	s_add_i32 s12, s11, s8
	v_mov_b32_e32 v27, s12
	ds_read2_b64 v[27:30], v27 offset1:1
	s_lshl_b32 s10, s10, 7
	s_add_i32 s11, s11, s10
	v_mov_b32_e32 v31, s11
	ds_read_b64 v[35:36], v31
	s_waitcnt lgkmcnt(1)
	v_mul_f64 v[7:8], v[7:8], v[29:30]
	s_add_i32 s12, s5, -3
	s_lshl_b32 s13, s12, 3
	s_add_i32 s16, s13, s8
	s_add_i32 s14, s5, -5
	s_lshl_b32 s15, s14, 3
	s_add_i32 s11, s8, 0xffffff00
	s_lshl_b32 s12, s12, 7
	v_fma_f64 v[23:24], -v[7:8], v[27:28], v[23:24]
	v_mov_b32_e32 v27, s16
	ds_read2_b64 v[27:30], v27 offset1:1
	s_add_i32 s16, s13, s10
	v_mov_b32_e32 v31, s16
	ds_read2_b64 v[31:34], v31 offset1:1
	s_add_i32 s16, s15, s8
	s_waitcnt lgkmcnt(1)
	v_fma_f64 v[19:20], -v[7:8], v[29:30], v[19:20]
	v_mul_f64 v[37:38], v[23:24], v[35:36]
	v_fma_f64 v[23:24], -v[7:8], v[27:28], v[17:18]
	v_mov_b32_e32 v30, s16
	s_add_i32 s17, s13, s11
	s_add_i32 s13, s13, s12
	;; [unrolled: 1-line block ×3, first 2 shown]
	v_mov_b32_e32 v29, s17
	v_mov_b32_e32 v35, s13
	s_waitcnt lgkmcnt(0)
	v_fma_f64 v[39:40], -v[37:38], v[33:34], v[19:20]
	ds_read2_b64 v[17:20], v30 offset1:1
	v_mov_b32_e32 v33, s18
	ds_read2_b64 v[27:30], v29 offset1:1
	ds_read_b64 v[41:42], v35
	ds_read2_b64 v[33:36], v33 offset1:1
	s_add_i32 s16, s15, s11
	s_add_i32 s18, s5, -7
	s_waitcnt lgkmcnt(3)
	v_fma_f64 v[19:20], -v[7:8], v[19:20], v[21:22]
	v_fma_f64 v[21:22], -v[37:38], v[31:32], v[23:24]
	s_waitcnt lgkmcnt(2)
	v_mul_f64 v[39:40], v[39:40], v[29:30]
	v_fma_f64 v[29:30], -v[7:8], v[17:18], v[15:16]
	v_mov_b32_e32 v31, s16
	ds_read2_b64 v[15:18], v31 offset1:1
	s_lshl_b32 s19, s18, 3
	s_add_i32 s17, s15, s12
	s_waitcnt lgkmcnt(1)
	v_fma_f64 v[23:24], -v[37:38], v[35:36], v[19:20]
	s_add_i32 s20, s19, s8
	v_fma_f64 v[27:28], -v[39:40], v[27:28], v[21:22]
	v_mov_b32_e32 v19, s17
	ds_read2_b64 v[19:22], v19 offset1:1
	s_add_i32 s17, s19, s10
	s_add_i32 s13, s8, 0xfffffe00
	v_mov_b32_e32 v31, s17
	s_waitcnt lgkmcnt(1)
	v_fma_f64 v[17:18], -v[39:40], v[17:18], v[23:24]
	v_fma_f64 v[23:24], -v[37:38], v[33:34], v[29:30]
	v_mul_f64 v[41:42], v[27:28], v[41:42]
	v_mov_b32_e32 v27, s20
	ds_read2_b64 v[27:30], v27 offset1:1
	s_add_i32 s16, s15, s13
	ds_read2_b64 v[31:34], v31 offset1:1
	v_mov_b32_e32 v35, s16
	s_lshl_b32 s14, s14, 7
	s_add_i32 s15, s15, s14
	s_waitcnt lgkmcnt(2)
	v_fma_f64 v[17:18], -v[41:42], v[21:22], v[17:18]
	v_fma_f64 v[21:22], -v[39:40], v[15:16], v[23:24]
	s_waitcnt lgkmcnt(1)
	v_fma_f64 v[23:24], -v[7:8], v[29:30], v[13:14]
	ds_read2_b64 v[13:16], v35 offset1:1
	v_mov_b32_e32 v29, s15
	s_add_i32 s15, s19, s11
	ds_read_b64 v[29:30], v29
	v_fma_f64 v[27:28], -v[7:8], v[27:28], v[11:12]
	s_waitcnt lgkmcnt(1)
	v_mul_f64 v[43:44], v[17:18], v[15:16]
	v_mov_b32_e32 v15, s15
	v_fma_f64 v[23:24], -v[37:38], v[33:34], v[23:24]
	ds_read2_b64 v[15:18], v15 offset1:1
	v_fma_f64 v[35:36], -v[41:42], v[19:20], v[21:22]
	s_add_i32 s15, s19, s12
	v_mov_b32_e32 v19, s15
	ds_read2_b64 v[19:22], v19 offset1:1
	s_add_i32 s15, s19, s13
	v_mov_b32_e32 v11, s15
	s_waitcnt lgkmcnt(1)
	v_fma_f64 v[17:18], -v[39:40], v[17:18], v[23:24]
	s_add_i32 s16, s5, -9
	v_fma_f64 v[23:24], -v[43:44], v[13:14], v[35:36]
	ds_read2_b64 v[11:14], v11 offset1:1
	s_add_i32 s15, s19, s14
	s_lshl_b32 s17, s16, 3
	v_fma_f64 v[31:32], -v[37:38], v[31:32], v[27:28]
	s_lshl_b32 s18, s18, 7
	s_waitcnt lgkmcnt(1)
	v_fma_f64 v[17:18], -v[41:42], v[21:22], v[17:18]
	v_mov_b32_e32 v21, s15
	s_add_i32 s15, s17, s8
	v_mul_f64 v[45:46], v[23:24], v[29:30]
	ds_read2_b64 v[21:24], v21 offset1:1
	s_lshl_b32 s16, s16, 7
	v_fma_f64 v[31:32], -v[39:40], v[15:16], v[31:32]
	s_waitcnt lgkmcnt(1)
	v_fma_f64 v[17:18], -v[43:44], v[13:14], v[17:18]
	v_mov_b32_e32 v13, s15
	ds_read2_b64 v[27:30], v13 offset1:1
	s_add_i32 s15, s17, s10
	v_mov_b32_e32 v13, s15
	ds_read2_b64 v[13:16], v13 offset1:1
	s_add_i32 s15, s8, 0xfffffd00
	s_waitcnt lgkmcnt(1)
	v_fma_f64 v[9:10], -v[7:8], v[29:30], v[9:10]
	s_add_i32 s20, s19, s15
	v_mov_b32_e32 v29, s20
	s_add_i32 s20, s17, s11
	v_fma_f64 v[23:24], -v[45:46], v[23:24], v[17:18]
	v_fma_f64 v[19:20], -v[41:42], v[19:20], v[31:32]
	;; [unrolled: 1-line block ×3, first 2 shown]
	s_add_i32 s19, s19, s18
	s_waitcnt lgkmcnt(0)
	v_fma_f64 v[9:10], -v[37:38], v[15:16], v[9:10]
	v_mov_b32_e32 v15, s20
	ds_read2_b64 v[15:18], v15 offset1:1
	ds_read2_b64 v[29:32], v29 offset1:1
	s_add_i32 s20, s17, s12
	v_mov_b32_e32 v33, s20
	ds_read2_b64 v[33:36], v33 offset1:1
	v_fma_f64 v[5:6], -v[37:38], v[13:14], v[5:6]
	s_waitcnt lgkmcnt(1)
	v_mul_f64 v[31:32], v[23:24], v[31:32]
	v_fma_f64 v[9:10], -v[39:40], v[17:18], v[9:10]
	v_fma_f64 v[17:18], -v[43:44], v[11:12], v[19:20]
	v_mov_b32_e32 v11, s19
	ds_read_b64 v[27:28], v11
	s_add_i32 s19, s17, s13
	ds_write_b64 v26, v[7:8]
	v_fma_f64 v[5:6], -v[39:40], v[15:16], v[5:6]
	s_waitcnt lgkmcnt(2)
	v_fma_f64 v[23:24], -v[41:42], v[35:36], v[9:10]
	v_mov_b32_e32 v9, s19
	ds_read2_b64 v[9:12], v9 offset1:1
	s_add_i32 s19, s17, s14
	v_fma_f64 v[13:14], -v[45:46], v[21:22], v[17:18]
	v_mov_b32_e32 v17, s19
	ds_read2_b64 v[17:20], v17 offset1:1
	s_add_i32 s19, s17, s15
	s_waitcnt lgkmcnt(1)
	v_fma_f64 v[11:12], -v[43:44], v[11:12], v[23:24]
	v_fma_f64 v[5:6], -v[41:42], v[33:34], v[5:6]
	v_mov_b32_e32 v33, s19
	s_add_i32 s19, s5, -11
	s_lshl_b32 s20, s19, 3
	s_add_i32 s21, s20, s8
	v_fma_f64 v[15:16], -v[31:32], v[29:30], v[13:14]
	s_add_i32 s5, s5, -12
	s_waitcnt lgkmcnt(0)
	v_fma_f64 v[23:24], -v[45:46], v[19:20], v[11:12]
	v_mov_b32_e32 v11, s21
	ds_read2_b64 v[11:14], v11 offset1:1
	s_add_i32 s21, s20, s10
	v_fma_f64 v[9:10], -v[43:44], v[9:10], v[5:6]
	v_mov_b32_e32 v5, s21
	ds_read2_b64 v[19:22], v5 offset1:1
	s_waitcnt lgkmcnt(1)
	v_fma_f64 v[29:30], -v[7:8], v[13:14], v[3:4]
	ds_read2_b64 v[3:6], v33 offset1:1
	s_add_i32 s21, s17, s18
	v_fma_f64 v[1:2], -v[7:8], v[11:12], v[1:2]
	v_mov_b32_e32 v13, s21
	v_fma_f64 v[33:34], -v[45:46], v[17:18], v[9:10]
	s_add_i32 s21, s20, s11
	v_mov_b32_e32 v9, s21
	s_waitcnt lgkmcnt(1)
	v_fma_f64 v[17:18], -v[37:38], v[21:22], v[29:30]
	v_mul_f64 v[27:28], v[15:16], v[27:28]
	ds_read2_b64 v[13:16], v13 offset1:1
	s_waitcnt lgkmcnt(1)
	v_fma_f64 v[5:6], -v[31:32], v[5:6], v[23:24]
	ds_read2_b64 v[21:24], v9 offset1:1
	v_fma_f64 v[19:20], -v[37:38], v[19:20], v[1:2]
	s_add_i32 s21, s20, s12
	v_mov_b32_e32 v9, s21
	ds_read2_b64 v[9:12], v9 offset1:1
	s_waitcnt lgkmcnt(1)
	v_fma_f64 v[23:24], -v[39:40], v[23:24], v[17:18]
	s_add_i32 s21, s8, 0xfffffc00
	s_add_i32 s23, s17, s21
	v_mov_b32_e32 v1, s23
	v_fma_f64 v[5:6], -v[27:28], v[15:16], v[5:6]
	ds_read2_b64 v[15:18], v1 offset1:1
	s_add_i32 s23, s20, s13
	v_mov_b32_e32 v1, s23
	s_waitcnt lgkmcnt(1)
	v_fma_f64 v[11:12], -v[41:42], v[11:12], v[23:24]
	v_fma_f64 v[23:24], -v[39:40], v[21:22], v[19:20]
	;; [unrolled: 1-line block ×3, first 2 shown]
	ds_read2_b64 v[1:4], v1 offset1:1
	s_add_i32 s23, s20, s14
	v_mov_b32_e32 v19, s23
	ds_read2_b64 v[19:22], v19 offset1:1
	s_add_i32 s17, s17, s16
	s_waitcnt lgkmcnt(1)
	v_fma_f64 v[3:4], -v[43:44], v[3:4], v[11:12]
	v_fma_f64 v[9:10], -v[41:42], v[9:10], v[23:24]
	v_mov_b32_e32 v11, s17
	s_add_i32 s17, s20, s15
	v_mul_f64 v[17:18], v[5:6], v[17:18]
	ds_read_b64 v[23:24], v11
	v_fma_f64 v[13:14], -v[27:28], v[13:14], v[29:30]
	s_addk_i32 s8, 0xfb00
	s_waitcnt lgkmcnt(1)
	v_fma_f64 v[21:22], -v[45:46], v[21:22], v[3:4]
	v_fma_f64 v[1:2], -v[43:44], v[1:2], v[9:10]
	v_mov_b32_e32 v3, s17
	ds_read2_b64 v[3:6], v3 offset1:1
	s_add_i32 s17, s20, s18
	v_mov_b32_e32 v9, s17
	ds_read2_b64 v[9:12], v9 offset1:1
	v_fma_f64 v[15:16], -v[17:18], v[15:16], v[13:14]
	s_waitcnt lgkmcnt(1)
	v_fma_f64 v[5:6], -v[31:32], v[5:6], v[21:22]
	v_fma_f64 v[1:2], -v[45:46], v[19:20], v[1:2]
	s_add_i32 s17, s20, s21
	v_mul_f64 v[15:16], v[15:16], v[23:24]
	s_waitcnt lgkmcnt(0)
	v_fma_f64 v[5:6], -v[27:28], v[11:12], v[5:6]
	v_fma_f64 v[19:20], -v[31:32], v[3:4], v[1:2]
	v_mov_b32_e32 v11, s17
	ds_read2_b64 v[11:14], v11 offset1:1
	s_add_i32 s17, s20, s16
	v_mov_b32_e32 v1, s17
	ds_read2_b64 v[1:4], v1 offset1:1
	s_add_i32 s17, s20, s8
	s_waitcnt lgkmcnt(1)
	v_fma_f64 v[5:6], -v[17:18], v[13:14], v[5:6]
	v_fma_f64 v[9:10], -v[27:28], v[9:10], v[19:20]
	s_waitcnt lgkmcnt(0)
	v_fma_f64 v[7:8], -v[15:16], v[3:4], v[5:6]
	v_fma_f64 v[9:10], -v[17:18], v[11:12], v[9:10]
	v_mov_b32_e32 v3, s17
	ds_read2_b64 v[3:6], v3 offset1:1
	s_lshl_b32 s17, s19, 7
	s_add_i32 s19, s20, s17
	v_mov_b32_e32 v11, s19
	ds_read_b64 v[11:12], v11
	s_waitcnt lgkmcnt(1)
	v_mul_f64 v[5:6], v[7:8], v[5:6]
	v_fma_f64 v[1:2], -v[15:16], v[1:2], v[9:10]
	v_add_u32_e32 v7, s10, v25
	ds_write_b64 v7, v[37:38]
	v_add_u32_e32 v7, s11, v25
	ds_write_b64 v7, v[39:40]
	;; [unrolled: 2-line block ×3, first 2 shown]
	v_add_u32_e32 v7, s13, v25
	v_fma_f64 v[1:2], -v[5:6], v[3:4], v[1:2]
	v_add_u32_e32 v3, s14, v25
	ds_write_b64 v3, v[45:46]
	v_add_u32_e32 v3, s15, v25
	ds_write_b64 v3, v[31:32]
	;; [unrolled: 2-line block ×3, first 2 shown]
	v_add_u32_e32 v3, s21, v25
	s_waitcnt lgkmcnt(6)
	v_mul_f64 v[1:2], v[1:2], v[11:12]
	ds_write_b64 v3, v[17:18]
	v_add_u32_e32 v3, s16, v25
	ds_write_b64 v3, v[15:16]
	v_add_u32_e32 v3, s8, v25
	;; [unrolled: 2-line block ×3, first 2 shown]
	ds_write_b64 v7, v[43:44]
	ds_write_b64 v3, v[1:2]
.LBB82_33:
	s_cmp_lt_i32 s5, 0
	s_cbranch_scc1 .LBB82_50
; %bb.34:
	s_and_b32 s8, s5, 3
	s_cmp_eq_u32 s8, 3
	s_mov_b32 s8, s5
	s_cbranch_scc1 .LBB82_39
; %bb.35:
	s_add_i32 s8, s5, 1
	s_and_b32 s10, s8, 3
	s_lshl_b32 s8, s22, 7
	s_lshl_b32 s11, s5, 3
	s_add_i32 s11, s8, s11
	v_lshl_or_b32 v1, v0, 3, s8
	s_addk_i32 s11, 0xff80
	v_add_u32_e32 v3, 0x780, v1
	s_mov_b32 s12, 0
	s_mov_b32 s8, s5
	s_branch .LBB82_37
.LBB82_36:                              ;   in Loop: Header=BB82_37 Depth=1
	s_mul_i32 s13, s8, 0x88
	v_mov_b32_e32 v5, s13
	ds_read_b64 v[5:6], v5
	s_add_i32 s8, s8, -1
	s_add_i32 s12, s12, 1
	s_add_i32 s11, s11, -8
	s_cmp_lg_u32 s12, s10
	s_waitcnt lgkmcnt(0)
	v_mul_f64 v[1:2], v[1:2], v[5:6]
	ds_write_b64 v4, v[1:2]
	s_cbranch_scc0 .LBB82_39
.LBB82_37:                              ; =>This Loop Header: Depth=1
                                        ;     Child Loop BB82_38 Depth 2
	s_lshl_b32 s13, s8, 7
	v_add_u32_e32 v4, s13, v25
	ds_read_b64 v[1:2], v4
	s_cmp_le_i32 s4, s8
	v_mov_b32_e32 v5, v3
	s_mov_b32 s13, s11
	s_mov_b32 s14, s4
	s_cbranch_scc1 .LBB82_36
.LBB82_38:                              ;   Parent Loop BB82_37 Depth=1
                                        ; =>  This Inner Loop Header: Depth=2
	v_mov_b32_e32 v8, s13
	ds_read_b64 v[6:7], v5
	ds_read_b64 v[8:9], v8
	s_add_i32 s14, s14, -1
	s_addk_i32 s13, 0xff80
	s_cmp_gt_i32 s14, s8
	v_add_u32_e32 v5, 0xffffff80, v5
	s_waitcnt lgkmcnt(0)
	v_fma_f64 v[1:2], -v[6:7], v[8:9], v[1:2]
	s_cbranch_scc1 .LBB82_38
	s_branch .LBB82_36
.LBB82_39:
	s_cmp_lt_u32 s5, 3
	s_cbranch_scc1 .LBB82_50
; %bb.40:
	s_lshl_b32 s10, s22, 7
	s_lshl_b32 s5, s8, 3
	s_add_i32 s12, s10, s5
	v_lshl_or_b32 v1, v0, 3, s10
	s_add_i32 s5, s12, 0xffffff80
	v_add_u32_e32 v5, 0x780, v1
	s_add_i32 s10, s12, 0xffffff78
	s_add_i32 s11, s12, 0xffffff70
	s_addk_i32 s12, 0xff68
	s_branch .LBB82_42
.LBB82_41:                              ;   in Loop: Header=BB82_42 Depth=1
	s_addk_i32 s13, 0xff78
	v_mov_b32_e32 v3, s13
	ds_read_b64 v[3:4], v3
	s_add_i32 s13, s8, -4
	s_sub_i32 s5, s5, 32
	s_sub_i32 s10, s10, 32
	;; [unrolled: 1-line block ×3, first 2 shown]
	s_waitcnt lgkmcnt(0)
	v_mul_f64 v[1:2], v[1:2], v[3:4]
	s_sub_i32 s12, s12, 32
	s_cmp_lt_i32 s8, 4
	s_mov_b32 s8, s13
	ds_write_b64 v6, v[1:2]
	s_cbranch_scc1 .LBB82_50
.LBB82_42:                              ; =>This Loop Header: Depth=1
                                        ;     Child Loop BB82_43 Depth 2
                                        ;     Child Loop BB82_45 Depth 2
	;; [unrolled: 1-line block ×4, first 2 shown]
	s_lshl_b32 s14, s8, 7
	v_add_u32_e32 v7, s14, v25
	ds_read_b64 v[3:4], v7
	s_cmp_le_i32 s4, s8
	v_mov_b32_e32 v1, v5
	s_mov_b32 s13, s5
	s_mov_b32 s15, s4
	s_cbranch_scc1 .LBB82_44
.LBB82_43:                              ;   Parent Loop BB82_42 Depth=1
                                        ; =>  This Inner Loop Header: Depth=2
	v_mov_b32_e32 v2, s13
	ds_read_b64 v[8:9], v1
	ds_read_b64 v[10:11], v2
	s_add_i32 s15, s15, -1
	s_addk_i32 s13, 0xff80
	s_cmp_gt_i32 s15, s8
	v_add_u32_e32 v1, 0xffffff80, v1
	s_waitcnt lgkmcnt(0)
	v_fma_f64 v[3:4], -v[8:9], v[10:11], v[3:4]
	s_cbranch_scc1 .LBB82_43
.LBB82_44:                              ;   in Loop: Header=BB82_42 Depth=1
	s_mul_i32 s13, s8, 0x88
	v_mov_b32_e32 v1, s13
	ds_read_b64 v[8:9], v1
	s_addk_i32 s14, 0xff80
	v_add_u32_e32 v6, s14, v25
	ds_read_b64 v[1:2], v6
	s_mov_b32 s14, s10
	s_waitcnt lgkmcnt(1)
	v_mul_f64 v[8:9], v[3:4], v[8:9]
	v_mov_b32_e32 v3, v5
	s_cmp_le_i32 s22, s8
	s_mov_b32 s15, s22
	ds_write_b64 v7, v[8:9]
	s_cbranch_scc1 .LBB82_46
.LBB82_45:                              ;   Parent Loop BB82_42 Depth=1
                                        ; =>  This Inner Loop Header: Depth=2
	v_mov_b32_e32 v4, s14
	ds_read_b64 v[7:8], v3
	ds_read_b64 v[9:10], v4
	s_add_i32 s15, s15, -1
	s_addk_i32 s14, 0xff80
	s_cmp_gt_i32 s15, s8
	v_add_u32_e32 v3, 0xffffff80, v3
	s_waitcnt lgkmcnt(0)
	v_fma_f64 v[1:2], -v[7:8], v[9:10], v[1:2]
	s_cbranch_scc1 .LBB82_45
.LBB82_46:                              ;   in Loop: Header=BB82_42 Depth=1
	s_addk_i32 s13, 0xff78
	v_mov_b32_e32 v3, s13
	ds_read_b64 v[8:9], v3
	s_add_i32 s14, s8, -2
	s_lshl_b32 s15, s14, 7
	v_add_u32_e32 v7, s15, v25
	ds_read_b64 v[3:4], v7
	s_waitcnt lgkmcnt(1)
	v_mul_f64 v[8:9], v[1:2], v[8:9]
	v_mov_b32_e32 v1, v5
	s_mov_b32 s15, s11
	s_cmp_le_i32 s4, s14
	s_mov_b32 s16, s4
	ds_write_b64 v6, v[8:9]
	s_cbranch_scc1 .LBB82_48
.LBB82_47:                              ;   Parent Loop BB82_42 Depth=1
                                        ; =>  This Inner Loop Header: Depth=2
	v_mov_b32_e32 v2, s15
	ds_read_b64 v[8:9], v1
	ds_read_b64 v[10:11], v2
	s_add_i32 s16, s16, -1
	s_addk_i32 s15, 0xff80
	s_cmp_gt_i32 s16, s14
	v_add_u32_e32 v1, 0xffffff80, v1
	s_waitcnt lgkmcnt(0)
	v_fma_f64 v[3:4], -v[8:9], v[10:11], v[3:4]
	s_cbranch_scc1 .LBB82_47
.LBB82_48:                              ;   in Loop: Header=BB82_42 Depth=1
	s_addk_i32 s13, 0xff78
	v_mov_b32_e32 v1, s13
	ds_read_b64 v[8:9], v1
	s_add_i32 s14, s8, -3
	s_lshl_b32 s15, s14, 7
	v_add_u32_e32 v6, s15, v25
	ds_read_b64 v[1:2], v6
	s_waitcnt lgkmcnt(1)
	v_mul_f64 v[8:9], v[3:4], v[8:9]
	v_mov_b32_e32 v3, v5
	s_mov_b32 s15, s12
	s_cmp_le_i32 s4, s14
	s_mov_b32 s16, s4
	ds_write_b64 v7, v[8:9]
	s_cbranch_scc1 .LBB82_41
.LBB82_49:                              ;   Parent Loop BB82_42 Depth=1
                                        ; =>  This Inner Loop Header: Depth=2
	v_mov_b32_e32 v4, s15
	ds_read_b64 v[7:8], v3
	ds_read_b64 v[9:10], v4
	s_add_i32 s16, s16, -1
	s_addk_i32 s15, 0xff80
	s_cmp_gt_i32 s16, s14
	v_add_u32_e32 v3, 0xffffff80, v3
	s_waitcnt lgkmcnt(0)
	v_fma_f64 v[1:2], -v[7:8], v[9:10], v[1:2]
	s_cbranch_scc1 .LBB82_49
	s_branch .LBB82_41
.LBB82_50:
	s_waitcnt lgkmcnt(0)
	; wave barrier
	s_and_saveexec_b64 s[4:5], s[0:1]
	s_cbranch_execz .LBB82_54
; %bb.51:
	s_andn2_b64 vcc, exec, s[2:3]
	s_cbranch_vccnz .LBB82_54
; %bb.52:
	v_mad_i64_i32 v[1:2], s[0:1], s9, v0, 0
	v_mov_b32_e32 v3, s7
	v_lshlrev_b64 v[1:2], 3, v[1:2]
	v_add_co_u32_e32 v1, vcc, s6, v1
	v_addc_co_u32_e32 v2, vcc, v3, v2, vcc
	v_mov_b32_e32 v3, 0x800
	v_lshl_or_b32 v0, v0, 3, v3
.LBB82_53:                              ; =>This Inner Loop Header: Depth=1
	ds_read_b64 v[3:4], v0
	s_add_i32 s22, s22, -1
	v_add_u32_e32 v0, 0x80, v0
	s_cmp_lg_u32 s22, 0
	s_waitcnt lgkmcnt(0)
	global_store_dwordx2 v[1:2], v[3:4], off
	v_add_co_u32_e32 v1, vcc, 8, v1
	v_addc_co_u32_e32 v2, vcc, 0, v2, vcc
	s_cbranch_scc1 .LBB82_53
.LBB82_54:
	s_endpgm
	.section	.rodata,"a",@progbits
	.p2align	6, 0x0
	.amdhsa_kernel _ZL38rocblas_trsm_small_left_device_sharedBILi16ELi16ELb0EddPKdPdEv13rocblas_fill_18rocblas_operation_17rocblas_diagonal_iiT3_T4_lilT5_lili
		.amdhsa_group_segment_fixed_size 4096
		.amdhsa_private_segment_fixed_size 0
		.amdhsa_kernarg_size 360
		.amdhsa_user_sgpr_count 6
		.amdhsa_user_sgpr_private_segment_buffer 1
		.amdhsa_user_sgpr_dispatch_ptr 0
		.amdhsa_user_sgpr_queue_ptr 0
		.amdhsa_user_sgpr_kernarg_segment_ptr 1
		.amdhsa_user_sgpr_dispatch_id 0
		.amdhsa_user_sgpr_flat_scratch_init 0
		.amdhsa_user_sgpr_private_segment_size 0
		.amdhsa_uses_dynamic_stack 0
		.amdhsa_system_sgpr_private_segment_wavefront_offset 0
		.amdhsa_system_sgpr_workgroup_id_x 1
		.amdhsa_system_sgpr_workgroup_id_y 0
		.amdhsa_system_sgpr_workgroup_id_z 1
		.amdhsa_system_sgpr_workgroup_info 0
		.amdhsa_system_vgpr_workitem_id 0
		.amdhsa_next_free_vgpr 81
		.amdhsa_next_free_sgpr 98
		.amdhsa_reserve_vcc 1
		.amdhsa_reserve_flat_scratch 0
		.amdhsa_float_round_mode_32 0
		.amdhsa_float_round_mode_16_64 0
		.amdhsa_float_denorm_mode_32 3
		.amdhsa_float_denorm_mode_16_64 3
		.amdhsa_dx10_clamp 1
		.amdhsa_ieee_mode 1
		.amdhsa_fp16_overflow 0
		.amdhsa_exception_fp_ieee_invalid_op 0
		.amdhsa_exception_fp_denorm_src 0
		.amdhsa_exception_fp_ieee_div_zero 0
		.amdhsa_exception_fp_ieee_overflow 0
		.amdhsa_exception_fp_ieee_underflow 0
		.amdhsa_exception_fp_ieee_inexact 0
		.amdhsa_exception_int_div_zero 0
	.end_amdhsa_kernel
	.section	.text._ZL38rocblas_trsm_small_left_device_sharedBILi16ELi16ELb0EddPKdPdEv13rocblas_fill_18rocblas_operation_17rocblas_diagonal_iiT3_T4_lilT5_lili,"axG",@progbits,_ZL38rocblas_trsm_small_left_device_sharedBILi16ELi16ELb0EddPKdPdEv13rocblas_fill_18rocblas_operation_17rocblas_diagonal_iiT3_T4_lilT5_lili,comdat
.Lfunc_end82:
	.size	_ZL38rocblas_trsm_small_left_device_sharedBILi16ELi16ELb0EddPKdPdEv13rocblas_fill_18rocblas_operation_17rocblas_diagonal_iiT3_T4_lilT5_lili, .Lfunc_end82-_ZL38rocblas_trsm_small_left_device_sharedBILi16ELi16ELb0EddPKdPdEv13rocblas_fill_18rocblas_operation_17rocblas_diagonal_iiT3_T4_lilT5_lili
                                        ; -- End function
	.set _ZL38rocblas_trsm_small_left_device_sharedBILi16ELi16ELb0EddPKdPdEv13rocblas_fill_18rocblas_operation_17rocblas_diagonal_iiT3_T4_lilT5_lili.num_vgpr, 81
	.set _ZL38rocblas_trsm_small_left_device_sharedBILi16ELi16ELb0EddPKdPdEv13rocblas_fill_18rocblas_operation_17rocblas_diagonal_iiT3_T4_lilT5_lili.num_agpr, 0
	.set _ZL38rocblas_trsm_small_left_device_sharedBILi16ELi16ELb0EddPKdPdEv13rocblas_fill_18rocblas_operation_17rocblas_diagonal_iiT3_T4_lilT5_lili.numbered_sgpr, 26
	.set _ZL38rocblas_trsm_small_left_device_sharedBILi16ELi16ELb0EddPKdPdEv13rocblas_fill_18rocblas_operation_17rocblas_diagonal_iiT3_T4_lilT5_lili.num_named_barrier, 0
	.set _ZL38rocblas_trsm_small_left_device_sharedBILi16ELi16ELb0EddPKdPdEv13rocblas_fill_18rocblas_operation_17rocblas_diagonal_iiT3_T4_lilT5_lili.private_seg_size, 0
	.set _ZL38rocblas_trsm_small_left_device_sharedBILi16ELi16ELb0EddPKdPdEv13rocblas_fill_18rocblas_operation_17rocblas_diagonal_iiT3_T4_lilT5_lili.uses_vcc, 1
	.set _ZL38rocblas_trsm_small_left_device_sharedBILi16ELi16ELb0EddPKdPdEv13rocblas_fill_18rocblas_operation_17rocblas_diagonal_iiT3_T4_lilT5_lili.uses_flat_scratch, 0
	.set _ZL38rocblas_trsm_small_left_device_sharedBILi16ELi16ELb0EddPKdPdEv13rocblas_fill_18rocblas_operation_17rocblas_diagonal_iiT3_T4_lilT5_lili.has_dyn_sized_stack, 0
	.set _ZL38rocblas_trsm_small_left_device_sharedBILi16ELi16ELb0EddPKdPdEv13rocblas_fill_18rocblas_operation_17rocblas_diagonal_iiT3_T4_lilT5_lili.has_recursion, 0
	.set _ZL38rocblas_trsm_small_left_device_sharedBILi16ELi16ELb0EddPKdPdEv13rocblas_fill_18rocblas_operation_17rocblas_diagonal_iiT3_T4_lilT5_lili.has_indirect_call, 0
	.section	.AMDGPU.csdata,"",@progbits
; Kernel info:
; codeLenInByte = 9796
; TotalNumSgprs: 30
; NumVgprs: 81
; ScratchSize: 0
; MemoryBound: 0
; FloatMode: 240
; IeeeMode: 1
; LDSByteSize: 4096 bytes/workgroup (compile time only)
; SGPRBlocks: 12
; VGPRBlocks: 20
; NumSGPRsForWavesPerEU: 102
; NumVGPRsForWavesPerEU: 81
; Occupancy: 3
; WaveLimiterHint : 0
; COMPUTE_PGM_RSRC2:SCRATCH_EN: 0
; COMPUTE_PGM_RSRC2:USER_SGPR: 6
; COMPUTE_PGM_RSRC2:TRAP_HANDLER: 0
; COMPUTE_PGM_RSRC2:TGID_X_EN: 1
; COMPUTE_PGM_RSRC2:TGID_Y_EN: 0
; COMPUTE_PGM_RSRC2:TGID_Z_EN: 1
; COMPUTE_PGM_RSRC2:TIDIG_COMP_CNT: 0
	.section	.text._ZL30rocblas_trsm_small_left_deviceILi16ELi16ELb0EddPKdPdEv13rocblas_fill_18rocblas_operation_17rocblas_diagonal_iiT3_T4_lilT5_lili,"axG",@progbits,_ZL30rocblas_trsm_small_left_deviceILi16ELi16ELb0EddPKdPdEv13rocblas_fill_18rocblas_operation_17rocblas_diagonal_iiT3_T4_lilT5_lili,comdat
	.globl	_ZL30rocblas_trsm_small_left_deviceILi16ELi16ELb0EddPKdPdEv13rocblas_fill_18rocblas_operation_17rocblas_diagonal_iiT3_T4_lilT5_lili ; -- Begin function _ZL30rocblas_trsm_small_left_deviceILi16ELi16ELb0EddPKdPdEv13rocblas_fill_18rocblas_operation_17rocblas_diagonal_iiT3_T4_lilT5_lili
	.p2align	8
	.type	_ZL30rocblas_trsm_small_left_deviceILi16ELi16ELb0EddPKdPdEv13rocblas_fill_18rocblas_operation_17rocblas_diagonal_iiT3_T4_lilT5_lili,@function
_ZL30rocblas_trsm_small_left_deviceILi16ELi16ELb0EddPKdPdEv13rocblas_fill_18rocblas_operation_17rocblas_diagonal_iiT3_T4_lilT5_lili: ; @_ZL30rocblas_trsm_small_left_deviceILi16ELi16ELb0EddPKdPdEv13rocblas_fill_18rocblas_operation_17rocblas_diagonal_iiT3_T4_lilT5_lili
; %bb.0:
	s_load_dwordx4 s[8:11], s[4:5], 0x4
	s_load_dwordx4 s[0:3], s[4:5], 0x18
	s_load_dwordx2 s[20:21], s[4:5], 0x28
	s_load_dwordx4 s[12:15], s[4:5], 0x38
	s_load_dwordx2 s[16:17], s[4:5], 0x48
	s_waitcnt lgkmcnt(0)
	s_min_i32 s22, s10, 16
	v_cmp_gt_i32_e32 vcc, s22, v0
	s_and_saveexec_b64 s[18:19], vcc
	s_cbranch_execz .LBB83_6
; %bb.1:
	s_load_dword s24, s[4:5], 0x30
	s_mul_i32 s13, s13, s7
	s_mul_hi_u32 s23, s12, s7
	s_mul_i32 s12, s12, s7
	s_add_i32 s13, s23, s13
	s_waitcnt lgkmcnt(0)
	s_ashr_i32 s25, s24, 31
	s_lshl_b64 s[12:13], s[12:13], 3
	s_add_u32 s12, s2, s12
	s_addc_u32 s13, s3, s13
	s_lshl_b64 s[2:3], s[20:21], 3
	s_add_u32 s2, s12, s2
	s_addc_u32 s3, s13, s3
	v_lshlrev_b32_e32 v3, 3, v0
	v_mov_b32_e32 v2, s3
	v_add_co_u32_e32 v1, vcc, s2, v3
	s_lshl_b64 s[2:3], s[24:25], 3
	v_addc_co_u32_e32 v2, vcc, 0, v2, vcc
	v_mov_b32_e32 v4, s3
	v_mov_b32_e32 v5, v3
	s_mov_b32 s3, s22
.LBB83_2:                               ; =>This Inner Loop Header: Depth=1
	global_load_dwordx2 v[6:7], v[1:2], off
	v_add_co_u32_e32 v1, vcc, s2, v1
	s_add_i32 s3, s3, -1
	v_addc_co_u32_e32 v2, vcc, v2, v4, vcc
	s_cmp_eq_u32 s3, 0
	s_waitcnt vmcnt(0)
	ds_write_b64 v5, v[6:7]
	v_add_u32_e32 v5, 0x80, v5
	s_cbranch_scc0 .LBB83_2
; %bb.3:
	v_lshlrev_b32_e32 v4, 7, v0
	v_mov_b32_e32 v1, 0
	s_cmpk_lg_i32 s9, 0x84
	v_mov_b32_e32 v2, 0x3ff00000
	v_add_u32_e32 v3, v3, v4
	s_cbranch_scc0 .LBB83_5
; %bb.4:
	ds_read_b64 v[1:2], v3
	s_waitcnt lgkmcnt(0)
	v_div_scale_f64 v[4:5], s[2:3], v[1:2], v[1:2], 1.0
	v_div_scale_f64 v[10:11], vcc, 1.0, v[1:2], 1.0
	v_rcp_f64_e32 v[6:7], v[4:5]
	v_fma_f64 v[8:9], -v[4:5], v[6:7], 1.0
	v_fma_f64 v[6:7], v[6:7], v[8:9], v[6:7]
	v_fma_f64 v[8:9], -v[4:5], v[6:7], 1.0
	v_fma_f64 v[6:7], v[6:7], v[8:9], v[6:7]
	v_mul_f64 v[8:9], v[10:11], v[6:7]
	v_fma_f64 v[4:5], -v[4:5], v[8:9], v[10:11]
	v_div_fmas_f64 v[4:5], v[4:5], v[6:7], v[8:9]
	v_div_fixup_f64 v[1:2], v[4:5], v[1:2], 1.0
.LBB83_5:
	ds_write_b64 v3, v[1:2]
.LBB83_6:
	s_or_b64 exec, exec, s[18:19]
	s_load_dword s2, s[4:5], 0x68
	s_waitcnt lgkmcnt(0)
	; wave barrier
	s_add_i32 s3, s2, -1
	s_lshl_b32 s2, s6, 4
	s_sub_i32 s9, s11, s2
	s_cmp_ge_u32 s6, s3
	s_cselect_b32 s3, s9, 16
	v_cmp_gt_i32_e32 vcc, s3, v0
	s_and_saveexec_b64 s[12:13], vcc
	s_cbranch_execz .LBB83_51
; %bb.7:
	s_load_dwordx2 s[12:13], s[4:5], 0x58
	s_load_dword s6, s[4:5], 0x50
	v_add_u32_e32 v0, s2, v0
	s_waitcnt lgkmcnt(0)
	s_mul_i32 s3, s13, s7
	s_mul_hi_u32 s4, s12, s7
	s_mul_i32 s2, s12, s7
	s_add_i32 s3, s4, s3
	s_lshl_b64 s[4:5], s[2:3], 3
	v_mad_i64_i32 v[0:1], s[2:3], s6, v0, 0
	s_add_u32 s9, s14, s4
	s_addc_u32 s11, s15, s5
	s_lshl_b64 s[6:7], s[16:17], 3
	s_add_u32 s2, s9, s6
	v_lshlrev_b64 v[32:33], 3, v[0:1]
	s_addc_u32 s3, s11, s7
	v_mov_b32_e32 v0, s3
	v_add_co_u32_e32 v30, vcc, s2, v32
	v_addc_co_u32_e32 v31, vcc, v0, v33, vcc
	s_cmpk_eq_i32 s8, 0x6f
	s_mov_b64 s[2:3], -1
	s_cbranch_scc1 .LBB83_25
; %bb.8:
	s_cmp_lt_i32 s10, 16
	s_cselect_b64 s[8:9], -1, 0
	s_cmp_gt_i32 s10, 15
	s_mov_b32 s2, 16
	s_cbranch_scc0 .LBB83_10
; %bb.9:
	global_load_dwordx4 v[0:3], v[30:31], off
	global_load_dwordx4 v[4:7], v[30:31], off offset:16
	global_load_dwordx4 v[8:11], v[30:31], off offset:32
	v_mov_b32_e32 v34, 0
	ds_read2_b64 v[12:15], v34 offset1:34
	ds_read_b128 v[16:19], v34 offset:128
	ds_read_b128 v[20:23], v34 offset:256
	;; [unrolled: 1-line block ×7, first 2 shown]
	s_waitcnt vmcnt(2)
	v_mul_f64 v[0:1], s[0:1], v[0:1]
	s_waitcnt lgkmcnt(7)
	v_mul_f64 v[0:1], v[0:1], v[12:13]
	s_waitcnt lgkmcnt(6)
	;; [unrolled: 2-line block ×3, first 2 shown]
	v_mul_f64 v[16:17], v[0:1], v[24:25]
	v_fma_f64 v[2:3], s[0:1], v[2:3], -v[12:13]
	s_waitcnt vmcnt(1)
	v_fma_f64 v[24:25], s[0:1], v[6:7], -v[16:17]
	v_mul_f64 v[12:13], v[0:1], v[20:21]
	v_mul_f64 v[2:3], v[2:3], v[18:19]
	s_waitcnt lgkmcnt(3)
	v_mul_f64 v[18:19], v[0:1], v[35:36]
	v_fma_f64 v[12:13], s[0:1], v[4:5], -v[12:13]
	ds_read_b128 v[4:7], v34 offset:640
	s_waitcnt lgkmcnt(0)
	v_mul_f64 v[4:5], v[0:1], v[4:5]
	s_waitcnt vmcnt(0)
	v_fma_f64 v[28:29], s[0:1], v[8:9], -v[18:19]
	global_load_dwordx4 v[16:19], v[30:31], off offset:48
	v_fma_f64 v[12:13], -v[2:3], v[22:23], v[12:13]
	global_load_dwordx4 v[20:23], v[30:31], off offset:64
	v_fma_f64 v[4:5], s[0:1], v[10:11], -v[4:5]
	ds_read_b128 v[8:11], v34 offset:768
	s_waitcnt lgkmcnt(0)
	v_mul_f64 v[8:9], v[0:1], v[8:9]
	s_waitcnt vmcnt(1)
	v_fma_f64 v[8:9], s[0:1], v[16:17], -v[8:9]
	v_mul_f64 v[16:17], v[0:1], v[39:40]
	v_fma_f64 v[35:36], s[0:1], v[18:19], -v[16:17]
	ds_read_b128 v[16:19], v34 offset:1024
	s_waitcnt lgkmcnt(0)
	v_mul_f64 v[16:17], v[0:1], v[16:17]
	v_fma_f64 v[35:36], -v[2:3], v[41:42], v[35:36]
	ds_read_b128 v[39:42], v34 offset:1408
	s_waitcnt vmcnt(0)
	v_fma_f64 v[16:17], s[0:1], v[20:21], -v[16:17]
	v_mul_f64 v[20:21], v[0:1], v[43:44]
	v_fma_f64 v[20:21], s[0:1], v[22:23], -v[20:21]
	v_fma_f64 v[22:23], -v[2:3], v[26:27], v[24:25]
	v_fma_f64 v[26:27], -v[2:3], v[6:7], v[4:5]
	v_mul_f64 v[4:5], v[12:13], v[14:15]
	v_fma_f64 v[24:25], -v[2:3], v[37:38], v[28:29]
	v_fma_f64 v[28:29], -v[2:3], v[10:11], v[8:9]
	ds_read_b128 v[6:9], v34 offset:400
	ds_read_b128 v[10:13], v34 offset:528
	v_fma_f64 v[20:21], -v[2:3], v[45:46], v[20:21]
	global_load_dwordx4 v[43:46], v[30:31], off offset:96
	s_waitcnt lgkmcnt(1)
	v_fma_f64 v[6:7], -v[4:5], v[6:7], v[22:23]
	v_fma_f64 v[22:23], -v[2:3], v[18:19], v[16:17]
	ds_read_b128 v[14:17], v34 offset:656
	s_waitcnt lgkmcnt(1)
	v_fma_f64 v[18:19], -v[4:5], v[10:11], v[24:25]
	v_mul_f64 v[6:7], v[6:7], v[8:9]
	ds_read_b128 v[8:11], v34 offset:784
	s_waitcnt lgkmcnt(1)
	v_fma_f64 v[24:25], -v[4:5], v[14:15], v[26:27]
	s_waitcnt lgkmcnt(0)
	v_fma_f64 v[8:9], -v[4:5], v[8:9], v[28:29]
	v_fma_f64 v[26:27], -v[6:7], v[12:13], v[18:19]
	ds_read_b128 v[12:15], v34 offset:912
	v_fma_f64 v[24:25], -v[6:7], v[16:17], v[24:25]
	ds_read2_b64 v[16:19], v34 offset0:68 offset1:102
	s_waitcnt lgkmcnt(1)
	v_fma_f64 v[28:29], -v[4:5], v[12:13], v[35:36]
	v_fma_f64 v[35:36], -v[6:7], v[10:11], v[8:9]
	ds_read_b128 v[10:13], v34 offset:1040
	s_waitcnt lgkmcnt(1)
	v_mul_f64 v[8:9], v[26:27], v[16:17]
	s_waitcnt lgkmcnt(0)
	v_fma_f64 v[10:11], -v[4:5], v[10:11], v[22:23]
	v_fma_f64 v[22:23], -v[6:7], v[14:15], v[28:29]
	ds_read_b128 v[14:17], v34 offset:672
	s_waitcnt lgkmcnt(0)
	v_fma_f64 v[14:15], -v[8:9], v[14:15], v[24:25]
	v_fma_f64 v[24:25], -v[6:7], v[12:13], v[10:11]
	ds_read_b128 v[10:13], v34 offset:1168
	s_waitcnt lgkmcnt(0)
	v_fma_f64 v[20:21], -v[4:5], v[10:11], v[20:21]
	v_mul_f64 v[10:11], v[14:15], v[16:17]
	ds_read_b128 v[14:17], v34 offset:800
	s_waitcnt lgkmcnt(0)
	v_fma_f64 v[26:27], -v[8:9], v[14:15], v[35:36]
	v_fma_f64 v[28:29], -v[6:7], v[12:13], v[20:21]
	ds_read_b128 v[12:15], v34 offset:928
	s_waitcnt lgkmcnt(0)
	v_fma_f64 v[12:13], -v[8:9], v[12:13], v[22:23]
	global_load_dwordx4 v[20:23], v[30:31], off offset:80
	v_fma_f64 v[16:17], -v[10:11], v[16:17], v[26:27]
	v_fma_f64 v[26:27], -v[10:11], v[14:15], v[12:13]
	ds_read_b128 v[12:15], v34 offset:1056
	s_waitcnt lgkmcnt(0)
	v_fma_f64 v[24:25], -v[8:9], v[12:13], v[24:25]
	v_mul_f64 v[12:13], v[16:17], v[18:19]
	ds_read_b128 v[16:19], v34 offset:1184
	s_waitcnt lgkmcnt(0)
	v_fma_f64 v[28:29], -v[8:9], v[16:17], v[28:29]
	v_fma_f64 v[35:36], -v[10:11], v[14:15], v[24:25]
	ds_read_b128 v[14:17], v34 offset:944
	s_waitcnt lgkmcnt(0)
	v_fma_f64 v[14:15], -v[12:13], v[14:15], v[26:27]
	ds_read_b128 v[24:27], v34 offset:1072
	v_fma_f64 v[28:29], -v[10:11], v[18:19], v[28:29]
	v_mul_f64 v[14:15], v[14:15], v[16:17]
	ds_read_b128 v[16:19], v34 offset:1200
	s_waitcnt lgkmcnt(1)
	v_fma_f64 v[24:25], -v[12:13], v[24:25], v[35:36]
	ds_read_b128 v[35:38], v34 offset:1216
	s_waitcnt lgkmcnt(1)
	v_fma_f64 v[16:17], -v[12:13], v[16:17], v[28:29]
	v_fma_f64 v[28:29], -v[14:15], v[26:27], v[24:25]
	ds_read2_b64 v[24:27], v34 offset0:136 offset1:170
	v_fma_f64 v[18:19], -v[14:15], v[18:19], v[16:17]
	s_waitcnt lgkmcnt(0)
	v_mul_f64 v[16:17], v[28:29], v[24:25]
	v_fma_f64 v[18:19], -v[16:17], v[35:36], v[18:19]
	v_mul_f64 v[18:19], v[18:19], v[37:38]
	ds_read_b128 v[35:38], v34 offset:1280
	s_waitcnt lgkmcnt(0)
	v_mul_f64 v[24:25], v[0:1], v[35:36]
	v_mul_f64 v[35:36], v[0:1], v[47:48]
	s_waitcnt vmcnt(0)
	v_fma_f64 v[24:25], s[0:1], v[20:21], -v[24:25]
	v_mul_f64 v[20:21], v[0:1], v[39:40]
	v_fma_f64 v[35:36], s[0:1], v[45:46], -v[35:36]
	v_fma_f64 v[24:25], -v[2:3], v[37:38], v[24:25]
	v_fma_f64 v[28:29], s[0:1], v[22:23], -v[20:21]
	ds_read_b128 v[20:23], v34 offset:1536
	v_fma_f64 v[35:36], -v[2:3], v[49:50], v[35:36]
	s_waitcnt lgkmcnt(0)
	v_mul_f64 v[20:21], v[0:1], v[20:21]
	v_fma_f64 v[28:29], -v[2:3], v[41:42], v[28:29]
	v_fma_f64 v[20:21], s[0:1], v[43:44], -v[20:21]
	ds_read_b128 v[43:46], v34 offset:1920
	v_fma_f64 v[37:38], -v[2:3], v[22:23], v[20:21]
	ds_read_b128 v[20:23], v34 offset:1296
	s_waitcnt lgkmcnt(0)
	v_fma_f64 v[20:21], -v[4:5], v[20:21], v[24:25]
	v_fma_f64 v[24:25], -v[6:7], v[22:23], v[20:21]
	ds_read_b128 v[20:23], v34 offset:1424
	s_waitcnt lgkmcnt(0)
	v_fma_f64 v[20:21], -v[4:5], v[20:21], v[28:29]
	;; [unrolled: 4-line block ×15, first 2 shown]
	v_fma_f64 v[37:38], -v[18:19], v[22:23], v[20:21]
	v_mul_f64 v[20:21], v[24:25], v[26:27]
	ds_read_b128 v[22:25], v34 offset:1728
	s_waitcnt lgkmcnt(0)
	v_fma_f64 v[22:23], -v[16:17], v[22:23], v[35:36]
	v_fma_f64 v[35:36], -v[18:19], v[24:25], v[22:23]
	ds_read_b128 v[22:25], v34 offset:1488
	s_waitcnt lgkmcnt(0)
	v_fma_f64 v[22:23], -v[20:21], v[22:23], v[28:29]
	v_mul_f64 v[22:23], v[22:23], v[24:25]
	ds_read_b128 v[24:27], v34 offset:1616
	s_waitcnt lgkmcnt(0)
	v_fma_f64 v[24:25], -v[20:21], v[24:25], v[37:38]
	v_fma_f64 v[37:38], -v[22:23], v[26:27], v[24:25]
	ds_read_b128 v[24:27], v34 offset:1744
	s_waitcnt lgkmcnt(0)
	v_fma_f64 v[24:25], -v[20:21], v[24:25], v[35:36]
	v_fma_f64 v[39:40], -v[22:23], v[26:27], v[24:25]
	ds_read2_b64 v[26:29], v34 offset0:204 offset1:238
	s_waitcnt lgkmcnt(0)
	v_mul_f64 v[24:25], v[37:38], v[26:27]
	ds_read_b128 v[35:38], v34 offset:1760
	s_waitcnt lgkmcnt(0)
	v_fma_f64 v[26:27], -v[24:25], v[35:36], v[39:40]
	global_load_dwordx4 v[39:42], v[30:31], off offset:112
	v_mul_f64 v[26:27], v[26:27], v[37:38]
	ds_read_b128 v[35:38], v34 offset:1792
	s_waitcnt lgkmcnt(0)
	v_mul_f64 v[35:36], v[0:1], v[35:36]
	s_waitcnt vmcnt(0)
	v_fma_f64 v[35:36], s[0:1], v[39:40], -v[35:36]
	v_mul_f64 v[39:40], v[0:1], v[43:44]
	v_fma_f64 v[39:40], s[0:1], v[41:42], -v[39:40]
	v_fma_f64 v[41:42], -v[2:3], v[37:38], v[35:36]
	ds_read_b128 v[35:38], v34 offset:1808
	v_fma_f64 v[39:40], -v[2:3], v[45:46], v[39:40]
	s_waitcnt lgkmcnt(0)
	v_fma_f64 v[35:36], -v[4:5], v[35:36], v[41:42]
	v_fma_f64 v[41:42], -v[6:7], v[37:38], v[35:36]
	ds_read_b128 v[35:38], v34 offset:1936
	s_waitcnt lgkmcnt(0)
	v_fma_f64 v[35:36], -v[4:5], v[35:36], v[39:40]
	v_fma_f64 v[39:40], -v[6:7], v[37:38], v[35:36]
	ds_read_b128 v[35:38], v34 offset:1824
	;; [unrolled: 4-line block ×11, first 2 shown]
	s_waitcnt lgkmcnt(0)
	v_fma_f64 v[35:36], -v[24:25], v[35:36], v[39:40]
	v_fma_f64 v[43:44], -v[26:27], v[37:38], v[35:36]
	v_mul_f64 v[35:36], v[41:42], v[28:29]
	ds_read_b128 v[37:40], v34 offset:2032
	s_waitcnt lgkmcnt(0)
	v_fma_f64 v[28:29], -v[35:36], v[37:38], v[43:44]
	v_mul_f64 v[37:38], v[28:29], v[39:40]
	global_store_dwordx4 v[30:31], v[0:3], off
	global_store_dwordx4 v[30:31], v[4:7], off offset:16
	global_store_dwordx4 v[30:31], v[8:11], off offset:32
	;; [unrolled: 1-line block ×7, first 2 shown]
	s_cmp_lt_i32 s2, s22
	s_cbranch_scc1 .LBB83_11
	s_branch .LBB83_24
.LBB83_10:
	s_mov_b32 s2, 0
	s_cmp_lt_i32 s2, s22
	s_cbranch_scc0 .LBB83_24
.LBB83_11:
	s_or_b32 s13, s2, 11
	s_cmp_ge_u32 s13, s22
	s_cbranch_scc1 .LBB83_19
; %bb.12:
	s_lshl_b32 s3, s2, 3
	v_add_co_u32_e32 v4, vcc, s3, v30
	v_addc_co_u32_e32 v5, vcc, 0, v31, vcc
	global_load_dwordx4 v[0:3], v[4:5], off
	global_load_dwordx4 v[6:9], v[4:5], off offset:16
	global_load_dwordx4 v[10:13], v[4:5], off offset:32
	;; [unrolled: 1-line block ×5, first 2 shown]
	s_andn2_b64 vcc, exec, s[8:9]
	s_waitcnt vmcnt(5)
	v_mul_f64 v[0:1], s[0:1], v[0:1]
	v_mul_f64 v[24:25], s[0:1], v[2:3]
	s_waitcnt vmcnt(4)
	v_mul_f64 v[2:3], s[0:1], v[6:7]
	v_mul_f64 v[22:23], s[0:1], v[8:9]
	;; [unrolled: 3-line block ×6, first 2 shown]
	s_cbranch_vccnz .LBB83_14
; %bb.13:
	s_lshl_b32 s12, s2, 7
	s_lshl_b32 s11, s13, 7
	s_mov_b64 s[8:9], 0
	s_branch .LBB83_15
.LBB83_14:
	s_mov_b64 s[8:9], -1
                                        ; implicit-def: $sgpr12
                                        ; implicit-def: $sgpr11
.LBB83_15:
	s_andn2_b64 vcc, exec, s[8:9]
	s_cbranch_vccnz .LBB83_18
; %bb.16:
	s_lshl_b32 s12, s2, 7
	s_lshl_b32 s11, s13, 7
	s_add_u32 s6, s14, s6
	s_addc_u32 s7, s15, s7
	s_add_u32 s4, s6, s4
	s_addc_u32 s5, s7, s5
	v_mov_b32_e32 v26, s5
	v_add_co_u32_e32 v27, vcc, s4, v32
	v_addc_co_u32_e32 v28, vcc, v26, v33, vcc
	v_add_co_u32_e32 v26, vcc, 8, v27
	v_addc_co_u32_e32 v27, vcc, 0, v28, vcc
	s_mov_b32 s4, s2
	s_mov_b32 s5, s12
.LBB83_17:                              ; =>This Inner Loop Header: Depth=1
	global_load_dwordx4 v[32:35], v[26:27], off offset:-8
	v_mov_b32_e32 v28, s5
	ds_read_b128 v[36:39], v28
	s_add_i32 s5, s5, 16
	v_add_co_u32_e32 v26, vcc, 16, v26
	s_add_i32 s4, s4, -2
	s_cmp_lg_u32 s4, 0
	v_addc_co_u32_e32 v27, vcc, 0, v27, vcc
	s_waitcnt vmcnt(0) lgkmcnt(0)
	v_fma_f64 v[0:1], -v[32:33], v[36:37], v[0:1]
	v_fma_f64 v[0:1], -v[34:35], v[38:39], v[0:1]
	ds_read_b128 v[36:39], v28 offset:128
	s_waitcnt lgkmcnt(0)
	v_fma_f64 v[24:25], -v[32:33], v[36:37], v[24:25]
	v_fma_f64 v[24:25], -v[34:35], v[38:39], v[24:25]
	ds_read_b128 v[36:39], v28 offset:256
	s_waitcnt lgkmcnt(0)
	;; [unrolled: 4-line block ×11, first 2 shown]
	v_fma_f64 v[6:7], -v[32:33], v[36:37], v[6:7]
	v_fma_f64 v[6:7], -v[34:35], v[38:39], v[6:7]
	s_cbranch_scc1 .LBB83_17
.LBB83_18:
	s_add_i32 s4, s3, s12
	v_mov_b32_e32 v26, s4
	ds_read2_b64 v[32:35], v26 offset1:34
	s_lshl_b32 s4, s2, 7
	s_add_i32 s4, s3, s4
	v_mov_b32_e32 v27, s4
	ds_read_b128 v[36:39], v27 offset:128
	ds_read_b128 v[40:43], v27 offset:256
	s_waitcnt lgkmcnt(2)
	v_mul_f64 v[0:1], v[0:1], v[32:33]
	s_add_i32 s3, s3, s11
	s_or_b32 s2, s2, 12
	s_waitcnt lgkmcnt(1)
	v_fma_f64 v[24:25], -v[0:1], v[36:37], v[24:25]
	s_waitcnt lgkmcnt(0)
	v_fma_f64 v[28:29], -v[0:1], v[40:41], v[2:3]
	v_mul_f64 v[2:3], v[24:25], v[38:39]
	ds_read_b128 v[36:39], v27 offset:384
	ds_read_b128 v[44:47], v27 offset:400
	s_waitcnt lgkmcnt(1)
	v_fma_f64 v[32:33], -v[0:1], v[36:37], v[22:23]
	v_fma_f64 v[28:29], -v[2:3], v[42:43], v[28:29]
	ds_read_b128 v[22:25], v27 offset:512
	ds_read_b128 v[40:43], v27 offset:640
	;; [unrolled: 1-line block ×4, first 2 shown]
	s_waitcnt lgkmcnt(3)
	v_fma_f64 v[22:23], -v[0:1], v[22:23], v[20:21]
	v_fma_f64 v[36:37], -v[2:3], v[38:39], v[32:33]
	v_mul_f64 v[20:21], v[28:29], v[34:35]
	s_waitcnt lgkmcnt(2)
	v_fma_f64 v[28:29], -v[0:1], v[40:41], v[18:19]
	s_waitcnt lgkmcnt(0)
	v_fma_f64 v[40:41], -v[0:1], v[52:53], v[16:17]
	ds_read_b128 v[32:35], v27 offset:656
	ds_read_b128 v[16:19], v27 offset:896
	v_fma_f64 v[22:23], -v[2:3], v[24:25], v[22:23]
	v_fma_f64 v[24:25], -v[20:21], v[44:45], v[36:37]
	ds_read_b128 v[36:39], v27 offset:912
	s_waitcnt lgkmcnt(1)
	v_fma_f64 v[56:57], -v[0:1], v[16:17], v[14:15]
	v_fma_f64 v[28:29], -v[2:3], v[42:43], v[28:29]
	;; [unrolled: 1-line block ×3, first 2 shown]
	ds_read_b128 v[14:17], v27 offset:1024
	ds_read_b128 v[40:43], v27 offset:1040
	v_fma_f64 v[48:49], -v[20:21], v[48:49], v[22:23]
	v_mul_f64 v[22:23], v[24:25], v[46:47]
	s_waitcnt lgkmcnt(1)
	v_fma_f64 v[24:25], -v[0:1], v[14:15], v[12:13]
	ds_read_b128 v[44:47], v27 offset:1152
	ds_read_b128 v[52:55], v27 offset:1168
	;; [unrolled: 1-line block ×3, first 2 shown]
	v_fma_f64 v[56:57], -v[2:3], v[18:19], v[56:57]
	v_fma_f64 v[28:29], -v[20:21], v[32:33], v[28:29]
	s_waitcnt lgkmcnt(2)
	v_fma_f64 v[18:19], -v[0:1], v[44:45], v[8:9]
	v_fma_f64 v[32:33], -v[22:23], v[50:51], v[48:49]
	;; [unrolled: 1-line block ×3, first 2 shown]
	ds_read_b128 v[48:51], v27 offset:784
	v_fma_f64 v[28:29], -v[22:23], v[34:35], v[28:29]
	v_fma_f64 v[60:61], -v[2:3], v[46:47], v[18:19]
	ds_read_b128 v[16:19], v27 offset:800
	v_fma_f64 v[24:25], -v[20:21], v[40:41], v[24:25]
	v_fma_f64 v[24:25], -v[22:23], v[42:43], v[24:25]
	ds_read_b128 v[40:43], v27 offset:1296
	s_waitcnt lgkmcnt(3)
	v_fma_f64 v[44:45], -v[0:1], v[12:13], v[10:11]
	ds_read2_b64 v[8:11], v26 offset0:68 offset1:102
	s_waitcnt lgkmcnt(0)
	v_mul_f64 v[12:13], v[32:33], v[8:9]
	ds_read_b128 v[32:35], v27 offset:672
	v_fma_f64 v[46:47], -v[20:21], v[48:49], v[58:59]
	v_fma_f64 v[48:49], -v[2:3], v[14:15], v[44:45]
	;; [unrolled: 1-line block ×3, first 2 shown]
	v_mov_b32_e32 v58, s3
	s_waitcnt lgkmcnt(0)
	v_fma_f64 v[14:15], -v[12:13], v[32:33], v[28:29]
	v_fma_f64 v[50:51], -v[22:23], v[50:51], v[46:47]
	ds_read_b128 v[44:47], v58
	v_fma_f64 v[28:29], -v[22:23], v[38:39], v[8:9]
	ds_read_b128 v[36:39], v58 offset:16
	v_fma_f64 v[40:41], -v[20:21], v[40:41], v[48:49]
	s_waitcnt lgkmcnt(1)
	v_fma_f64 v[32:33], -v[0:1], v[44:45], v[6:7]
	v_mul_f64 v[14:15], v[14:15], v[34:35]
	ds_read_b128 v[6:9], v27 offset:928
	v_fma_f64 v[16:17], -v[12:13], v[16:17], v[50:51]
	v_fma_f64 v[44:45], -v[20:21], v[52:53], v[60:61]
	ds_read_b128 v[48:51], v27 offset:1184
	s_waitcnt lgkmcnt(1)
	v_fma_f64 v[6:7], -v[12:13], v[6:7], v[28:29]
	v_fma_f64 v[52:53], -v[2:3], v[46:47], v[32:33]
	ds_read_b128 v[32:35], v27 offset:944
	v_fma_f64 v[28:29], -v[14:15], v[18:19], v[16:17]
	ds_read_b128 v[16:19], v27 offset:1056
	;; [unrolled: 2-line block ×4, first 2 shown]
	s_waitcnt lgkmcnt(2)
	v_fma_f64 v[24:25], -v[12:13], v[16:17], v[24:25]
	v_mul_f64 v[16:17], v[28:29], v[10:11]
	v_fma_f64 v[10:11], -v[20:21], v[36:37], v[52:53]
	v_fma_f64 v[28:29], -v[22:23], v[42:43], v[40:41]
	;; [unrolled: 1-line block ×3, first 2 shown]
	ds_read_b128 v[40:43], v27 offset:1200
	v_fma_f64 v[18:19], -v[14:15], v[18:19], v[24:25]
	v_fma_f64 v[24:25], -v[16:17], v[32:33], v[56:57]
	;; [unrolled: 1-line block ×3, first 2 shown]
	s_waitcnt lgkmcnt(2)
	v_fma_f64 v[28:29], -v[12:13], v[44:45], v[28:29]
	v_fma_f64 v[44:45], -v[14:15], v[50:51], v[36:37]
	s_waitcnt lgkmcnt(1)
	v_fma_f64 v[6:7], -v[16:17], v[6:7], v[18:19]
	v_mul_f64 v[18:19], v[24:25], v[34:35]
	ds_read_b128 v[32:35], v58 offset:32
	ds_read_b128 v[36:39], v58 offset:48
	v_fma_f64 v[24:25], -v[14:15], v[46:47], v[28:29]
	s_waitcnt lgkmcnt(2)
	v_fma_f64 v[28:29], -v[16:17], v[40:41], v[44:45]
	s_waitcnt lgkmcnt(1)
	v_fma_f64 v[10:11], -v[12:13], v[32:33], v[10:11]
	v_fma_f64 v[32:33], -v[18:19], v[8:9], v[6:7]
	ds_read_b128 v[6:9], v27 offset:1328
	ds_read2_b64 v[44:47], v26 offset0:136 offset1:170
	ds_read_b128 v[48:51], v27 offset:1344
	v_fma_f64 v[28:29], -v[18:19], v[42:43], v[28:29]
	v_fma_f64 v[10:11], -v[14:15], v[34:35], v[10:11]
	s_waitcnt lgkmcnt(2)
	v_fma_f64 v[34:35], -v[16:17], v[6:7], v[24:25]
	ds_read_b128 v[24:27], v27 offset:1216
	s_waitcnt lgkmcnt(2)
	v_mul_f64 v[6:7], v[32:33], v[44:45]
	v_fma_f64 v[10:11], -v[16:17], v[36:37], v[10:11]
	v_fma_f64 v[8:9], -v[18:19], v[8:9], v[34:35]
	s_waitcnt lgkmcnt(0)
	v_fma_f64 v[24:25], -v[6:7], v[24:25], v[28:29]
	v_fma_f64 v[10:11], -v[18:19], v[38:39], v[10:11]
	;; [unrolled: 1-line block ×3, first 2 shown]
	v_mul_f64 v[8:9], v[24:25], v[26:27]
	ds_read_b128 v[24:27], v58 offset:64
	ds_read_b128 v[32:35], v58 offset:80
	s_waitcnt lgkmcnt(1)
	v_fma_f64 v[10:11], -v[6:7], v[24:25], v[10:11]
	v_fma_f64 v[24:25], -v[8:9], v[50:51], v[28:29]
	;; [unrolled: 1-line block ×3, first 2 shown]
	v_mul_f64 v[24:25], v[24:25], v[46:47]
	s_waitcnt lgkmcnt(0)
	v_fma_f64 v[10:11], -v[24:25], v[32:33], v[10:11]
	v_mul_f64 v[26:27], v[10:11], v[34:35]
	global_store_dwordx4 v[4:5], v[0:3], off
	global_store_dwordx4 v[4:5], v[20:23], off offset:16
	global_store_dwordx4 v[4:5], v[12:15], off offset:32
	;; [unrolled: 1-line block ×5, first 2 shown]
.LBB83_19:
	s_cmp_ge_i32 s2, s22
	s_cbranch_scc1 .LBB83_24
; %bb.20:
	s_lshl_b32 s4, s2, 7
	s_mov_b32 s3, 0
	s_branch .LBB83_22
.LBB83_21:                              ;   in Loop: Header=BB83_22 Depth=1
	s_mul_i32 s5, s2, 0x88
	v_mov_b32_e32 v4, s5
	ds_read_b64 v[4:5], v4
	s_add_i32 s2, s2, 1
	s_addk_i32 s4, 0x80
	s_cmp_ge_i32 s2, s22
	s_waitcnt lgkmcnt(0)
	v_mul_f64 v[2:3], v[2:3], v[4:5]
	global_store_dwordx2 v[0:1], v[2:3], off
	s_cbranch_scc1 .LBB83_24
.LBB83_22:                              ; =>This Loop Header: Depth=1
                                        ;     Child Loop BB83_23 Depth 2
	s_lshl_b64 s[6:7], s[2:3], 3
	v_mov_b32_e32 v1, s7
	v_add_co_u32_e32 v0, vcc, s6, v30
	v_addc_co_u32_e32 v1, vcc, v31, v1, vcc
	global_load_dwordx2 v[2:3], v[0:1], off
	v_mov_b32_e32 v4, v30
	s_cmp_eq_u32 s2, 0
	v_mov_b32_e32 v5, v31
	s_mov_b32 s5, s2
	s_mov_b32 s6, s4
	s_waitcnt vmcnt(0)
	v_mul_f64 v[2:3], s[0:1], v[2:3]
	s_cbranch_scc1 .LBB83_21
.LBB83_23:                              ;   Parent Loop BB83_22 Depth=1
                                        ; =>  This Inner Loop Header: Depth=2
	global_load_dwordx2 v[6:7], v[4:5], off
	v_mov_b32_e32 v8, s6
	ds_read_b64 v[8:9], v8
	s_add_i32 s6, s6, 8
	s_add_i32 s5, s5, -1
	v_add_co_u32_e32 v4, vcc, 8, v4
	s_cmp_lg_u32 s5, 0
	v_addc_co_u32_e32 v5, vcc, 0, v5, vcc
	s_waitcnt vmcnt(0) lgkmcnt(0)
	v_fma_f64 v[2:3], -v[6:7], v[8:9], v[2:3]
	s_cbranch_scc1 .LBB83_23
	s_branch .LBB83_21
.LBB83_24:
	s_mov_b64 s[2:3], 0
.LBB83_25:
	s_and_b64 vcc, exec, s[2:3]
	s_cbranch_vccz .LBB83_51
; %bb.26:
	s_add_i32 s16, s22, -1
	s_cmp_gt_i32 s10, 15
	s_mov_b32 s2, -1
	s_cbranch_scc0 .LBB83_28
; %bb.27:
	global_load_dwordx4 v[0:3], v[30:31], off offset:112
	global_load_dwordx4 v[9:12], v[30:31], off offset:96
	v_mov_b32_e32 v8, 0
	global_load_dwordx4 v[13:16], v[30:31], off offset:80
	ds_read_b128 v[4:7], v8 offset:2032
	ds_read_b128 v[17:20], v8 offset:2016
	global_load_dwordx4 v[21:24], v[30:31], off offset:64
	global_load_dwordx4 v[25:28], v[30:31], off offset:48
	;; [unrolled: 1-line block ×4, first 2 shown]
	s_waitcnt vmcnt(6)
	v_mul_f64 v[2:3], s[0:1], v[2:3]
	s_waitcnt lgkmcnt(1)
	v_mul_f64 v[2:3], v[2:3], v[6:7]
	v_mul_f64 v[48:49], v[2:3], v[4:5]
	ds_read2_b64 v[4:7], v8 offset0:204 offset1:238
	ds_read_b128 v[40:43], v8 offset:2000
	ds_read_b128 v[44:47], v8 offset:1984
	s_waitcnt lgkmcnt(3)
	v_mul_f64 v[56:57], v[2:3], v[19:20]
	v_mul_f64 v[58:59], v[2:3], v[17:18]
	s_waitcnt lgkmcnt(1)
	v_mul_f64 v[42:43], v[2:3], v[42:43]
	v_mul_f64 v[40:41], v[2:3], v[40:41]
	s_waitcnt lgkmcnt(0)
	v_mul_f64 v[46:47], v[2:3], v[46:47]
	v_fma_f64 v[0:1], s[0:1], v[0:1], -v[48:49]
	ds_read_b128 v[48:51], v8 offset:1968
	ds_read_b128 v[52:55], v8 offset:1952
	global_load_dwordx4 v[17:20], v[30:31], off
	v_mul_f64 v[44:45], v[2:3], v[44:45]
	s_waitcnt vmcnt(5)
	v_fma_f64 v[42:43], s[0:1], v[15:16], -v[42:43]
	v_fma_f64 v[40:41], s[0:1], v[13:14], -v[40:41]
	ds_read_b128 v[13:16], v8 offset:1872
	v_mul_f64 v[0:1], v[0:1], v[6:7]
	v_fma_f64 v[6:7], s[0:1], v[11:12], -v[56:57]
	v_fma_f64 v[56:57], s[0:1], v[9:10], -v[58:59]
	ds_read_b128 v[9:12], v8 offset:1888
	s_waitcnt vmcnt(4)
	v_fma_f64 v[46:47], s[0:1], v[23:24], -v[46:47]
	v_fma_f64 v[44:45], s[0:1], v[21:22], -v[44:45]
	ds_read_b128 v[21:24], v8 offset:1760
	s_waitcnt lgkmcnt(3)
	v_mul_f64 v[52:53], v[2:3], v[52:53]
	v_mul_f64 v[50:51], v[2:3], v[50:51]
	s_waitcnt lgkmcnt(1)
	v_fma_f64 v[6:7], -v[0:1], v[11:12], v[6:7]
	v_fma_f64 v[56:57], -v[0:1], v[9:10], v[56:57]
	ds_read_b128 v[9:12], v8 offset:1936
	v_mul_f64 v[48:49], v[2:3], v[48:49]
	v_mul_f64 v[54:55], v[2:3], v[54:55]
	v_fma_f64 v[40:41], -v[0:1], v[13:14], v[40:41]
	s_waitcnt vmcnt(2)
	v_fma_f64 v[52:53], s[0:1], v[32:33], -v[52:53]
	v_fma_f64 v[50:51], s[0:1], v[27:28], -v[50:51]
	s_waitcnt lgkmcnt(1)
	v_mul_f64 v[6:7], v[6:7], v[23:24]
	v_fma_f64 v[48:49], s[0:1], v[25:26], -v[48:49]
	ds_read_b128 v[25:28], v8 offset:1792
	v_fma_f64 v[54:55], s[0:1], v[34:35], -v[54:55]
	v_fma_f64 v[32:33], -v[6:7], v[21:22], v[56:57]
	ds_read_b128 v[21:24], v8 offset:1920
	s_waitcnt lgkmcnt(0)
	v_mul_f64 v[23:24], v[2:3], v[23:24]
	v_mul_f64 v[21:22], v[2:3], v[21:22]
	;; [unrolled: 1-line block ×3, first 2 shown]
	s_waitcnt vmcnt(0)
	v_fma_f64 v[60:61], s[0:1], v[19:20], -v[23:24]
	v_fma_f64 v[62:63], s[0:1], v[17:18], -v[21:22]
	v_fma_f64 v[23:24], -v[0:1], v[15:16], v[42:43]
	ds_read_b128 v[15:18], v8 offset:1856
	v_mul_f64 v[11:12], v[2:3], v[11:12]
	v_mul_f64 v[9:10], v[2:3], v[9:10]
	s_waitcnt lgkmcnt(0)
	v_fma_f64 v[42:43], -v[0:1], v[17:18], v[46:47]
	v_fma_f64 v[44:45], -v[0:1], v[15:16], v[44:45]
	v_fma_f64 v[56:57], s[0:1], v[38:39], -v[11:12]
	v_fma_f64 v[58:59], s[0:1], v[36:37], -v[9:10]
	ds_read_b128 v[9:12], v8 offset:1616
	ds_read_b128 v[19:22], v8 offset:1744
	;; [unrolled: 1-line block ×5, first 2 shown]
	v_fma_f64 v[27:28], -v[0:1], v[27:28], v[60:61]
	s_waitcnt lgkmcnt(3)
	v_fma_f64 v[46:47], -v[6:7], v[21:22], v[23:24]
	ds_read_b128 v[21:24], v8 offset:1600
	s_waitcnt lgkmcnt(2)
	v_fma_f64 v[50:51], -v[0:1], v[38:39], v[50:51]
	v_fma_f64 v[48:49], -v[0:1], v[36:37], v[48:49]
	;; [unrolled: 1-line block ×3, first 2 shown]
	ds_read_b128 v[17:20], v8 offset:1808
	s_waitcnt lgkmcnt(2)
	v_fma_f64 v[52:53], -v[0:1], v[13:14], v[52:53]
	v_fma_f64 v[40:41], -v[6:7], v[32:33], v[44:45]
	v_fma_f64 v[38:39], -v[4:5], v[11:12], v[46:47]
	ds_read_b128 v[11:14], v8 offset:1488
	v_fma_f64 v[46:47], -v[0:1], v[15:16], v[54:55]
	v_fma_f64 v[15:16], -v[6:7], v[34:35], v[42:43]
	ds_read_b128 v[32:35], v8 offset:1472
	v_fma_f64 v[9:10], -v[4:5], v[9:10], v[36:37]
	s_waitcnt lgkmcnt(2)
	v_fma_f64 v[44:45], -v[0:1], v[17:18], v[58:59]
	v_fma_f64 v[42:43], -v[0:1], v[19:20], v[56:57]
	s_waitcnt lgkmcnt(1)
	v_mul_f64 v[13:14], v[38:39], v[13:14]
	v_fma_f64 v[56:57], -v[0:1], v[25:26], v[62:63]
	v_fma_f64 v[36:37], -v[13:14], v[11:12], v[9:10]
	ds_read2_b64 v[9:12], v8 offset0:136 offset1:170
	s_waitcnt lgkmcnt(0)
	v_mul_f64 v[11:12], v[36:37], v[11:12]
	ds_read_b128 v[36:39], v8 offset:1712
	v_fma_f64 v[23:24], -v[4:5], v[23:24], v[15:16]
	v_fma_f64 v[40:41], -v[4:5], v[21:22], v[40:41]
	ds_read_b128 v[15:18], v8 offset:1344
	ds_read_b128 v[19:22], v8 offset:1216
	s_waitcnt lgkmcnt(2)
	v_fma_f64 v[48:49], -v[6:7], v[36:37], v[48:49]
	v_fma_f64 v[50:51], -v[6:7], v[38:39], v[50:51]
	;; [unrolled: 1-line block ×3, first 2 shown]
	ds_read_b128 v[34:37], v8 offset:1328
	v_fma_f64 v[32:33], -v[13:14], v[32:33], v[40:41]
	ds_read_b128 v[23:26], v8 offset:1696
	ds_read_b128 v[38:41], v8 offset:1680
	s_waitcnt lgkmcnt(4)
	v_fma_f64 v[17:18], -v[11:12], v[17:18], v[54:55]
	s_waitcnt lgkmcnt(0)
	v_fma_f64 v[58:59], -v[6:7], v[40:41], v[42:43]
	v_fma_f64 v[60:61], -v[6:7], v[38:39], v[44:45]
	ds_read_b128 v[38:41], v8 offset:1280
	v_fma_f64 v[15:16], -v[11:12], v[15:16], v[32:33]
	v_fma_f64 v[54:55], -v[6:7], v[25:26], v[46:47]
	;; [unrolled: 1-line block ×3, first 2 shown]
	ds_read_b128 v[23:26], v8 offset:1664
	v_mul_f64 v[17:18], v[17:18], v[21:22]
	v_fma_f64 v[15:16], -v[17:18], v[19:20], v[15:16]
	ds_read_b128 v[19:22], v8 offset:1584
	s_waitcnt lgkmcnt(1)
	v_fma_f64 v[27:28], -v[6:7], v[25:26], v[27:28]
	v_fma_f64 v[32:33], -v[6:7], v[23:24], v[56:57]
	ds_read_b128 v[23:26], v8 offset:1568
	s_waitcnt lgkmcnt(1)
	v_fma_f64 v[50:51], -v[4:5], v[21:22], v[50:51]
	v_fma_f64 v[56:57], -v[4:5], v[19:20], v[48:49]
	ds_read_b128 v[19:22], v8 offset:1552
	ds_read_b128 v[42:45], v8 offset:1456
	;; [unrolled: 1-line block ×3, first 2 shown]
	v_mul_f64 v[15:16], v[15:16], v[9:10]
	s_waitcnt lgkmcnt(3)
	v_fma_f64 v[9:10], -v[4:5], v[25:26], v[54:55]
	v_fma_f64 v[52:53], -v[4:5], v[23:24], v[52:53]
	ds_read_b128 v[23:26], v8 offset:1536
	s_waitcnt lgkmcnt(2)
	v_fma_f64 v[50:51], -v[13:14], v[44:45], v[50:51]
	v_fma_f64 v[54:55], -v[4:5], v[21:22], v[58:59]
	;; [unrolled: 1-line block ×3, first 2 shown]
	ds_read_b128 v[19:22], v8 offset:1200
	s_waitcnt lgkmcnt(1)
	v_fma_f64 v[60:61], -v[4:5], v[25:26], v[27:28]
	v_fma_f64 v[27:28], -v[13:14], v[42:43], v[56:57]
	ds_read_b128 v[42:45], v8 offset:1424
	v_fma_f64 v[62:63], -v[4:5], v[23:24], v[32:33]
	v_fma_f64 v[36:37], -v[11:12], v[36:37], v[50:51]
	;; [unrolled: 1-line block ×3, first 2 shown]
	ds_read_b128 v[23:26], v8 offset:1312
	v_fma_f64 v[9:10], -v[13:14], v[48:49], v[9:10]
	ds_read_b128 v[46:49], v8 offset:1408
	s_waitcnt lgkmcnt(2)
	v_fma_f64 v[52:53], -v[13:14], v[44:45], v[54:55]
	v_fma_f64 v[54:55], -v[13:14], v[42:43], v[58:59]
	ds_read_b128 v[42:45], v8 offset:1184
	v_fma_f64 v[27:28], -v[11:12], v[34:35], v[27:28]
	v_fma_f64 v[36:37], -v[17:18], v[21:22], v[36:37]
	ds_read_b128 v[32:35], v8 offset:1296
	s_waitcnt lgkmcnt(3)
	v_fma_f64 v[50:51], -v[11:12], v[23:24], v[50:51]
	ds_read_b128 v[21:24], v8 offset:1072
	v_fma_f64 v[9:10], -v[11:12], v[25:26], v[9:10]
	s_waitcnt lgkmcnt(3)
	v_fma_f64 v[56:57], -v[13:14], v[46:47], v[62:63]
	s_waitcnt lgkmcnt(1)
	v_fma_f64 v[52:53], -v[11:12], v[34:35], v[52:53]
	v_fma_f64 v[19:20], -v[17:18], v[19:20], v[27:28]
	ds_read_b128 v[25:28], v8 offset:1056
	s_waitcnt lgkmcnt(1)
	v_fma_f64 v[23:24], -v[15:16], v[23:24], v[36:37]
	v_fma_f64 v[36:37], -v[13:14], v[48:49], v[60:61]
	ds_read_b128 v[46:49], v8 offset:944
	v_fma_f64 v[9:10], -v[17:18], v[44:45], v[9:10]
	v_fma_f64 v[50:51], -v[17:18], v[42:43], v[50:51]
	ds_read_b128 v[42:45], v8 offset:928
	v_fma_f64 v[19:20], -v[15:16], v[21:22], v[19:20]
	s_waitcnt lgkmcnt(1)
	v_mul_f64 v[21:22], v[23:24], v[48:49]
	v_fma_f64 v[58:59], -v[11:12], v[40:41], v[36:37]
	v_fma_f64 v[9:10], -v[15:16], v[27:28], v[9:10]
	;; [unrolled: 1-line block ×4, first 2 shown]
	ds_read_b128 v[32:35], v8 offset:800
	ds_read_b128 v[23:26], v8 offset:672
	v_fma_f64 v[19:20], -v[21:22], v[46:47], v[19:20]
	ds_read2_b64 v[46:49], v8 offset0:68 offset1:102
	s_waitcnt lgkmcnt(3)
	v_fma_f64 v[9:10], -v[21:22], v[44:45], v[9:10]
	v_fma_f64 v[44:45], -v[11:12], v[38:39], v[56:57]
	ds_read_b128 v[36:39], v8 offset:1152
	v_fma_f64 v[54:55], -v[21:22], v[42:43], v[54:55]
	ds_read_b128 v[40:43], v8 offset:784
	s_waitcnt lgkmcnt(2)
	v_mul_f64 v[19:20], v[19:20], v[48:49]
	ds_read_b128 v[48:51], v8 offset:1168
	s_waitcnt lgkmcnt(2)
	v_fma_f64 v[38:39], -v[17:18], v[38:39], v[58:59]
	v_fma_f64 v[60:61], -v[17:18], v[36:37], v[44:45]
	s_waitcnt lgkmcnt(0)
	v_fma_f64 v[52:53], -v[17:18], v[50:51], v[52:53]
	v_fma_f64 v[27:28], -v[17:18], v[48:49], v[27:28]
	;; [unrolled: 1-line block ×3, first 2 shown]
	ds_read_b128 v[48:51], v8 offset:1040
	ds_read_b128 v[34:37], v8 offset:1024
	v_fma_f64 v[32:33], -v[19:20], v[32:33], v[54:55]
	s_waitcnt lgkmcnt(1)
	v_fma_f64 v[44:45], -v[15:16], v[50:51], v[52:53]
	v_fma_f64 v[27:28], -v[15:16], v[48:49], v[27:28]
	ds_read_b128 v[48:51], v8 offset:768
	v_mul_f64 v[25:26], v[9:10], v[25:26]
	ds_read_b128 v[52:55], v8 offset:912
	ds_read_b128 v[56:59], v8 offset:896
	s_waitcnt lgkmcnt(1)
	v_fma_f64 v[27:28], -v[21:22], v[52:53], v[27:28]
	v_fma_f64 v[9:10], -v[25:26], v[23:24], v[32:33]
	;; [unrolled: 1-line block ×6, first 2 shown]
	ds_read_b128 v[36:39], v8 offset:656
	ds_read_b128 v[42:45], v8 offset:640
	v_mul_f64 v[23:24], v[9:10], v[46:47]
	s_waitcnt lgkmcnt(2)
	v_fma_f64 v[9:10], -v[21:22], v[58:59], v[32:33]
	s_waitcnt lgkmcnt(1)
	v_fma_f64 v[27:28], -v[25:26], v[36:37], v[27:28]
	v_fma_f64 v[46:47], -v[25:26], v[38:39], v[52:53]
	;; [unrolled: 1-line block ×3, first 2 shown]
	ds_read_b128 v[32:35], v8 offset:528
	ds_read_b128 v[38:41], v8 offset:512
	v_fma_f64 v[9:10], -v[19:20], v[50:51], v[9:10]
	s_waitcnt lgkmcnt(1)
	v_fma_f64 v[27:28], -v[23:24], v[32:33], v[27:28]
	v_fma_f64 v[46:47], -v[23:24], v[34:35], v[46:47]
	;; [unrolled: 1-line block ×3, first 2 shown]
	ds_read_b128 v[34:37], v8 offset:400
	ds_read_b128 v[50:53], v8 offset:384
	v_fma_f64 v[9:10], -v[25:26], v[44:45], v[9:10]
	s_waitcnt lgkmcnt(1)
	v_mul_f64 v[36:37], v[46:47], v[36:37]
	v_fma_f64 v[32:33], -v[19:20], v[48:49], v[54:55]
	v_fma_f64 v[9:10], -v[23:24], v[40:41], v[9:10]
	;; [unrolled: 1-line block ×4, first 2 shown]
	ds_read2_b64 v[32:35], v8 offset1:34
	s_waitcnt lgkmcnt(1)
	v_fma_f64 v[9:10], -v[36:37], v[52:53], v[9:10]
	s_waitcnt lgkmcnt(0)
	v_mul_f64 v[34:35], v[27:28], v[34:35]
	v_fma_f64 v[27:28], -v[23:24], v[38:39], v[40:41]
	ds_read_b128 v[38:41], v8 offset:256
	ds_read_b128 v[42:45], v8 offset:128
	s_waitcnt lgkmcnt(1)
	v_fma_f64 v[8:9], -v[34:35], v[40:41], v[9:10]
	v_fma_f64 v[27:28], -v[36:37], v[50:51], v[27:28]
	s_waitcnt lgkmcnt(0)
	v_mul_f64 v[40:41], v[8:9], v[44:45]
	v_fma_f64 v[8:9], -v[34:35], v[38:39], v[27:28]
	v_fma_f64 v[8:9], -v[40:41], v[42:43], v[8:9]
	v_mul_f64 v[38:39], v[8:9], v[32:33]
	global_store_dwordx4 v[30:31], v[0:3], off offset:112
	global_store_dwordx4 v[30:31], v[4:7], off offset:96
	;; [unrolled: 1-line block ×7, first 2 shown]
	global_store_dwordx4 v[30:31], v[38:41], off
	s_cmp_gt_i32 s2, -1
	s_cbranch_scc1 .LBB83_29
	s_branch .LBB83_51
.LBB83_28:
	s_mov_b32 s2, s16
	s_cmp_gt_i32 s2, -1
	s_cbranch_scc0 .LBB83_51
.LBB83_29:
	s_cmp_lt_u32 s2, 11
	s_cbranch_scc1 .LBB83_34
; %bb.30:
	s_mov_b32 s5, 0
	s_mov_b32 s3, s5
	s_lshl_b64 s[6:7], s[2:3], 3
	v_mov_b32_e32 v1, s7
	v_add_co_u32_e32 v0, vcc, s6, v30
	v_addc_co_u32_e32 v1, vcc, v31, v1, vcc
	global_load_dwordx4 v[2:5], v[0:1], off offset:-8
	global_load_dwordx4 v[6:9], v[0:1], off offset:-24
	;; [unrolled: 1-line block ×6, first 2 shown]
	s_cmp_le_i32 s16, s2
	s_waitcnt vmcnt(5)
	v_mul_f64 v[24:25], s[0:1], v[4:5]
	v_mul_f64 v[22:23], s[0:1], v[2:3]
	s_waitcnt vmcnt(4)
	v_mul_f64 v[20:21], s[0:1], v[8:9]
	v_mul_f64 v[18:19], s[0:1], v[6:7]
	;; [unrolled: 3-line block ×6, first 2 shown]
	s_cbranch_scc1 .LBB83_33
; %bb.31:
	s_lshl_b32 s3, s22, 7
	s_lshl_b32 s4, s2, 3
	s_add_i32 s3, s3, s4
	s_addk_i32 s3, 0xff28
	s_mov_b32 s4, s16
.LBB83_32:                              ; =>This Inner Loop Header: Depth=1
	s_lshl_b64 s[6:7], s[4:5], 3
	v_mov_b32_e32 v27, s7
	v_add_co_u32_e32 v26, vcc, s6, v30
	v_addc_co_u32_e32 v27, vcc, v31, v27, vcc
	global_load_dwordx2 v[44:45], v[26:27], off
	v_mov_b32_e32 v40, s3
	ds_read2_b64 v[26:29], v40 offset0:10 offset1:11
	ds_read2_b64 v[32:35], v40 offset0:8 offset1:9
	;; [unrolled: 1-line block ×3, first 2 shown]
	s_add_i32 s4, s4, -1
	s_addk_i32 s3, 0xff80
	s_cmp_gt_i32 s4, s2
	s_waitcnt vmcnt(0) lgkmcnt(2)
	v_fma_f64 v[24:25], -v[44:45], v[28:29], v[24:25]
	v_fma_f64 v[22:23], -v[44:45], v[26:27], v[22:23]
	ds_read2_b64 v[26:29], v40 offset0:4 offset1:5
	s_waitcnt lgkmcnt(2)
	v_fma_f64 v[20:21], -v[44:45], v[34:35], v[20:21]
	v_fma_f64 v[18:19], -v[44:45], v[32:33], v[18:19]
	ds_read2_b64 v[32:35], v40 offset0:2 offset1:3
	ds_read2_b64 v[40:43], v40 offset1:1
	s_waitcnt lgkmcnt(3)
	v_fma_f64 v[16:17], -v[44:45], v[38:39], v[16:17]
	v_fma_f64 v[14:15], -v[44:45], v[36:37], v[14:15]
	s_waitcnt lgkmcnt(2)
	v_fma_f64 v[12:13], -v[44:45], v[28:29], v[12:13]
	v_fma_f64 v[10:11], -v[44:45], v[26:27], v[10:11]
	;; [unrolled: 3-line block ×4, first 2 shown]
	s_cbranch_scc1 .LBB83_32
.LBB83_33:
	s_add_i32 s4, s2, -1
	s_lshl_b32 s6, s4, 3
	s_lshl_b32 s3, s2, 7
	s_add_i32 s5, s6, s3
	v_mov_b32_e32 v26, s5
	ds_read2_b64 v[26:29], v26 offset1:1
	s_lshl_b32 s5, s4, 7
	s_add_i32 s6, s6, s5
	v_mov_b32_e32 v32, s6
	ds_read_b64 v[36:37], v32
	s_waitcnt lgkmcnt(1)
	v_mul_f64 v[38:39], v[24:25], v[28:29]
	s_add_i32 s8, s2, -3
	s_lshl_b32 s9, s8, 3
	s_add_i32 s6, s9, s3
	v_mov_b32_e32 v24, s6
	ds_read2_b64 v[32:35], v24 offset1:1
	s_add_i32 s6, s2, -5
	s_lshl_b32 s7, s6, 3
	s_add_i32 s10, s9, s5
	v_fma_f64 v[40:41], -v[38:39], v[26:27], v[22:23]
	v_mov_b32_e32 v22, s10
	s_add_i32 s10, s7, s3
	s_waitcnt lgkmcnt(0)
	v_fma_f64 v[44:45], -v[38:39], v[32:33], v[18:19]
	v_mov_b32_e32 v18, s10
	ds_read2_b64 v[22:25], v22 offset1:1
	v_fma_f64 v[42:43], -v[38:39], v[34:35], v[20:21]
	ds_read2_b64 v[18:21], v18 offset1:1
	s_add_i32 s14, s2, -7
	s_lshl_b32 s15, s14, 3
	s_add_i32 s10, s15, s3
	v_mov_b32_e32 v32, s10
	s_waitcnt lgkmcnt(0)
	v_fma_f64 v[46:47], -v[38:39], v[20:21], v[16:17]
	v_fma_f64 v[48:49], -v[38:39], v[18:19], v[14:15]
	ds_read2_b64 v[14:17], v32 offset1:1
	s_add_i32 s10, s7, s5
	s_add_i32 s12, s2, -9
	v_mov_b32_e32 v26, s10
	s_add_i32 s10, s15, s5
	s_lshl_b32 s13, s12, 3
	v_mov_b32_e32 v18, s10
	s_add_i32 s10, s13, s3
	s_waitcnt lgkmcnt(0)
	v_fma_f64 v[52:53], -v[38:39], v[14:15], v[10:11]
	v_mov_b32_e32 v10, s10
	s_add_i32 s10, s13, s5
	v_mov_b32_e32 v14, s10
	ds_read2_b64 v[26:29], v26 offset1:1
	ds_read2_b64 v[18:21], v18 offset1:1
	v_fma_f64 v[50:51], -v[38:39], v[16:17], v[12:13]
	ds_read2_b64 v[10:13], v10 offset1:1
	ds_read2_b64 v[14:17], v14 offset1:1
	s_add_i32 s10, s2, -11
	s_lshl_b32 s11, s10, 3
	s_add_i32 s3, s11, s3
	s_add_i32 s5, s11, s5
	s_waitcnt lgkmcnt(1)
	v_fma_f64 v[4:5], -v[38:39], v[12:13], v[4:5]
	v_fma_f64 v[12:13], -v[38:39], v[10:11], v[8:9]
	v_mov_b32_e32 v8, s3
	v_mov_b32_e32 v32, s5
	ds_read2_b64 v[8:11], v8 offset1:1
	ds_read2_b64 v[32:35], v32 offset1:1
	s_mov_b32 s5, 0
	s_lshl_b64 s[18:19], s[4:5], 3
	s_add_i32 s4, s2, -2
	s_waitcnt lgkmcnt(1)
	v_fma_f64 v[6:7], -v[38:39], v[8:9], v[6:7]
	v_mul_f64 v[8:9], v[40:41], v[36:37]
	s_lshl_b32 s3, s4, 7
	s_add_i32 s17, s9, s3
	global_store_dwordx2 v[0:1], v[38:39], off
	v_mov_b32_e32 v0, s17
	s_lshl_b32 s17, s8, 7
	s_add_i32 s9, s9, s17
	v_mov_b32_e32 v1, s9
	v_fma_f64 v[24:25], -v[8:9], v[24:25], v[42:43]
	v_fma_f64 v[10:11], -v[38:39], v[10:11], v[2:3]
	ds_read_b64 v[36:37], v1
	ds_read2_b64 v[0:3], v0 offset1:1
	v_fma_f64 v[22:23], -v[8:9], v[22:23], v[44:45]
	v_fma_f64 v[28:29], -v[8:9], v[28:29], v[46:47]
	;; [unrolled: 1-line block ×3, first 2 shown]
	s_add_i32 s9, s7, s3
	v_fma_f64 v[18:19], -v[8:9], v[18:19], v[52:53]
	s_waitcnt lgkmcnt(0)
	v_mul_f64 v[24:25], v[24:25], v[2:3]
	v_fma_f64 v[16:17], -v[8:9], v[16:17], v[4:5]
	v_fma_f64 v[20:21], -v[8:9], v[20:21], v[50:51]
	;; [unrolled: 1-line block ×6, first 2 shown]
	v_mov_b32_e32 v1, s19
	v_add_co_u32_e32 v0, vcc, s18, v30
	v_addc_co_u32_e32 v1, vcc, v31, v1, vcc
	global_store_dwordx2 v[0:1], v[8:9], off
	v_mov_b32_e32 v0, s9
	ds_read2_b64 v[0:3], v0 offset1:1
	s_add_i32 s9, s7, s17
	v_mov_b32_e32 v4, s9
	s_add_i32 s9, s15, s3
	ds_read2_b64 v[4:7], v4 offset1:1
	s_waitcnt lgkmcnt(1)
	v_fma_f64 v[28:29], -v[24:25], v[2:3], v[28:29]
	v_mov_b32_e32 v2, s9
	s_add_i32 s9, s13, s3
	v_fma_f64 v[26:27], -v[24:25], v[0:1], v[26:27]
	v_mov_b32_e32 v0, s9
	s_add_i32 s9, s15, s17
	v_mul_f64 v[22:23], v[22:23], v[36:37]
	ds_read2_b64 v[8:11], v2 offset1:1
	v_mov_b32_e32 v12, s9
	ds_read2_b64 v[12:15], v12 offset1:1
	ds_read2_b64 v[0:3], v0 offset1:1
	s_add_i32 s9, s13, s17
	s_waitcnt lgkmcnt(2)
	v_fma_f64 v[40:41], -v[24:25], v[8:9], v[18:19]
	v_mov_b32_e32 v8, s9
	s_add_i32 s3, s11, s3
	v_fma_f64 v[20:21], -v[24:25], v[10:11], v[20:21]
	ds_read2_b64 v[8:11], v8 offset1:1
	s_waitcnt lgkmcnt(1)
	v_fma_f64 v[42:43], -v[24:25], v[2:3], v[16:17]
	v_mov_b32_e32 v2, s3
	s_add_i32 s3, s11, s17
	s_lshl_b64 s[18:19], s[4:5], 3
	s_add_i32 s4, s2, -4
	v_fma_f64 v[36:37], -v[24:25], v[0:1], v[38:39]
	v_mov_b32_e32 v0, s3
	v_fma_f64 v[28:29], -v[22:23], v[6:7], v[28:29]
	s_lshl_b32 s3, s4, 7
	s_add_i32 s9, s7, s3
	v_fma_f64 v[26:27], -v[22:23], v[4:5], v[26:27]
	v_mov_b32_e32 v4, s9
	ds_read2_b64 v[16:19], v2 offset1:1
	ds_read2_b64 v[0:3], v0 offset1:1
	;; [unrolled: 1-line block ×3, first 2 shown]
	s_mov_b32 s9, s5
	s_lshl_b64 s[8:9], s[8:9], 3
	s_lshl_b32 s17, s6, 7
	s_waitcnt lgkmcnt(2)
	v_fma_f64 v[32:33], -v[24:25], v[16:17], v[32:33]
	s_waitcnt lgkmcnt(0)
	v_mul_f64 v[28:29], v[28:29], v[6:7]
	v_mov_b32_e32 v7, s19
	v_add_co_u32_e32 v6, vcc, s18, v30
	v_addc_co_u32_e32 v7, vcc, v31, v7, vcc
	v_fma_f64 v[20:21], -v[22:23], v[14:15], v[20:21]
	s_add_i32 s7, s7, s17
	v_fma_f64 v[16:17], -v[28:29], v[4:5], v[26:27]
	v_mov_b32_e32 v5, s9
	v_add_co_u32_e32 v4, vcc, s8, v30
	v_addc_co_u32_e32 v5, vcc, v31, v5, vcc
	s_lshl_b64 s[8:9], s[4:5], 3
	s_add_i32 s4, s15, s3
	v_fma_f64 v[18:19], -v[24:25], v[18:19], v[34:35]
	v_mov_b32_e32 v34, s7
	global_store_dwordx2 v[4:5], v[22:23], off
	v_mov_b32_e32 v4, s4
	ds_read_b64 v[34:35], v34
	global_store_dwordx2 v[6:7], v[24:25], off
	ds_read2_b64 v[4:7], v4 offset1:1
	v_fma_f64 v[24:25], -v[22:23], v[12:13], v[40:41]
	s_add_i32 s4, s15, s17
	v_mov_b32_e32 v12, s4
	s_waitcnt lgkmcnt(1)
	v_mul_f64 v[26:27], v[16:17], v[34:35]
	ds_read2_b64 v[12:15], v12 offset1:1
	s_waitcnt lgkmcnt(1)
	v_fma_f64 v[6:7], -v[28:29], v[6:7], v[20:21]
	v_mov_b32_e32 v38, s9
	v_add_co_u32_e32 v16, vcc, s8, v30
	v_addc_co_u32_e32 v17, vcc, v31, v38, vcc
	global_store_dwordx2 v[16:17], v[28:29], off
	v_fma_f64 v[16:17], -v[28:29], v[4:5], v[24:25]
	s_mov_b32 s7, s5
	s_add_i32 s4, s2, -6
	s_lshl_b64 s[6:7], s[6:7], 3
	s_waitcnt lgkmcnt(0)
	v_fma_f64 v[14:15], -v[26:27], v[14:15], v[6:7]
	s_lshl_b32 s8, s4, 7
	v_mov_b32_e32 v40, s7
	s_add_i32 s7, s15, s8
	v_fma_f64 v[24:25], -v[22:23], v[10:11], v[42:43]
	v_mov_b32_e32 v4, s7
	s_add_i32 s7, s13, s3
	ds_read2_b64 v[4:7], v4 offset1:1
	v_mov_b32_e32 v10, s7
	v_fma_f64 v[20:21], -v[26:27], v[12:13], v[16:17]
	ds_read2_b64 v[10:13], v10 offset1:1
	s_lshl_b32 s9, s14, 7
	s_add_i32 s7, s15, s9
	v_mov_b32_e32 v16, s7
	s_add_i32 s7, s13, s17
	s_waitcnt lgkmcnt(1)
	v_mul_f64 v[38:39], v[14:15], v[6:7]
	v_mov_b32_e32 v6, s7
	ds_read_b64 v[34:35], v16
	ds_read2_b64 v[14:17], v6 offset1:1
	s_waitcnt lgkmcnt(2)
	v_fma_f64 v[6:7], -v[28:29], v[12:13], v[24:25]
	v_fma_f64 v[8:9], -v[22:23], v[8:9], v[36:37]
	v_add_co_u32_e32 v12, vcc, s6, v30
	v_addc_co_u32_e32 v13, vcc, v31, v40, vcc
	global_store_dwordx2 v[12:13], v[26:27], off
	v_fma_f64 v[12:13], -v[38:39], v[4:5], v[20:21]
	s_waitcnt lgkmcnt(0)
	v_fma_f64 v[16:17], -v[26:27], v[16:17], v[6:7]
	s_lshl_b64 s[6:7], s[4:5], 3
	s_add_i32 s4, s13, s8
	v_mov_b32_e32 v4, s4
	v_fma_f64 v[20:21], -v[28:29], v[10:11], v[8:9]
	ds_read2_b64 v[4:7], v4 offset1:1
	s_add_i32 s4, s13, s9
	v_mov_b32_e32 v8, s4
	v_mul_f64 v[24:25], v[12:13], v[34:35]
	ds_read2_b64 v[8:11], v8 offset1:1
	s_waitcnt lgkmcnt(1)
	v_fma_f64 v[6:7], -v[38:39], v[6:7], v[16:17]
	v_mov_b32_e32 v36, s7
	v_add_co_u32_e32 v12, vcc, s6, v30
	v_addc_co_u32_e32 v13, vcc, v31, v36, vcc
	global_store_dwordx2 v[12:13], v[38:39], off
	v_fma_f64 v[12:13], -v[26:27], v[14:15], v[20:21]
	s_waitcnt lgkmcnt(0)
	v_fma_f64 v[14:15], -v[24:25], v[10:11], v[6:7]
	v_fma_f64 v[6:7], -v[22:23], v[2:3], v[18:19]
	s_add_i32 s3, s11, s3
	v_mov_b32_e32 v2, s3
	s_add_i32 s3, s11, s17
	v_mov_b32_e32 v10, s3
	v_fma_f64 v[0:1], -v[22:23], v[0:1], v[32:33]
	v_fma_f64 v[16:17], -v[38:39], v[4:5], v[12:13]
	ds_read2_b64 v[2:5], v2 offset1:1
	ds_read2_b64 v[10:13], v10 offset1:1
	s_mov_b32 s15, s5
	s_add_i32 s4, s2, -8
	s_lshl_b64 s[6:7], s[14:15], 3
	s_waitcnt lgkmcnt(1)
	v_fma_f64 v[18:19], -v[28:29], v[4:5], v[6:7]
	s_lshl_b32 s14, s4, 7
	v_mov_b32_e32 v34, s7
	s_add_i32 s7, s13, s14
	s_lshl_b32 s3, s12, 7
	v_mov_b32_e32 v20, s7
	s_add_i32 s7, s13, s3
	v_mov_b32_e32 v22, s7
	ds_read2_b64 v[4:7], v20 offset1:1
	ds_read_b64 v[22:23], v22
	v_fma_f64 v[20:21], -v[28:29], v[2:3], v[0:1]
	s_waitcnt lgkmcnt(2)
	v_fma_f64 v[12:13], -v[26:27], v[12:13], v[18:19]
	s_add_i32 s7, s11, s8
	v_mov_b32_e32 v0, s7
	ds_read2_b64 v[0:3], v0 offset1:1
	s_add_i32 s7, s11, s9
	s_waitcnt lgkmcnt(2)
	v_mul_f64 v[14:15], v[14:15], v[6:7]
	v_mov_b32_e32 v6, s7
	v_fma_f64 v[16:17], -v[24:25], v[8:9], v[16:17]
	ds_read2_b64 v[6:9], v6 offset1:1
	s_waitcnt lgkmcnt(1)
	v_fma_f64 v[2:3], -v[38:39], v[2:3], v[12:13]
	v_fma_f64 v[10:11], -v[26:27], v[10:11], v[20:21]
	v_add_co_u32_e32 v12, vcc, s6, v30
	v_addc_co_u32_e32 v13, vcc, v31, v34, vcc
	global_store_dwordx2 v[12:13], v[24:25], off
	v_fma_f64 v[4:5], -v[14:15], v[4:5], v[16:17]
	s_waitcnt lgkmcnt(0)
	v_fma_f64 v[12:13], -v[24:25], v[8:9], v[2:3]
	v_fma_f64 v[16:17], -v[38:39], v[0:1], v[10:11]
	s_lshl_b64 s[6:7], s[4:5], 3
	s_add_i32 s4, s11, s14
	v_mov_b32_e32 v0, s4
	ds_read2_b64 v[0:3], v0 offset1:1
	s_add_i32 s3, s11, s3
	v_mov_b32_e32 v8, s3
	v_mul_f64 v[4:5], v[4:5], v[22:23]
	ds_read2_b64 v[8:11], v8 offset1:1
	s_waitcnt lgkmcnt(1)
	v_fma_f64 v[2:3], -v[14:15], v[2:3], v[12:13]
	v_fma_f64 v[6:7], -v[24:25], v[6:7], v[16:17]
	s_add_i32 s4, s2, -10
	s_lshl_b32 s3, s4, 7
	s_add_i32 s3, s11, s3
	v_mov_b32_e32 v18, s7
	v_add_co_u32_e32 v12, vcc, s6, v30
	s_waitcnt lgkmcnt(0)
	v_fma_f64 v[10:11], -v[4:5], v[10:11], v[2:3]
	v_fma_f64 v[6:7], -v[14:15], v[0:1], v[6:7]
	v_mov_b32_e32 v0, s3
	ds_read2_b64 v[0:3], v0 offset1:1
	s_lshl_b32 s3, s10, 7
	v_addc_co_u32_e32 v13, vcc, v31, v18, vcc
	s_add_i32 s3, s11, s3
	global_store_dwordx2 v[12:13], v[14:15], off
	v_mov_b32_e32 v12, s3
	ds_read_b64 v[12:13], v12
	s_waitcnt lgkmcnt(1)
	v_mul_f64 v[2:3], v[10:11], v[2:3]
	v_fma_f64 v[6:7], -v[4:5], v[8:9], v[6:7]
	s_mov_b32 s13, s5
	s_lshl_b64 s[6:7], s[12:13], 3
	v_mov_b32_e32 v9, s7
	v_add_co_u32_e32 v8, vcc, s6, v30
	v_addc_co_u32_e32 v9, vcc, v31, v9, vcc
	v_fma_f64 v[0:1], -v[2:3], v[0:1], v[6:7]
	s_lshl_b64 s[6:7], s[4:5], 3
	global_store_dwordx2 v[8:9], v[4:5], off
	v_mov_b32_e32 v5, s7
	v_add_co_u32_e32 v4, vcc, s6, v30
	s_mov_b32 s11, s5
	v_addc_co_u32_e32 v5, vcc, v31, v5, vcc
	s_waitcnt lgkmcnt(0)
	v_mul_f64 v[0:1], v[0:1], v[12:13]
	s_lshl_b64 s[4:5], s[10:11], 3
	global_store_dwordx2 v[4:5], v[2:3], off
	v_mov_b32_e32 v3, s5
	v_add_co_u32_e32 v2, vcc, s4, v30
	v_addc_co_u32_e32 v3, vcc, v31, v3, vcc
	s_add_i32 s2, s2, -12
	global_store_dwordx2 v[2:3], v[0:1], off
.LBB83_34:
	s_cmp_lt_i32 s2, 0
	s_cbranch_scc1 .LBB83_51
; %bb.35:
	s_and_b32 s3, s2, 3
	s_cmp_eq_u32 s3, 3
	s_mov_b32 s4, s2
	s_cbranch_scc1 .LBB83_40
; %bb.36:
	s_lshl_b32 s4, s22, 7
	s_lshl_b32 s5, s2, 3
	s_add_i32 s3, s2, 1
	s_add_i32 s4, s4, s5
	s_and_b32 s3, s3, 3
	s_add_i32 s8, s4, 0xffffff80
	s_mov_b32 s7, 0
	s_mov_b32 s4, s2
	;; [unrolled: 1-line block ×3, first 2 shown]
	s_branch .LBB83_38
.LBB83_37:                              ;   in Loop: Header=BB83_38 Depth=1
	s_mul_i32 s5, s4, 0x88
	v_mov_b32_e32 v4, s5
	ds_read_b64 v[4:5], v4
	s_add_i32 s4, s4, -1
	s_add_i32 s9, s9, 1
	s_add_i32 s8, s8, -8
	s_cmp_lg_u32 s9, s3
	s_waitcnt lgkmcnt(0)
	v_mul_f64 v[2:3], v[2:3], v[4:5]
	global_store_dwordx2 v[0:1], v[2:3], off
	s_cbranch_scc0 .LBB83_40
.LBB83_38:                              ; =>This Loop Header: Depth=1
                                        ;     Child Loop BB83_39 Depth 2
	s_mov_b32 s5, s7
	s_lshl_b64 s[10:11], s[4:5], 3
	v_mov_b32_e32 v1, s11
	v_add_co_u32_e32 v0, vcc, s10, v30
	v_addc_co_u32_e32 v1, vcc, v31, v1, vcc
	global_load_dwordx2 v[2:3], v[0:1], off
	s_cmp_le_i32 s16, s4
	s_mov_b32 s5, s8
	s_mov_b32 s6, s16
	s_waitcnt vmcnt(0)
	v_mul_f64 v[2:3], s[0:1], v[2:3]
	s_cbranch_scc1 .LBB83_37
.LBB83_39:                              ;   Parent Loop BB83_38 Depth=1
                                        ; =>  This Inner Loop Header: Depth=2
	s_lshl_b64 s[10:11], s[6:7], 3
	v_mov_b32_e32 v5, s11
	v_add_co_u32_e32 v4, vcc, s10, v30
	v_addc_co_u32_e32 v5, vcc, v31, v5, vcc
	global_load_dwordx2 v[4:5], v[4:5], off
	v_mov_b32_e32 v6, s5
	ds_read_b64 v[6:7], v6
	s_add_i32 s6, s6, -1
	s_addk_i32 s5, 0xff80
	s_cmp_gt_i32 s6, s4
	s_waitcnt vmcnt(0) lgkmcnt(0)
	v_fma_f64 v[2:3], -v[4:5], v[6:7], v[2:3]
	s_cbranch_scc1 .LBB83_39
	s_branch .LBB83_37
.LBB83_40:
	s_cmp_lt_u32 s2, 3
	s_cbranch_scc1 .LBB83_51
; %bb.41:
	s_lshl_b32 s2, s22, 7
	s_lshl_b32 s3, s4, 3
	s_add_i32 s2, s2, s3
	s_add_i32 s8, s2, 0xffffff80
	;; [unrolled: 1-line block ×5, first 2 shown]
	s_mov_b32 s3, 0
	s_branch .LBB83_43
.LBB83_42:                              ;   in Loop: Header=BB83_43 Depth=1
	s_add_i32 s2, s5, 0xffffff78
	v_mov_b32_e32 v2, s2
	ds_read_b64 v[2:3], v2
	s_add_i32 s2, s4, -4
	s_sub_i32 s8, s8, 32
	s_sub_i32 s9, s9, 32
	;; [unrolled: 1-line block ×3, first 2 shown]
	s_waitcnt lgkmcnt(0)
	v_mul_f64 v[2:3], v[4:5], v[2:3]
	s_sub_i32 s11, s11, 32
	s_cmp_lt_i32 s4, 4
	s_mov_b32 s4, s2
	global_store_dwordx2 v[0:1], v[2:3], off
	s_cbranch_scc1 .LBB83_51
.LBB83_43:                              ; =>This Loop Header: Depth=1
                                        ;     Child Loop BB83_44 Depth 2
                                        ;     Child Loop BB83_46 Depth 2
	;; [unrolled: 1-line block ×4, first 2 shown]
	s_mov_b32 s5, s3
	s_lshl_b64 s[6:7], s[4:5], 3
	v_mov_b32_e32 v0, s7
	v_add_co_u32_e32 v2, vcc, s6, v30
	v_addc_co_u32_e32 v3, vcc, v31, v0, vcc
	global_load_dwordx2 v[0:1], v[2:3], off
	s_cmp_le_i32 s16, s4
	s_mov_b32 s5, s8
	s_mov_b32 s2, s16
	s_waitcnt vmcnt(0)
	v_mul_f64 v[4:5], s[0:1], v[0:1]
	s_cbranch_scc1 .LBB83_45
.LBB83_44:                              ;   Parent Loop BB83_43 Depth=1
                                        ; =>  This Inner Loop Header: Depth=2
	s_lshl_b64 s[6:7], s[2:3], 3
	v_mov_b32_e32 v1, s7
	v_add_co_u32_e32 v0, vcc, s6, v30
	v_addc_co_u32_e32 v1, vcc, v31, v1, vcc
	global_load_dwordx2 v[0:1], v[0:1], off
	v_mov_b32_e32 v6, s5
	ds_read_b64 v[6:7], v6
	s_add_i32 s2, s2, -1
	s_addk_i32 s5, 0xff80
	s_cmp_gt_i32 s2, s4
	s_waitcnt vmcnt(0) lgkmcnt(0)
	v_fma_f64 v[4:5], -v[0:1], v[6:7], v[4:5]
	s_cbranch_scc1 .LBB83_44
.LBB83_45:                              ;   in Loop: Header=BB83_43 Depth=1
	s_add_i32 s2, s4, -1
	s_lshl_b64 s[6:7], s[2:3], 3
	v_mov_b32_e32 v1, s7
	v_add_co_u32_e32 v0, vcc, s6, v30
	v_addc_co_u32_e32 v1, vcc, v31, v1, vcc
	global_load_dwordx2 v[6:7], v[0:1], off
	s_mul_i32 s5, s4, 0x88
	v_mov_b32_e32 v8, s5
	ds_read_b64 v[8:9], v8
	s_cmp_le_i32 s22, s4
	s_mov_b32 s6, s9
	s_mov_b32 s2, s22
	s_waitcnt lgkmcnt(0)
	v_mul_f64 v[8:9], v[4:5], v[8:9]
	global_store_dwordx2 v[2:3], v[8:9], off
	s_waitcnt vmcnt(1)
	v_mul_f64 v[4:5], s[0:1], v[6:7]
	s_cbranch_scc1 .LBB83_47
.LBB83_46:                              ;   Parent Loop BB83_43 Depth=1
                                        ; =>  This Inner Loop Header: Depth=2
	s_add_i32 s2, s2, -1
	s_lshl_b64 s[12:13], s[2:3], 3
	v_mov_b32_e32 v3, s13
	v_add_co_u32_e32 v2, vcc, s12, v30
	v_addc_co_u32_e32 v3, vcc, v31, v3, vcc
	global_load_dwordx2 v[2:3], v[2:3], off
	v_mov_b32_e32 v6, s6
	ds_read_b64 v[6:7], v6
	s_addk_i32 s6, 0xff80
	s_cmp_gt_i32 s2, s4
	s_waitcnt vmcnt(0) lgkmcnt(0)
	v_fma_f64 v[4:5], -v[2:3], v[6:7], v[4:5]
	s_cbranch_scc1 .LBB83_46
.LBB83_47:                              ;   in Loop: Header=BB83_43 Depth=1
	s_add_i32 s6, s4, -2
	s_mov_b32 s7, s3
	s_lshl_b64 s[12:13], s[6:7], 3
	v_mov_b32_e32 v3, s13
	v_add_co_u32_e32 v2, vcc, s12, v30
	v_addc_co_u32_e32 v3, vcc, v31, v3, vcc
	global_load_dwordx2 v[6:7], v[2:3], off
	s_addk_i32 s5, 0xff78
	v_mov_b32_e32 v8, s5
	ds_read_b64 v[8:9], v8
	s_cmp_le_i32 s16, s6
	s_mov_b32 s7, s10
	s_mov_b32 s2, s16
	s_waitcnt lgkmcnt(0)
	v_mul_f64 v[8:9], v[4:5], v[8:9]
	global_store_dwordx2 v[0:1], v[8:9], off
	s_waitcnt vmcnt(1)
	v_mul_f64 v[4:5], s[0:1], v[6:7]
	s_cbranch_scc1 .LBB83_49
.LBB83_48:                              ;   Parent Loop BB83_43 Depth=1
                                        ; =>  This Inner Loop Header: Depth=2
	s_lshl_b64 s[12:13], s[2:3], 3
	v_mov_b32_e32 v1, s13
	v_add_co_u32_e32 v0, vcc, s12, v30
	v_addc_co_u32_e32 v1, vcc, v31, v1, vcc
	global_load_dwordx2 v[0:1], v[0:1], off
	v_mov_b32_e32 v6, s7
	ds_read_b64 v[6:7], v6
	s_add_i32 s2, s2, -1
	s_addk_i32 s7, 0xff80
	s_cmp_gt_i32 s2, s6
	s_waitcnt vmcnt(0) lgkmcnt(0)
	v_fma_f64 v[4:5], -v[0:1], v[6:7], v[4:5]
	s_cbranch_scc1 .LBB83_48
.LBB83_49:                              ;   in Loop: Header=BB83_43 Depth=1
	s_add_i32 s6, s4, -3
	s_mov_b32 s7, s3
	s_lshl_b64 s[12:13], s[6:7], 3
	v_mov_b32_e32 v1, s13
	v_add_co_u32_e32 v0, vcc, s12, v30
	v_addc_co_u32_e32 v1, vcc, v31, v1, vcc
	global_load_dwordx2 v[6:7], v[0:1], off
	s_addk_i32 s5, 0xff78
	v_mov_b32_e32 v8, s5
	ds_read_b64 v[8:9], v8
	s_cmp_le_i32 s16, s6
	s_mov_b32 s7, s11
	s_mov_b32 s2, s16
	s_waitcnt lgkmcnt(0)
	v_mul_f64 v[8:9], v[4:5], v[8:9]
	global_store_dwordx2 v[2:3], v[8:9], off
	s_waitcnt vmcnt(1)
	v_mul_f64 v[4:5], s[0:1], v[6:7]
	s_cbranch_scc1 .LBB83_42
.LBB83_50:                              ;   Parent Loop BB83_43 Depth=1
                                        ; =>  This Inner Loop Header: Depth=2
	s_lshl_b64 s[12:13], s[2:3], 3
	v_mov_b32_e32 v3, s13
	v_add_co_u32_e32 v2, vcc, s12, v30
	v_addc_co_u32_e32 v3, vcc, v31, v3, vcc
	global_load_dwordx2 v[2:3], v[2:3], off
	v_mov_b32_e32 v6, s7
	ds_read_b64 v[6:7], v6
	s_add_i32 s2, s2, -1
	s_addk_i32 s7, 0xff80
	s_cmp_gt_i32 s2, s6
	s_waitcnt vmcnt(0) lgkmcnt(0)
	v_fma_f64 v[4:5], -v[2:3], v[6:7], v[4:5]
	s_cbranch_scc1 .LBB83_50
	s_branch .LBB83_42
.LBB83_51:
	s_endpgm
	.section	.rodata,"a",@progbits
	.p2align	6, 0x0
	.amdhsa_kernel _ZL30rocblas_trsm_small_left_deviceILi16ELi16ELb0EddPKdPdEv13rocblas_fill_18rocblas_operation_17rocblas_diagonal_iiT3_T4_lilT5_lili
		.amdhsa_group_segment_fixed_size 2048
		.amdhsa_private_segment_fixed_size 0
		.amdhsa_kernarg_size 360
		.amdhsa_user_sgpr_count 6
		.amdhsa_user_sgpr_private_segment_buffer 1
		.amdhsa_user_sgpr_dispatch_ptr 0
		.amdhsa_user_sgpr_queue_ptr 0
		.amdhsa_user_sgpr_kernarg_segment_ptr 1
		.amdhsa_user_sgpr_dispatch_id 0
		.amdhsa_user_sgpr_flat_scratch_init 0
		.amdhsa_user_sgpr_private_segment_size 0
		.amdhsa_uses_dynamic_stack 0
		.amdhsa_system_sgpr_private_segment_wavefront_offset 0
		.amdhsa_system_sgpr_workgroup_id_x 1
		.amdhsa_system_sgpr_workgroup_id_y 0
		.amdhsa_system_sgpr_workgroup_id_z 1
		.amdhsa_system_sgpr_workgroup_info 0
		.amdhsa_system_vgpr_workitem_id 0
		.amdhsa_next_free_vgpr 64
		.amdhsa_next_free_sgpr 61
		.amdhsa_reserve_vcc 1
		.amdhsa_reserve_flat_scratch 0
		.amdhsa_float_round_mode_32 0
		.amdhsa_float_round_mode_16_64 0
		.amdhsa_float_denorm_mode_32 3
		.amdhsa_float_denorm_mode_16_64 3
		.amdhsa_dx10_clamp 1
		.amdhsa_ieee_mode 1
		.amdhsa_fp16_overflow 0
		.amdhsa_exception_fp_ieee_invalid_op 0
		.amdhsa_exception_fp_denorm_src 0
		.amdhsa_exception_fp_ieee_div_zero 0
		.amdhsa_exception_fp_ieee_overflow 0
		.amdhsa_exception_fp_ieee_underflow 0
		.amdhsa_exception_fp_ieee_inexact 0
		.amdhsa_exception_int_div_zero 0
	.end_amdhsa_kernel
	.section	.text._ZL30rocblas_trsm_small_left_deviceILi16ELi16ELb0EddPKdPdEv13rocblas_fill_18rocblas_operation_17rocblas_diagonal_iiT3_T4_lilT5_lili,"axG",@progbits,_ZL30rocblas_trsm_small_left_deviceILi16ELi16ELb0EddPKdPdEv13rocblas_fill_18rocblas_operation_17rocblas_diagonal_iiT3_T4_lilT5_lili,comdat
.Lfunc_end83:
	.size	_ZL30rocblas_trsm_small_left_deviceILi16ELi16ELb0EddPKdPdEv13rocblas_fill_18rocblas_operation_17rocblas_diagonal_iiT3_T4_lilT5_lili, .Lfunc_end83-_ZL30rocblas_trsm_small_left_deviceILi16ELi16ELb0EddPKdPdEv13rocblas_fill_18rocblas_operation_17rocblas_diagonal_iiT3_T4_lilT5_lili
                                        ; -- End function
	.set _ZL30rocblas_trsm_small_left_deviceILi16ELi16ELb0EddPKdPdEv13rocblas_fill_18rocblas_operation_17rocblas_diagonal_iiT3_T4_lilT5_lili.num_vgpr, 64
	.set _ZL30rocblas_trsm_small_left_deviceILi16ELi16ELb0EddPKdPdEv13rocblas_fill_18rocblas_operation_17rocblas_diagonal_iiT3_T4_lilT5_lili.num_agpr, 0
	.set _ZL30rocblas_trsm_small_left_deviceILi16ELi16ELb0EddPKdPdEv13rocblas_fill_18rocblas_operation_17rocblas_diagonal_iiT3_T4_lilT5_lili.numbered_sgpr, 26
	.set _ZL30rocblas_trsm_small_left_deviceILi16ELi16ELb0EddPKdPdEv13rocblas_fill_18rocblas_operation_17rocblas_diagonal_iiT3_T4_lilT5_lili.num_named_barrier, 0
	.set _ZL30rocblas_trsm_small_left_deviceILi16ELi16ELb0EddPKdPdEv13rocblas_fill_18rocblas_operation_17rocblas_diagonal_iiT3_T4_lilT5_lili.private_seg_size, 0
	.set _ZL30rocblas_trsm_small_left_deviceILi16ELi16ELb0EddPKdPdEv13rocblas_fill_18rocblas_operation_17rocblas_diagonal_iiT3_T4_lilT5_lili.uses_vcc, 1
	.set _ZL30rocblas_trsm_small_left_deviceILi16ELi16ELb0EddPKdPdEv13rocblas_fill_18rocblas_operation_17rocblas_diagonal_iiT3_T4_lilT5_lili.uses_flat_scratch, 0
	.set _ZL30rocblas_trsm_small_left_deviceILi16ELi16ELb0EddPKdPdEv13rocblas_fill_18rocblas_operation_17rocblas_diagonal_iiT3_T4_lilT5_lili.has_dyn_sized_stack, 0
	.set _ZL30rocblas_trsm_small_left_deviceILi16ELi16ELb0EddPKdPdEv13rocblas_fill_18rocblas_operation_17rocblas_diagonal_iiT3_T4_lilT5_lili.has_recursion, 0
	.set _ZL30rocblas_trsm_small_left_deviceILi16ELi16ELb0EddPKdPdEv13rocblas_fill_18rocblas_operation_17rocblas_diagonal_iiT3_T4_lilT5_lili.has_indirect_call, 0
	.section	.AMDGPU.csdata,"",@progbits
; Kernel info:
; codeLenInByte = 10048
; TotalNumSgprs: 30
; NumVgprs: 64
; ScratchSize: 0
; MemoryBound: 1
; FloatMode: 240
; IeeeMode: 1
; LDSByteSize: 2048 bytes/workgroup (compile time only)
; SGPRBlocks: 8
; VGPRBlocks: 15
; NumSGPRsForWavesPerEU: 65
; NumVGPRsForWavesPerEU: 64
; Occupancy: 4
; WaveLimiterHint : 1
; COMPUTE_PGM_RSRC2:SCRATCH_EN: 0
; COMPUTE_PGM_RSRC2:USER_SGPR: 6
; COMPUTE_PGM_RSRC2:TRAP_HANDLER: 0
; COMPUTE_PGM_RSRC2:TGID_X_EN: 1
; COMPUTE_PGM_RSRC2:TGID_Y_EN: 0
; COMPUTE_PGM_RSRC2:TGID_Z_EN: 1
; COMPUTE_PGM_RSRC2:TIDIG_COMP_CNT: 0
	.section	.text._ZL38rocblas_trsm_small_left_device_sharedBILi16ELi16ELb1EddPKdPdEv13rocblas_fill_18rocblas_operation_17rocblas_diagonal_iiT3_T4_lilT5_lili,"axG",@progbits,_ZL38rocblas_trsm_small_left_device_sharedBILi16ELi16ELb1EddPKdPdEv13rocblas_fill_18rocblas_operation_17rocblas_diagonal_iiT3_T4_lilT5_lili,comdat
	.globl	_ZL38rocblas_trsm_small_left_device_sharedBILi16ELi16ELb1EddPKdPdEv13rocblas_fill_18rocblas_operation_17rocblas_diagonal_iiT3_T4_lilT5_lili ; -- Begin function _ZL38rocblas_trsm_small_left_device_sharedBILi16ELi16ELb1EddPKdPdEv13rocblas_fill_18rocblas_operation_17rocblas_diagonal_iiT3_T4_lilT5_lili
	.p2align	8
	.type	_ZL38rocblas_trsm_small_left_device_sharedBILi16ELi16ELb1EddPKdPdEv13rocblas_fill_18rocblas_operation_17rocblas_diagonal_iiT3_T4_lilT5_lili,@function
_ZL38rocblas_trsm_small_left_device_sharedBILi16ELi16ELb1EddPKdPdEv13rocblas_fill_18rocblas_operation_17rocblas_diagonal_iiT3_T4_lilT5_lili: ; @_ZL38rocblas_trsm_small_left_device_sharedBILi16ELi16ELb1EddPKdPdEv13rocblas_fill_18rocblas_operation_17rocblas_diagonal_iiT3_T4_lilT5_lili
; %bb.0:
	s_load_dwordx4 s[8:11], s[4:5], 0x4
	s_load_dwordx4 s[12:15], s[4:5], 0x18
	s_load_dwordx2 s[20:21], s[4:5], 0x28
	s_load_dwordx4 s[0:3], s[4:5], 0x38
	s_load_dwordx2 s[16:17], s[4:5], 0x48
	s_waitcnt lgkmcnt(0)
	s_min_i32 s22, s10, 16
	v_cmp_gt_i32_e32 vcc, s22, v0
	s_and_saveexec_b64 s[18:19], vcc
	s_cbranch_execz .LBB84_6
; %bb.1:
	s_load_dword s24, s[4:5], 0x30
	s_mul_i32 s1, s1, s7
	s_mul_hi_u32 s23, s0, s7
	s_mul_i32 s0, s0, s7
	s_add_i32 s1, s23, s1
	s_waitcnt lgkmcnt(0)
	s_ashr_i32 s25, s24, 31
	s_lshl_b64 s[0:1], s[0:1], 3
	s_add_u32 s14, s14, s0
	s_addc_u32 s15, s15, s1
	s_lshl_b64 s[0:1], s[20:21], 3
	s_add_u32 s0, s14, s0
	s_addc_u32 s1, s15, s1
	v_lshlrev_b32_e32 v3, 3, v0
	v_mov_b32_e32 v2, s1
	v_add_co_u32_e32 v1, vcc, s0, v3
	s_lshl_b64 s[0:1], s[24:25], 3
	v_addc_co_u32_e32 v2, vcc, 0, v2, vcc
	v_mov_b32_e32 v4, s1
	v_mov_b32_e32 v5, v3
	s_mov_b32 s1, s22
.LBB84_2:                               ; =>This Inner Loop Header: Depth=1
	global_load_dwordx2 v[6:7], v[1:2], off
	v_add_co_u32_e32 v1, vcc, s0, v1
	s_add_i32 s1, s1, -1
	v_addc_co_u32_e32 v2, vcc, v2, v4, vcc
	s_cmp_eq_u32 s1, 0
	s_waitcnt vmcnt(0)
	ds_write_b64 v5, v[6:7]
	v_add_u32_e32 v5, 0x80, v5
	s_cbranch_scc0 .LBB84_2
; %bb.3:
	v_lshlrev_b32_e32 v4, 7, v0
	v_mov_b32_e32 v1, 0
	s_cmpk_lg_i32 s9, 0x84
	v_mov_b32_e32 v2, 0x3ff00000
	v_add_u32_e32 v3, v3, v4
	s_cbranch_scc0 .LBB84_5
; %bb.4:
	ds_read_b64 v[1:2], v3
	s_waitcnt lgkmcnt(0)
	v_div_scale_f64 v[4:5], s[0:1], v[1:2], v[1:2], 1.0
	v_div_scale_f64 v[10:11], vcc, 1.0, v[1:2], 1.0
	v_rcp_f64_e32 v[6:7], v[4:5]
	v_fma_f64 v[8:9], -v[4:5], v[6:7], 1.0
	v_fma_f64 v[6:7], v[6:7], v[8:9], v[6:7]
	v_fma_f64 v[8:9], -v[4:5], v[6:7], 1.0
	v_fma_f64 v[6:7], v[6:7], v[8:9], v[6:7]
	v_mul_f64 v[8:9], v[10:11], v[6:7]
	v_fma_f64 v[4:5], -v[4:5], v[8:9], v[10:11]
	v_div_fmas_f64 v[4:5], v[4:5], v[6:7], v[8:9]
	v_div_fixup_f64 v[1:2], v[4:5], v[1:2], 1.0
.LBB84_5:
	ds_write_b64 v3, v[1:2]
.LBB84_6:
	s_or_b64 exec, exec, s[18:19]
	s_load_dword s0, s[4:5], 0x68
	s_load_dwordx2 s[14:15], s[4:5], 0x58
	s_load_dword s9, s[4:5], 0x50
	s_waitcnt lgkmcnt(0)
	s_mul_i32 s1, s15, s7
	s_mul_hi_u32 s5, s14, s7
	s_mul_i32 s4, s14, s7
	s_add_i32 s5, s5, s1
	s_lshl_b64 s[4:5], s[4:5], 3
	s_add_u32 s1, s2, s4
	s_addc_u32 s4, s3, s5
	s_lshl_b64 s[2:3], s[16:17], 3
	s_add_u32 s2, s1, s2
	s_addc_u32 s3, s4, s3
	s_lshl_b32 s4, s6, 4
	s_add_i32 s0, s0, -1
	s_sub_i32 s1, s11, s4
	s_cmp_ge_u32 s6, s0
	s_cselect_b32 s5, s1, 16
	s_mul_hi_i32 s1, s9, s4
	s_mul_i32 s0, s9, s4
	s_lshl_b64 s[0:1], s[0:1], 3
	s_add_u32 s6, s2, s0
	s_addc_u32 s7, s3, s1
	s_cmp_gt_i32 s10, 0
	v_cmp_gt_i32_e64 s[0:1], s5, v0
	s_cselect_b64 s[2:3], -1, 0
	s_and_b64 s[14:15], s[0:1], s[2:3]
	s_and_saveexec_b64 s[4:5], s[14:15]
	s_cbranch_execz .LBB84_9
; %bb.7:
	v_mad_i64_i32 v[1:2], s[14:15], s9, v0, 0
	v_mov_b32_e32 v3, s7
	s_mov_b32 s11, s22
	v_lshlrev_b64 v[1:2], 3, v[1:2]
	v_add_co_u32_e32 v1, vcc, s6, v1
	v_addc_co_u32_e32 v2, vcc, v3, v2, vcc
	v_mov_b32_e32 v3, 0x800
	v_lshl_or_b32 v3, v0, 3, v3
.LBB84_8:                               ; =>This Inner Loop Header: Depth=1
	global_load_dwordx2 v[4:5], v[1:2], off
	s_add_i32 s11, s11, -1
	v_add_co_u32_e32 v1, vcc, 8, v1
	v_addc_co_u32_e32 v2, vcc, 0, v2, vcc
	s_cmp_lg_u32 s11, 0
	s_waitcnt vmcnt(0)
	v_mul_f64 v[4:5], s[12:13], v[4:5]
	ds_write_b64 v3, v[4:5]
	v_add_u32_e32 v3, 0x80, v3
	s_cbranch_scc1 .LBB84_8
.LBB84_9:
	s_or_b64 exec, exec, s[4:5]
	v_mov_b32_e32 v1, 0x800
	s_cmpk_eq_i32 s8, 0x6f
	v_lshl_or_b32 v31, v0, 3, v1
	s_mov_b64 s[4:5], -1
	s_waitcnt lgkmcnt(0)
	; wave barrier
	s_cbranch_scc1 .LBB84_36
; %bb.10:
	s_add_i32 s4, s22, -1
	s_cmp_gt_i32 s10, 15
	s_mov_b32 s5, -1
	s_cbranch_scc0 .LBB84_12
; %bb.11:
	ds_read2_b64 v[4:7], v31 offset0:224 offset1:240
	v_mov_b32_e32 v3, 0
	ds_read2_b64 v[8:11], v3 offset0:223 offset1:255
	ds_read2_b64 v[12:15], v31 offset0:192 offset1:208
	;; [unrolled: 1-line block ×5, first 2 shown]
	ds_read_b128 v[32:35], v3 offset:1904
	ds_read2_b64 v[36:39], v3 offset0:221 offset1:222
	ds_read_b128 v[40:43], v3 offset:1648
	ds_read_b128 v[44:47], v3 offset:1632
	ds_read2_b64 v[48:51], v3 offset0:159 offset1:191
	ds_read_b128 v[52:55], v3 offset:1392
	s_waitcnt lgkmcnt(10)
	v_mul_f64 v[1:2], v[6:7], v[10:11]
	s_waitcnt lgkmcnt(5)
	v_fma_f64 v[10:11], -v[1:2], v[34:35], v[4:5]
	ds_read_b128 v[4:7], v3 offset:1136
	ds_read2_b64 v[56:59], v3 offset0:95 offset1:127
	v_fma_f64 v[28:29], -v[1:2], v[8:9], v[14:15]
	s_waitcnt lgkmcnt(5)
	v_fma_f64 v[34:35], -v[1:2], v[42:43], v[12:13]
	s_waitcnt lgkmcnt(3)
	;; [unrolled: 2-line block ×3, first 2 shown]
	v_fma_f64 v[50:51], -v[1:2], v[54:55], v[16:17]
	v_fma_f64 v[48:49], -v[1:2], v[48:49], v[22:23]
	s_waitcnt lgkmcnt(1)
	v_fma_f64 v[6:7], -v[1:2], v[6:7], v[20:21]
	v_mul_f64 v[54:55], v[10:11], v[32:33]
	ds_read_b128 v[8:11], v3 offset:880
	ds_read_b128 v[12:15], v3 offset:1120
	ds_read2_b64 v[20:23], v31 offset0:64 offset1:80
	s_waitcnt lgkmcnt(3)
	v_fma_f64 v[58:59], -v[1:2], v[58:59], v[26:27]
	ds_read_b128 v[16:19], v3 offset:864
	s_waitcnt lgkmcnt(3)
	v_fma_f64 v[10:11], -v[1:2], v[10:11], v[24:25]
	s_waitcnt lgkmcnt(1)
	v_fma_f64 v[56:57], -v[1:2], v[56:57], v[22:23]
	v_fma_f64 v[22:23], -v[54:55], v[38:39], v[28:29]
	;; [unrolled: 1-line block ×5, first 2 shown]
	v_mul_f64 v[60:61], v[22:23], v[36:37]
	ds_read2_b64 v[22:25], v3 offset0:189 offset1:190
	ds_read2_b64 v[26:29], v3 offset0:187 offset1:188
	ds_read_b128 v[4:7], v3 offset:624
	ds_read2_b64 v[32:35], v3 offset0:157 offset1:158
	s_waitcnt lgkmcnt(3)
	v_fma_f64 v[24:25], -v[54:55], v[24:25], v[42:43]
	v_fma_f64 v[42:43], -v[54:55], v[8:9], v[10:11]
	ds_read_b128 v[8:11], v3 offset:608
	v_fma_f64 v[36:37], -v[60:61], v[46:47], v[38:39]
	s_waitcnt lgkmcnt(2)
	v_fma_f64 v[6:7], -v[1:2], v[6:7], v[20:21]
	v_fma_f64 v[14:15], -v[60:61], v[14:15], v[50:51]
	;; [unrolled: 1-line block ×3, first 2 shown]
	ds_read2_b64 v[20:23], v3 offset0:125 offset1:126
	s_waitcnt lgkmcnt(2)
	v_fma_f64 v[38:39], -v[54:55], v[34:35], v[48:49]
	v_mul_f64 v[44:45], v[36:37], v[44:45]
	ds_read_b128 v[34:37], v3 offset:1376
	v_fma_f64 v[48:49], -v[54:55], v[4:5], v[6:7]
	ds_read2_b64 v[4:7], v3 offset0:123 offset1:124
	s_waitcnt lgkmcnt(2)
	v_fma_f64 v[52:53], -v[54:55], v[22:23], v[58:59]
	ds_read2_b64 v[22:25], v3 offset0:93 offset1:94
	v_fma_f64 v[42:43], -v[60:61], v[18:19], v[42:43]
	v_fma_f64 v[58:59], -v[60:61], v[32:33], v[38:39]
	s_waitcnt lgkmcnt(2)
	v_fma_f64 v[32:33], -v[60:61], v[36:37], v[40:41]
	v_fma_f64 v[28:29], -v[44:45], v[28:29], v[46:47]
	s_waitcnt lgkmcnt(0)
	v_fma_f64 v[40:41], -v[54:55], v[24:25], v[56:57]
	ds_read_b128 v[36:39], v3 offset:1360
	v_fma_f64 v[46:47], -v[60:61], v[20:21], v[52:53]
	v_fma_f64 v[42:43], -v[44:45], v[16:17], v[42:43]
	;; [unrolled: 1-line block ×3, first 2 shown]
	v_mul_f64 v[52:53], v[28:29], v[26:27]
	v_fma_f64 v[22:23], -v[60:61], v[22:23], v[40:41]
	ds_read2_b64 v[18:21], v3 offset0:155 offset1:156
	ds_read2_b64 v[24:27], v3 offset0:153 offset1:154
	v_fma_f64 v[28:29], -v[60:61], v[10:11], v[48:49]
	v_fma_f64 v[40:41], -v[44:45], v[12:13], v[14:15]
	ds_read_b128 v[10:13], v3 offset:1104
	ds_read_b128 v[32:35], v3 offset:1088
	ds_read2_b64 v[14:17], v3 offset0:91 offset1:92
	s_waitcnt lgkmcnt(4)
	v_fma_f64 v[48:49], -v[44:45], v[20:21], v[58:59]
	v_fma_f64 v[38:39], -v[52:53], v[38:39], v[50:51]
	;; [unrolled: 1-line block ×3, first 2 shown]
	s_waitcnt lgkmcnt(0)
	v_fma_f64 v[50:51], -v[44:45], v[16:17], v[22:23]
	ds_read_b128 v[20:23], v3 offset:848
	v_fma_f64 v[28:29], -v[44:45], v[8:9], v[28:29]
	v_fma_f64 v[40:41], -v[52:53], v[12:13], v[40:41]
	ds_read2_b64 v[6:9], v3 offset0:89 offset1:90
	v_mul_f64 v[56:57], v[38:39], v[36:37]
	v_fma_f64 v[48:49], -v[52:53], v[18:19], v[48:49]
	ds_read2_b64 v[16:19], v31 offset0:32 offset1:48
	v_fma_f64 v[4:5], -v[52:53], v[4:5], v[46:47]
	ds_read_b128 v[36:39], v3 offset:592
	s_waitcnt lgkmcnt(3)
	v_fma_f64 v[22:23], -v[52:53], v[22:23], v[42:43]
	v_fma_f64 v[46:47], -v[52:53], v[14:15], v[50:51]
	ds_read2_b64 v[12:15], v3 offset0:31 offset1:63
	v_fma_f64 v[50:51], -v[56:57], v[10:11], v[40:41]
	s_waitcnt lgkmcnt(1)
	v_fma_f64 v[10:11], -v[52:53], v[38:39], v[28:29]
	ds_read_b128 v[40:43], v3 offset:576
	s_waitcnt lgkmcnt(1)
	v_fma_f64 v[14:15], -v[1:2], v[14:15], v[18:19]
	v_fma_f64 v[58:59], -v[56:57], v[20:21], v[22:23]
	ds_read2_b64 v[18:21], v3 offset0:61 offset1:62
	v_fma_f64 v[62:63], -v[56:57], v[36:37], v[10:11]
	ds_read2_b64 v[36:39], v3 offset0:59 offset1:60
	s_waitcnt lgkmcnt(1)
	v_fma_f64 v[10:11], -v[54:55], v[20:21], v[14:15]
	v_fma_f64 v[14:15], -v[56:57], v[26:27], v[48:49]
	;; [unrolled: 1-line block ×3, first 2 shown]
	ds_read2_b64 v[18:21], v3 offset0:121 offset1:122
	v_mul_f64 v[48:49], v[14:15], v[24:25]
	v_fma_f64 v[14:15], -v[56:57], v[8:9], v[46:47]
	ds_read2_b64 v[22:25], v3 offset0:119 offset1:120
	s_waitcnt lgkmcnt(1)
	v_fma_f64 v[4:5], -v[56:57], v[20:21], v[4:5]
	v_fma_f64 v[20:21], -v[44:45], v[38:39], v[10:11]
	ds_read2_b64 v[8:11], v31 offset1:16
	v_fma_f64 v[46:47], -v[48:49], v[6:7], v[14:15]
	v_fma_f64 v[38:39], -v[48:49], v[18:19], v[4:5]
	ds_read_b128 v[4:7], v3 offset:368
	s_waitcnt lgkmcnt(1)
	v_fma_f64 v[26:27], -v[1:2], v[12:13], v[10:11]
	v_fma_f64 v[18:19], -v[48:49], v[34:35], v[50:51]
	ds_read_b128 v[10:13], v3 offset:352
	v_fma_f64 v[20:21], -v[52:53], v[36:37], v[20:21]
	s_waitcnt lgkmcnt(1)
	v_fma_f64 v[6:7], -v[1:2], v[6:7], v[16:17]
	ds_read2_b64 v[14:17], v3 offset0:29 offset1:30
	v_mul_f64 v[36:37], v[18:19], v[32:33]
	s_waitcnt lgkmcnt(0)
	v_fma_f64 v[26:27], -v[54:55], v[16:17], v[26:27]
	ds_read2_b64 v[16:19], v3 offset0:57 offset1:58
	v_fma_f64 v[32:33], -v[54:55], v[4:5], v[6:7]
	ds_read_b128 v[4:7], v3 offset:832
	v_fma_f64 v[24:25], -v[36:37], v[24:25], v[38:39]
	v_fma_f64 v[34:35], -v[60:61], v[14:15], v[26:27]
	ds_read2_b64 v[26:29], v3 offset0:55 offset1:56
	s_waitcnt lgkmcnt(2)
	v_fma_f64 v[14:15], -v[56:57], v[18:19], v[20:21]
	s_waitcnt lgkmcnt(1)
	v_fma_f64 v[6:7], -v[48:49], v[6:7], v[58:59]
	v_fma_f64 v[18:19], -v[48:49], v[42:43], v[62:63]
	;; [unrolled: 1-line block ×3, first 2 shown]
	v_mul_f64 v[50:51], v[24:25], v[22:23]
	v_fma_f64 v[38:39], -v[48:49], v[16:17], v[14:15]
	v_fma_f64 v[42:43], -v[36:37], v[4:5], v[6:7]
	ds_read2_b64 v[4:7], v3 offset0:27 offset1:28
	ds_read2_b64 v[14:17], v3 offset0:25 offset1:26
	v_fma_f64 v[40:41], -v[36:37], v[40:41], v[18:19]
	ds_read_b128 v[18:21], v3 offset:112
	ds_read_b128 v[22:25], v3 offset:96
	s_waitcnt lgkmcnt(3)
	v_fma_f64 v[32:33], -v[44:45], v[6:7], v[34:35]
	v_fma_f64 v[34:35], -v[44:45], v[10:11], v[12:13]
	ds_read_b128 v[10:13], v3 offset:816
	s_waitcnt lgkmcnt(2)
	v_fma_f64 v[20:21], -v[1:2], v[20:21], v[8:9]
	ds_read2_b64 v[6:9], v3 offset0:87 offset1:88
	v_fma_f64 v[28:29], -v[36:37], v[28:29], v[38:39]
	v_fma_f64 v[32:33], -v[52:53], v[4:5], v[32:33]
	s_waitcnt lgkmcnt(0)
	v_fma_f64 v[4:5], -v[36:37], v[8:9], v[46:47]
	v_fma_f64 v[8:9], -v[50:51], v[12:13], v[42:43]
	;; [unrolled: 1-line block ×3, first 2 shown]
	ds_read2_b64 v[18:21], v3 offset0:85 offset1:86
	v_fma_f64 v[28:29], -v[50:51], v[26:27], v[28:29]
	v_fma_f64 v[16:17], -v[56:57], v[16:17], v[32:33]
	;; [unrolled: 1-line block ×3, first 2 shown]
	ds_read_b128 v[4:7], v3 offset:336
	v_fma_f64 v[24:25], -v[60:61], v[24:25], v[58:59]
	v_mul_f64 v[42:43], v[8:9], v[10:11]
	ds_read_b128 v[8:11], v3 offset:320
	s_waitcnt lgkmcnt(1)
	v_fma_f64 v[6:7], -v[52:53], v[6:7], v[34:35]
	v_fma_f64 v[32:33], -v[44:45], v[22:23], v[24:25]
	ds_read_b128 v[22:25], v3 offset:80
	v_fma_f64 v[20:21], -v[42:43], v[20:21], v[12:13]
	v_fma_f64 v[34:35], -v[56:57], v[4:5], v[6:7]
	ds_read_b128 v[4:7], v3 offset:560
	s_waitcnt lgkmcnt(0)
	v_fma_f64 v[6:7], -v[50:51], v[6:7], v[40:41]
	v_fma_f64 v[40:41], -v[48:49], v[14:15], v[16:17]
	v_mul_f64 v[46:47], v[20:21], v[18:19]
	ds_read2_b64 v[18:21], v3 offset0:21 offset1:22
	ds_read_b128 v[14:17], v3 offset:544
	v_fma_f64 v[38:39], -v[42:43], v[4:5], v[6:7]
	ds_read_b128 v[4:7], v3 offset:64
	v_fma_f64 v[32:33], -v[52:53], v[24:25], v[32:33]
	;; [unrolled: 2-line block ×3, first 2 shown]
	ds_read2_b64 v[10:13], v3 offset0:23 offset1:24
	s_waitcnt lgkmcnt(3)
	v_fma_f64 v[16:17], -v[46:47], v[16:17], v[38:39]
	s_waitcnt lgkmcnt(0)
	v_fma_f64 v[12:13], -v[36:37], v[12:13], v[40:41]
	v_fma_f64 v[22:23], -v[56:57], v[22:23], v[32:33]
	;; [unrolled: 1-line block ×3, first 2 shown]
	ds_read2_b64 v[32:35], v3 offset0:53 offset1:54
	v_fma_f64 v[38:39], -v[50:51], v[10:11], v[12:13]
	v_fma_f64 v[6:7], -v[48:49], v[6:7], v[22:23]
	;; [unrolled: 1-line block ×3, first 2 shown]
	ds_read2_b64 v[8:11], v3 offset0:51 offset1:52
	s_waitcnt lgkmcnt(1)
	v_fma_f64 v[12:13], -v[42:43], v[34:35], v[28:29]
	v_fma_f64 v[20:21], -v[42:43], v[20:21], v[38:39]
	;; [unrolled: 1-line block ×3, first 2 shown]
	v_mul_f64 v[24:25], v[16:17], v[14:15]
	v_fma_f64 v[16:17], -v[46:47], v[32:33], v[12:13]
	v_fma_f64 v[26:27], -v[36:37], v[4:5], v[6:7]
	ds_read_b128 v[4:7], v3 offset:288
	ds_read_b128 v[12:15], v3 offset:48
	v_fma_f64 v[20:21], -v[46:47], v[18:19], v[20:21]
	s_waitcnt lgkmcnt(1)
	v_fma_f64 v[6:7], -v[46:47], v[6:7], v[22:23]
	v_fma_f64 v[10:11], -v[24:25], v[10:11], v[16:17]
	s_waitcnt lgkmcnt(0)
	v_fma_f64 v[14:15], -v[50:51], v[14:15], v[26:27]
	v_fma_f64 v[22:23], -v[24:25], v[4:5], v[6:7]
	v_mul_f64 v[26:27], v[10:11], v[8:9]
	v_fma_f64 v[28:29], -v[42:43], v[12:13], v[14:15]
	ds_read2_b64 v[4:7], v3 offset0:19 offset1:20
	ds_read_b128 v[8:11], v3 offset:272
	ds_read_b128 v[12:15], v3 offset:32
	ds_read2_b64 v[16:19], v3 offset0:17 offset1:18
	s_waitcnt lgkmcnt(3)
	v_fma_f64 v[6:7], -v[24:25], v[6:7], v[20:21]
	s_waitcnt lgkmcnt(2)
	v_fma_f64 v[10:11], -v[26:27], v[10:11], v[22:23]
	;; [unrolled: 2-line block ×3, first 2 shown]
	v_fma_f64 v[20:21], -v[26:27], v[4:5], v[6:7]
	ds_read_b128 v[4:7], v3 offset:16
	v_mul_f64 v[8:9], v[10:11], v[8:9]
	v_fma_f64 v[10:11], -v[24:25], v[12:13], v[14:15]
	s_waitcnt lgkmcnt(1)
	v_fma_f64 v[12:13], -v[8:9], v[18:19], v[20:21]
	s_waitcnt lgkmcnt(0)
	v_fma_f64 v[6:7], -v[26:27], v[6:7], v[10:11]
	v_mul_f64 v[10:11], v[12:13], v[16:17]
	v_fma_f64 v[12:13], -v[8:9], v[4:5], v[6:7]
	ds_read_b128 v[3:6], v3
	s_waitcnt lgkmcnt(0)
	v_fma_f64 v[5:6], -v[10:11], v[5:6], v[12:13]
	v_mul_f64 v[3:4], v[5:6], v[3:4]
	ds_write2_b64 v31, v[54:55], v[1:2] offset0:224 offset1:240
	ds_write2_b64 v31, v[44:45], v[60:61] offset0:192 offset1:208
	;; [unrolled: 1-line block ×7, first 2 shown]
	ds_write2_b64 v31, v[3:4], v[10:11] offset1:16
	s_cmp_gt_i32 s5, -1
	s_cbranch_scc1 .LBB84_13
	s_branch .LBB84_35
.LBB84_12:
	s_mov_b32 s5, s4
	s_cmp_gt_i32 s5, -1
	s_cbranch_scc0 .LBB84_35
.LBB84_13:
	s_cmp_lt_u32 s5, 11
	s_cbranch_scc1 .LBB84_18
; %bb.14:
	s_lshl_b32 s8, s5, 7
	v_add_u32_e32 v25, s8, v31
	v_add_u32_e32 v1, 0xffffff80, v25
	v_add_u32_e32 v2, 0xffffff00, v25
	v_add_u32_e32 v3, 0xfffffe80, v25
	ds_read_b64 v[5:6], v25
	ds_read_b64 v[23:24], v1
	ds_read_b64 v[21:22], v2
	ds_read_b64 v[17:18], v3
	v_add_u32_e32 v1, 0xfffffe00, v25
	v_add_u32_e32 v2, 0xfffffd80, v25
	v_add_u32_e32 v3, 0xfffffd00, v25
	v_add_u32_e32 v4, 0xfffffc80, v25
	ds_read_b64 v[19:20], v1
	ds_read_b64 v[15:16], v2
	ds_read_b64 v[13:14], v3
	ds_read_b64 v[11:12], v4
	;; [unrolled: 8-line block ×3, first 2 shown]
	s_cmp_le_i32 s4, s5
	s_cbranch_scc1 .LBB84_17
; %bb.15:
	v_lshlrev_b32_e32 v26, 3, v0
	s_lshl_b32 s11, s22, 3
	v_lshl_or_b32 v26, s22, 7, v26
	s_add_i32 s8, s8, s11
	v_add_u32_e32 v26, 0x780, v26
	s_addk_i32 s8, 0xfa78
	s_mov_b32 s11, s4
.LBB84_16:                              ; =>This Inner Loop Header: Depth=1
	v_mov_b32_e32 v48, s8
	ds_read_b64 v[52:53], v26
	ds_read2_b64 v[27:30], v48 offset0:160 offset1:176
	ds_read2_b64 v[32:35], v48 offset0:128 offset1:144
	;; [unrolled: 1-line block ×5, first 2 shown]
	ds_read2_b64 v[48:51], v48 offset1:16
	s_add_i32 s11, s11, -1
	s_add_i32 s8, s8, -8
	s_cmp_gt_i32 s11, s5
	s_waitcnt lgkmcnt(5)
	v_fma_f64 v[5:6], -v[52:53], v[29:30], v[5:6]
	v_fma_f64 v[23:24], -v[52:53], v[27:28], v[23:24]
	s_waitcnt lgkmcnt(4)
	v_fma_f64 v[21:22], -v[52:53], v[34:35], v[21:22]
	v_fma_f64 v[17:18], -v[52:53], v[32:33], v[17:18]
	;; [unrolled: 3-line block ×6, first 2 shown]
	v_add_u32_e32 v26, 0xffffff80, v26
	s_cbranch_scc1 .LBB84_16
.LBB84_17:
	s_mul_i32 s8, s5, 0x88
	v_mov_b32_e32 v26, s8
	ds_read_b64 v[32:33], v26
	s_add_i32 s11, s5, -1
	s_lshl_b32 s8, s11, 7
	s_lshl_b32 s11, s11, 3
	s_add_i32 s11, s8, s11
	s_waitcnt lgkmcnt(0)
	v_mul_f64 v[5:6], v[5:6], v[32:33]
	v_mov_b32_e32 v26, s11
	ds_read2_b64 v[26:29], v26 offset1:1
	s_add_i32 s12, s5, -2
	s_lshl_b32 s11, s12, 7
	s_lshl_b32 s12, s12, 3
	s_add_i32 s12, s11, s12
	v_mov_b32_e32 v30, s12
	s_lshl_b32 s15, s5, 3
	ds_read2_b64 v[32:35], v30 offset1:1
	s_waitcnt lgkmcnt(1)
	v_fma_f64 v[23:24], -v[5:6], v[28:29], v[23:24]
	s_add_i32 s14, s11, s15
	v_mov_b32_e32 v28, s14
	ds_read_b64 v[28:29], v28
	s_add_i32 s13, s5, -3
	s_lshl_b32 s12, s13, 7
	s_add_i32 s14, s12, s15
	s_add_i32 s14, s14, -8
	s_waitcnt lgkmcnt(0)
	v_fma_f64 v[36:37], -v[5:6], v[28:29], v[21:22]
	v_mul_f64 v[38:39], v[23:24], v[26:27]
	v_mov_b32_e32 v21, s14
	ds_read2_b64 v[21:24], v21 offset1:1
	s_lshl_b32 s13, s13, 3
	s_add_i32 s13, s12, s13
	v_mov_b32_e32 v26, s13
	s_add_i32 s16, s5, -4
	ds_read2_b64 v[26:29], v26 offset1:1
	s_waitcnt lgkmcnt(1)
	v_fma_f64 v[17:18], -v[5:6], v[23:24], v[17:18]
	v_fma_f64 v[34:35], -v[38:39], v[34:35], v[36:37]
	s_lshl_b32 s13, s16, 7
	s_add_i32 s14, s13, s15
	v_mov_b32_e32 v23, s14
	ds_read_b64 v[36:37], v23
	s_add_i32 s14, s14, -16
	s_add_i32 s17, s5, -5
	v_fma_f64 v[17:18], -v[38:39], v[21:22], v[17:18]
	v_mov_b32_e32 v21, s14
	s_waitcnt lgkmcnt(0)
	v_fma_f64 v[19:20], -v[5:6], v[36:37], v[19:20]
	v_mul_f64 v[36:37], v[34:35], v[32:33]
	ds_read2_b64 v[21:24], v21 offset1:1
	s_lshl_b32 s14, s17, 7
	s_add_i32 s18, s14, s15
	s_add_i32 s19, s18, -8
	s_lshl_b32 s16, s16, 3
	s_add_i32 s16, s13, s16
	s_waitcnt lgkmcnt(0)
	v_fma_f64 v[23:24], -v[38:39], v[23:24], v[19:20]
	v_fma_f64 v[28:29], -v[36:37], v[28:29], v[17:18]
	v_mov_b32_e32 v17, s19
	ds_read2_b64 v[17:20], v17 offset1:1
	s_waitcnt lgkmcnt(0)
	v_fma_f64 v[15:16], -v[5:6], v[19:20], v[15:16]
	v_fma_f64 v[23:24], -v[36:37], v[21:22], v[23:24]
	v_mul_f64 v[40:41], v[28:29], v[26:27]
	v_mov_b32_e32 v19, s16
	ds_read2_b64 v[19:22], v19 offset1:1
	s_sub_i32 s16, s18, 24
	v_fma_f64 v[26:27], -v[38:39], v[17:18], v[15:16]
	v_mov_b32_e32 v15, s16
	s_lshl_b32 s16, s17, 3
	s_add_i32 s16, s14, s16
	s_add_i32 s17, s5, -6
	s_waitcnt lgkmcnt(0)
	v_fma_f64 v[32:33], -v[40:41], v[21:22], v[23:24]
	v_mov_b32_e32 v21, s16
	s_lshl_b32 s16, s17, 7
	s_add_i32 s18, s16, s15
	v_mov_b32_e32 v28, s18
	ds_read2_b64 v[15:18], v15 offset1:1
	ds_read2_b64 v[21:24], v21 offset1:1
	ds_read_b64 v[34:35], v28
	s_add_i32 s19, s18, -16
	v_mul_f64 v[42:43], v[32:33], v[19:20]
	s_waitcnt lgkmcnt(2)
	v_fma_f64 v[17:18], -v[36:37], v[17:18], v[26:27]
	v_mov_b32_e32 v26, s19
	s_waitcnt lgkmcnt(0)
	v_fma_f64 v[13:14], -v[5:6], v[34:35], v[13:14]
	ds_read2_b64 v[26:29], v26 offset1:1
	s_sub_i32 s18, s18, 32
	s_lshl_b32 s17, s17, 3
	s_add_i32 s19, s5, -7
	v_fma_f64 v[15:16], -v[40:41], v[15:16], v[17:18]
	s_waitcnt lgkmcnt(0)
	v_fma_f64 v[13:14], -v[38:39], v[28:29], v[13:14]
	v_fma_f64 v[23:24], -v[42:43], v[23:24], v[15:16]
	;; [unrolled: 1-line block ×3, first 2 shown]
	v_mov_b32_e32 v13, s18
	s_add_i32 s18, s16, s17
	s_lshl_b32 s17, s19, 7
	s_add_i32 s20, s17, s15
	s_add_i32 s21, s20, -8
	v_mov_b32_e32 v17, s21
	ds_read2_b64 v[13:16], v13 offset1:1
	ds_read2_b64 v[17:20], v17 offset1:1
	v_mov_b32_e32 v30, s18
	s_sub_i32 s18, s20, 24
	s_add_i32 s21, s5, -8
	s_waitcnt lgkmcnt(1)
	v_fma_f64 v[15:16], -v[40:41], v[15:16], v[44:45]
	s_waitcnt lgkmcnt(0)
	v_fma_f64 v[11:12], -v[5:6], v[19:20], v[11:12]
	v_mov_b32_e32 v26, s18
	s_lshl_b32 s18, s21, 7
	s_add_i32 s23, s18, s15
	ds_read2_b64 v[26:29], v26 offset1:1
	s_add_i32 s24, s23, -16
	s_lshl_b32 s19, s19, 3
	v_fma_f64 v[15:16], -v[42:43], v[13:14], v[15:16]
	v_fma_f64 v[11:12], -v[38:39], v[17:18], v[11:12]
	v_mov_b32_e32 v13, s23
	ds_read_b64 v[17:18], v13
	v_mul_f64 v[44:45], v[23:24], v[21:22]
	s_add_i32 s19, s17, s19
	ds_read2_b64 v[32:35], v30 offset1:1
	s_sub_i32 s20, s20, 40
	s_waitcnt lgkmcnt(1)
	v_fma_f64 v[9:10], -v[5:6], v[17:18], v[9:10]
	v_fma_f64 v[19:20], -v[36:37], v[28:29], v[11:12]
	v_mov_b32_e32 v11, s24
	ds_read2_b64 v[11:14], v11 offset1:1
	v_mov_b32_e32 v17, s19
	s_waitcnt lgkmcnt(1)
	v_fma_f64 v[34:35], -v[44:45], v[34:35], v[15:16]
	s_sub_i32 s19, s23, 32
	s_sub_i32 s23, s23, 48
	s_lshl_b32 s21, s21, 3
	v_fma_f64 v[21:22], -v[40:41], v[26:27], v[19:20]
	ds_read2_b64 v[17:20], v17 offset1:1
	s_waitcnt lgkmcnt(1)
	v_fma_f64 v[9:10], -v[38:39], v[13:14], v[9:10]
	v_mov_b32_e32 v13, s20
	ds_read2_b64 v[13:16], v13 offset1:1
	s_add_i32 s20, s5, -9
	v_mov_b32_e32 v26, s23
	ds_read2_b64 v[26:29], v26 offset1:1
	v_mul_f64 v[32:33], v[34:35], v[32:33]
	s_add_i32 s21, s18, s21
	v_fma_f64 v[46:47], -v[36:37], v[11:12], v[9:10]
	v_mov_b32_e32 v9, s19
	s_lshl_b32 s19, s20, 7
	s_add_i32 s24, s19, s15
	s_add_i32 s25, s24, -8
	ds_read2_b64 v[9:12], v9 offset1:1
	s_waitcnt lgkmcnt(2)
	v_fma_f64 v[15:16], -v[42:43], v[15:16], v[21:22]
	v_mov_b32_e32 v21, s25
	ds_read2_b64 v[21:24], v21 offset1:1
	s_sub_i32 s23, s24, 24
	s_waitcnt lgkmcnt(1)
	v_fma_f64 v[11:12], -v[40:41], v[11:12], v[46:47]
	s_lshl_b32 s20, s20, 3
	s_add_i32 s20, s19, s20
	s_waitcnt lgkmcnt(0)
	v_fma_f64 v[7:8], -v[5:6], v[23:24], v[7:8]
	v_fma_f64 v[15:16], -v[44:45], v[13:14], v[15:16]
	;; [unrolled: 1-line block ×4, first 2 shown]
	v_mov_b32_e32 v7, s23
	ds_read2_b64 v[7:10], v7 offset1:1
	s_sub_i32 s23, s24, 40
	v_mov_b32_e32 v11, s23
	ds_read2_b64 v[11:14], v11 offset1:1
	s_add_i32 s23, s5, -10
	s_lshl_b32 s25, s23, 7
	s_waitcnt lgkmcnt(1)
	v_fma_f64 v[9:10], -v[36:37], v[9:10], v[21:22]
	s_add_i32 s26, s25, s15
	v_mov_b32_e32 v21, s26
	ds_read_b64 v[21:22], v21
	v_fma_f64 v[15:16], -v[32:33], v[19:20], v[15:16]
	v_fma_f64 v[19:20], -v[44:45], v[28:29], v[23:24]
	s_add_i32 s27, s26, -16
	v_fma_f64 v[23:24], -v[40:41], v[7:8], v[9:10]
	s_waitcnt lgkmcnt(0)
	v_fma_f64 v[3:4], -v[5:6], v[21:22], v[3:4]
	v_mov_b32_e32 v7, s27
	ds_read2_b64 v[7:10], v7 offset1:1
	v_mul_f64 v[28:29], v[15:16], v[17:18]
	v_fma_f64 v[17:18], -v[32:33], v[26:27], v[19:20]
	v_fma_f64 v[19:20], -v[42:43], v[13:14], v[23:24]
	v_mov_b32_e32 v13, s21
	ds_read2_b64 v[13:16], v13 offset1:1
	s_waitcnt lgkmcnt(1)
	v_fma_f64 v[3:4], -v[38:39], v[9:10], v[3:4]
	s_sub_i32 s21, s24, 56
	v_mov_b32_e32 v23, s21
	s_sub_i32 s21, s26, 32
	s_waitcnt lgkmcnt(0)
	v_fma_f64 v[26:27], -v[28:29], v[15:16], v[17:18]
	v_fma_f64 v[34:35], -v[44:45], v[11:12], v[19:20]
	v_fma_f64 v[3:4], -v[36:37], v[7:8], v[3:4]
	v_mov_b32_e32 v7, s21
	s_sub_i32 s21, s26, 48
	v_mov_b32_e32 v11, s21
	s_add_i32 s21, s5, -11
	s_lshl_b32 s24, s21, 7
	s_add_i32 s15, s24, s15
	s_add_i32 s27, s15, -8
	ds_read2_b64 v[7:10], v7 offset1:1
	ds_read2_b64 v[15:18], v11 offset1:1
	v_mov_b32_e32 v11, s27
	ds_read2_b64 v[19:22], v11 offset1:1
	s_sub_i32 s27, s15, 24
	s_waitcnt lgkmcnt(2)
	v_fma_f64 v[46:47], -v[40:41], v[9:10], v[3:4]
	v_mov_b32_e32 v3, s27
	ds_read2_b64 v[9:12], v3 offset1:1
	s_waitcnt lgkmcnt(1)
	v_fma_f64 v[48:49], -v[5:6], v[21:22], v[1:2]
	ds_read2_b64 v[1:4], v23 offset1:1
	v_mul_f64 v[26:27], v[26:27], v[13:14]
	v_mov_b32_e32 v21, s20
	ds_read2_b64 v[21:24], v21 offset1:1
	v_fma_f64 v[7:8], -v[42:43], v[7:8], v[46:47]
	s_waitcnt lgkmcnt(1)
	v_fma_f64 v[3:4], -v[32:33], v[3:4], v[34:35]
	s_sub_i32 s20, s15, 40
	v_fma_f64 v[19:20], -v[38:39], v[19:20], v[48:49]
	ds_write_b64 v25, v[5:6]
	s_add_i32 s5, s5, -12
	v_fma_f64 v[1:2], -v[28:29], v[1:2], v[3:4]
	v_fma_f64 v[3:4], -v[44:45], v[17:18], v[7:8]
	;; [unrolled: 1-line block ×3, first 2 shown]
	s_waitcnt lgkmcnt(1)
	v_fma_f64 v[19:20], -v[26:27], v[23:24], v[1:2]
	v_mov_b32_e32 v1, s20
	v_fma_f64 v[11:12], -v[40:41], v[9:10], v[7:8]
	v_fma_f64 v[23:24], -v[32:33], v[15:16], v[3:4]
	ds_read2_b64 v[1:4], v1 offset1:1
	s_sub_i32 s20, s26, 64
	s_sub_i32 s26, s15, 56
	v_mov_b32_e32 v7, s26
	ds_read2_b64 v[7:10], v7 offset1:1
	v_mul_f64 v[19:20], v[19:20], v[21:22]
	s_waitcnt lgkmcnt(1)
	v_fma_f64 v[3:4], -v[42:43], v[3:4], v[11:12]
	v_mov_b32_e32 v11, s20
	ds_read2_b64 v[11:14], v11 offset1:1
	s_lshl_b32 s20, s23, 3
	s_add_i32 s20, s25, s20
	v_mov_b32_e32 v15, s20
	ds_read2_b64 v[15:18], v15 offset1:1
	s_waitcnt lgkmcnt(1)
	v_fma_f64 v[13:14], -v[28:29], v[13:14], v[23:24]
	v_fma_f64 v[1:2], -v[44:45], v[1:2], v[3:4]
	s_addk_i32 s15, 0xffb8
	v_fma_f64 v[3:4], -v[26:27], v[11:12], v[13:14]
	v_fma_f64 v[1:2], -v[32:33], v[9:10], v[1:2]
	s_waitcnt lgkmcnt(0)
	v_fma_f64 v[11:12], -v[19:20], v[17:18], v[3:4]
	v_fma_f64 v[13:14], -v[28:29], v[7:8], v[1:2]
	v_mov_b32_e32 v1, s15
	ds_read2_b64 v[1:4], v1 offset1:1
	s_lshl_b32 s15, s21, 3
	s_add_i32 s15, s24, s15
	v_mov_b32_e32 v7, s15
	ds_read2_b64 v[7:10], v7 offset1:1
	v_mul_f64 v[5:6], v[11:12], v[15:16]
	s_waitcnt lgkmcnt(1)
	v_fma_f64 v[3:4], -v[26:27], v[3:4], v[13:14]
	v_fma_f64 v[1:2], -v[19:20], v[1:2], v[3:4]
	v_add_u32_e32 v3, s8, v31
	ds_write_b64 v3, v[38:39]
	v_add_u32_e32 v3, s11, v31
	ds_write_b64 v3, v[36:37]
	;; [unrolled: 2-line block ×3, first 2 shown]
	v_add_u32_e32 v3, s13, v31
	s_waitcnt lgkmcnt(3)
	v_fma_f64 v[1:2], -v[5:6], v[9:10], v[1:2]
	ds_write_b64 v3, v[42:43]
	v_add_u32_e32 v3, s14, v31
	ds_write_b64 v3, v[44:45]
	v_add_u32_e32 v3, s16, v31
	;; [unrolled: 2-line block ×3, first 2 shown]
	ds_write_b64 v3, v[28:29]
	v_mul_f64 v[1:2], v[1:2], v[7:8]
	v_add_u32_e32 v3, s18, v31
	ds_write_b64 v3, v[26:27]
	v_add_u32_e32 v3, s19, v31
	ds_write_b64 v3, v[19:20]
	;; [unrolled: 2-line block ×4, first 2 shown]
.LBB84_18:
	s_cmp_lt_i32 s5, 0
	s_cbranch_scc1 .LBB84_35
; %bb.19:
	s_and_b32 s8, s5, 3
	s_cmp_eq_u32 s8, 3
	v_lshlrev_b32_e32 v3, 3, v0
	s_mov_b32 s8, s5
	s_cbranch_scc1 .LBB84_24
; %bb.20:
	s_add_i32 s8, s5, 1
	s_and_b32 s11, s8, 3
	s_lshl_b32 s8, s5, 7
	s_lshl_b32 s12, s22, 3
	s_add_i32 s8, s8, s12
	v_lshl_or_b32 v1, s22, 7, v3
	s_add_i32 s12, s8, -8
	v_add_u32_e32 v4, 0x780, v1
	s_mov_b32 s13, 0
	s_mov_b32 s8, s5
	s_branch .LBB84_22
.LBB84_21:                              ;   in Loop: Header=BB84_22 Depth=1
	s_mul_i32 s14, s8, 0x88
	v_mov_b32_e32 v6, s14
	ds_read_b64 v[6:7], v6
	s_add_i32 s8, s8, -1
	s_add_i32 s13, s13, 1
	s_addk_i32 s12, 0xff80
	s_cmp_lg_u32 s13, s11
	s_waitcnt lgkmcnt(0)
	v_mul_f64 v[1:2], v[1:2], v[6:7]
	ds_write_b64 v5, v[1:2]
	s_cbranch_scc0 .LBB84_24
.LBB84_22:                              ; =>This Loop Header: Depth=1
                                        ;     Child Loop BB84_23 Depth 2
	s_lshl_b32 s14, s8, 7
	v_add_u32_e32 v5, s14, v31
	ds_read_b64 v[1:2], v5
	s_cmp_le_i32 s4, s8
	v_mov_b32_e32 v6, v4
	s_mov_b32 s14, s12
	s_mov_b32 s15, s4
	s_cbranch_scc1 .LBB84_21
.LBB84_23:                              ;   Parent Loop BB84_22 Depth=1
                                        ; =>  This Inner Loop Header: Depth=2
	v_mov_b32_e32 v9, s14
	ds_read_b64 v[7:8], v6
	ds_read_b64 v[9:10], v9
	s_add_i32 s15, s15, -1
	s_add_i32 s14, s14, -8
	s_cmp_gt_i32 s15, s8
	v_add_u32_e32 v6, 0xffffff80, v6
	s_waitcnt lgkmcnt(0)
	v_fma_f64 v[1:2], -v[7:8], v[9:10], v[1:2]
	s_cbranch_scc1 .LBB84_23
	s_branch .LBB84_21
.LBB84_24:
	s_cmp_lt_u32 s5, 3
	s_cbranch_scc1 .LBB84_35
; %bb.25:
	s_lshl_b32 s5, s8, 7
	s_lshl_b32 s11, s22, 3
	s_add_i32 s13, s5, s11
	v_lshl_or_b32 v1, s22, 7, v3
	s_add_i32 s5, s13, -8
	v_add_u32_e32 v5, 0x780, v1
	s_add_i32 s11, s13, 0xffffff78
	s_add_i32 s12, s13, 0xfffffef8
	s_addk_i32 s13, 0xfe78
	s_branch .LBB84_27
.LBB84_26:                              ;   in Loop: Header=BB84_27 Depth=1
	s_addk_i32 s14, 0xff78
	v_mov_b32_e32 v3, s14
	ds_read_b64 v[3:4], v3
	s_add_i32 s14, s8, -4
	s_addk_i32 s5, 0xfe00
	s_addk_i32 s11, 0xfe00
	;; [unrolled: 1-line block ×3, first 2 shown]
	s_waitcnt lgkmcnt(0)
	v_mul_f64 v[1:2], v[1:2], v[3:4]
	s_addk_i32 s13, 0xfe00
	s_cmp_lt_i32 s8, 4
	s_mov_b32 s8, s14
	ds_write_b64 v6, v[1:2]
	s_cbranch_scc1 .LBB84_35
.LBB84_27:                              ; =>This Loop Header: Depth=1
                                        ;     Child Loop BB84_28 Depth 2
                                        ;     Child Loop BB84_30 Depth 2
	;; [unrolled: 1-line block ×4, first 2 shown]
	s_lshl_b32 s15, s8, 7
	v_add_u32_e32 v7, s15, v31
	ds_read_b64 v[3:4], v7
	s_cmp_le_i32 s4, s8
	v_mov_b32_e32 v1, v5
	s_mov_b32 s14, s5
	s_mov_b32 s16, s4
	s_cbranch_scc1 .LBB84_29
.LBB84_28:                              ;   Parent Loop BB84_27 Depth=1
                                        ; =>  This Inner Loop Header: Depth=2
	v_mov_b32_e32 v2, s14
	ds_read_b64 v[8:9], v1
	ds_read_b64 v[10:11], v2
	s_add_i32 s16, s16, -1
	s_add_i32 s14, s14, -8
	s_cmp_gt_i32 s16, s8
	v_add_u32_e32 v1, 0xffffff80, v1
	s_waitcnt lgkmcnt(0)
	v_fma_f64 v[3:4], -v[8:9], v[10:11], v[3:4]
	s_cbranch_scc1 .LBB84_28
.LBB84_29:                              ;   in Loop: Header=BB84_27 Depth=1
	s_mul_i32 s14, s8, 0x88
	v_mov_b32_e32 v1, s14
	ds_read_b64 v[8:9], v1
	s_addk_i32 s15, 0xff80
	v_add_u32_e32 v6, s15, v31
	ds_read_b64 v[1:2], v6
	s_mov_b32 s15, s11
	s_waitcnt lgkmcnt(1)
	v_mul_f64 v[8:9], v[3:4], v[8:9]
	v_mov_b32_e32 v3, v5
	s_cmp_le_i32 s22, s8
	s_mov_b32 s16, s22
	ds_write_b64 v7, v[8:9]
	s_cbranch_scc1 .LBB84_31
.LBB84_30:                              ;   Parent Loop BB84_27 Depth=1
                                        ; =>  This Inner Loop Header: Depth=2
	v_mov_b32_e32 v4, s15
	ds_read_b64 v[7:8], v3
	ds_read_b64 v[9:10], v4
	s_add_i32 s16, s16, -1
	s_add_i32 s15, s15, -8
	s_cmp_gt_i32 s16, s8
	v_add_u32_e32 v3, 0xffffff80, v3
	s_waitcnt lgkmcnt(0)
	v_fma_f64 v[1:2], -v[7:8], v[9:10], v[1:2]
	s_cbranch_scc1 .LBB84_30
.LBB84_31:                              ;   in Loop: Header=BB84_27 Depth=1
	s_addk_i32 s14, 0xff78
	v_mov_b32_e32 v3, s14
	ds_read_b64 v[8:9], v3
	s_add_i32 s15, s8, -2
	s_lshl_b32 s16, s15, 7
	v_add_u32_e32 v7, s16, v31
	ds_read_b64 v[3:4], v7
	s_waitcnt lgkmcnt(1)
	v_mul_f64 v[8:9], v[1:2], v[8:9]
	v_mov_b32_e32 v1, v5
	s_mov_b32 s16, s12
	s_cmp_le_i32 s4, s15
	s_mov_b32 s17, s4
	ds_write_b64 v6, v[8:9]
	s_cbranch_scc1 .LBB84_33
.LBB84_32:                              ;   Parent Loop BB84_27 Depth=1
                                        ; =>  This Inner Loop Header: Depth=2
	v_mov_b32_e32 v2, s16
	ds_read_b64 v[8:9], v1
	ds_read_b64 v[10:11], v2
	s_add_i32 s17, s17, -1
	s_add_i32 s16, s16, -8
	s_cmp_gt_i32 s17, s15
	v_add_u32_e32 v1, 0xffffff80, v1
	s_waitcnt lgkmcnt(0)
	v_fma_f64 v[3:4], -v[8:9], v[10:11], v[3:4]
	s_cbranch_scc1 .LBB84_32
.LBB84_33:                              ;   in Loop: Header=BB84_27 Depth=1
	s_addk_i32 s14, 0xff78
	v_mov_b32_e32 v1, s14
	ds_read_b64 v[8:9], v1
	s_add_i32 s15, s8, -3
	s_lshl_b32 s16, s15, 7
	v_add_u32_e32 v6, s16, v31
	ds_read_b64 v[1:2], v6
	s_waitcnt lgkmcnt(1)
	v_mul_f64 v[8:9], v[3:4], v[8:9]
	v_mov_b32_e32 v3, v5
	s_mov_b32 s16, s13
	s_cmp_le_i32 s4, s15
	s_mov_b32 s17, s4
	ds_write_b64 v7, v[8:9]
	s_cbranch_scc1 .LBB84_26
.LBB84_34:                              ;   Parent Loop BB84_27 Depth=1
                                        ; =>  This Inner Loop Header: Depth=2
	v_mov_b32_e32 v4, s16
	ds_read_b64 v[7:8], v3
	ds_read_b64 v[9:10], v4
	s_add_i32 s17, s17, -1
	s_add_i32 s16, s16, -8
	s_cmp_gt_i32 s17, s15
	v_add_u32_e32 v3, 0xffffff80, v3
	s_waitcnt lgkmcnt(0)
	v_fma_f64 v[1:2], -v[7:8], v[9:10], v[1:2]
	s_cbranch_scc1 .LBB84_34
	s_branch .LBB84_26
.LBB84_35:
	s_mov_b64 s[4:5], 0
.LBB84_36:
	s_and_b64 vcc, exec, s[4:5]
	s_cbranch_vccz .LBB84_50
; %bb.37:
	s_cmp_gt_i32 s10, 15
	s_cselect_b64 s[4:5], -1, 0
	s_and_b64 vcc, exec, s[4:5]
	s_cbranch_vccz .LBB84_39
; %bb.38:
	v_mov_b32_e32 v32, 0
	ds_read2_b64 v[5:8], v31 offset1:16
	ds_read2_b64 v[11:14], v31 offset0:32 offset1:48
	ds_read2_b64 v[15:18], v31 offset0:64 offset1:80
	;; [unrolled: 1-line block ×7, first 2 shown]
	ds_read_b128 v[37:40], v32
	s_mov_b32 s8, 16
	s_waitcnt lgkmcnt(0)
	v_mul_f64 v[9:10], v[5:6], v[37:38]
	v_fma_f64 v[37:38], -v[9:10], v[39:40], v[7:8]
	ds_read2_b64 v[5:8], v32 offset0:17 offset1:18
	s_waitcnt lgkmcnt(0)
	v_mul_f64 v[5:6], v[37:38], v[5:6]
	ds_write2_b64 v31, v[9:10], v[5:6] offset1:16
	ds_read_b128 v[37:40], v32 offset:16
	ds_read_b128 v[41:44], v32 offset:32
	;; [unrolled: 1-line block ×3, first 2 shown]
	s_waitcnt lgkmcnt(2)
	v_fma_f64 v[11:12], -v[9:10], v[37:38], v[11:12]
	v_fma_f64 v[37:38], -v[9:10], v[39:40], v[13:14]
	s_waitcnt lgkmcnt(1)
	v_fma_f64 v[15:16], -v[9:10], v[41:42], v[15:16]
	v_fma_f64 v[17:18], -v[9:10], v[43:44], v[17:18]
	ds_read2_b64 v[41:44], v32 offset0:21 offset1:22
	v_fma_f64 v[7:8], -v[5:6], v[7:8], v[11:12]
	ds_read2_b64 v[11:14], v32 offset0:19 offset1:20
	s_waitcnt lgkmcnt(1)
	v_fma_f64 v[17:18], -v[5:6], v[41:42], v[17:18]
	s_waitcnt lgkmcnt(0)
	v_fma_f64 v[11:12], -v[5:6], v[11:12], v[37:38]
	ds_read2_b64 v[37:40], v32 offset0:51 offset1:52
	v_mul_f64 v[7:8], v[7:8], v[45:46]
	v_fma_f64 v[11:12], -v[7:8], v[47:48], v[11:12]
	s_waitcnt lgkmcnt(0)
	v_mul_f64 v[11:12], v[11:12], v[37:38]
	v_fma_f64 v[37:38], -v[5:6], v[13:14], v[15:16]
	ds_read_b128 v[13:16], v32 offset:288
	ds_write2_b64 v31, v[7:8], v[11:12] offset0:32 offset1:48
	s_waitcnt lgkmcnt(1)
	v_fma_f64 v[13:14], -v[7:8], v[13:14], v[37:38]
	v_fma_f64 v[13:14], -v[11:12], v[39:40], v[13:14]
	ds_read_b128 v[37:40], v32 offset:544
	s_waitcnt lgkmcnt(0)
	v_mul_f64 v[13:14], v[13:14], v[37:38]
	v_fma_f64 v[37:38], -v[7:8], v[15:16], v[17:18]
	ds_read2_b64 v[15:18], v32 offset0:53 offset1:54
	s_waitcnt lgkmcnt(0)
	v_fma_f64 v[15:16], -v[11:12], v[15:16], v[37:38]
	v_fma_f64 v[15:16], -v[13:14], v[39:40], v[15:16]
	ds_read2_b64 v[37:40], v32 offset0:85 offset1:86
	s_waitcnt lgkmcnt(0)
	v_mul_f64 v[15:16], v[15:16], v[37:38]
	ds_write2_b64 v31, v[13:14], v[15:16] offset0:64 offset1:80
	ds_read_b128 v[45:48], v32 offset:48
	ds_read_b128 v[49:52], v32 offset:64
	s_waitcnt lgkmcnt(1)
	v_fma_f64 v[19:20], -v[9:10], v[45:46], v[19:20]
	v_fma_f64 v[21:22], -v[9:10], v[47:48], v[21:22]
	s_waitcnt lgkmcnt(0)
	v_fma_f64 v[23:24], -v[9:10], v[49:50], v[23:24]
	ds_read2_b64 v[45:48], v32 offset0:23 offset1:24
	v_fma_f64 v[25:26], -v[9:10], v[51:52], v[25:26]
	ds_read2_b64 v[49:52], v32 offset0:25 offset1:26
	v_fma_f64 v[19:20], -v[5:6], v[43:44], v[19:20]
	ds_read_b128 v[41:44], v32 offset:304
	s_waitcnt lgkmcnt(2)
	v_fma_f64 v[21:22], -v[5:6], v[45:46], v[21:22]
	v_fma_f64 v[23:24], -v[5:6], v[47:48], v[23:24]
	ds_read_b128 v[45:48], v32 offset:320
	s_waitcnt lgkmcnt(2)
	v_fma_f64 v[25:26], -v[5:6], v[49:50], v[25:26]
	s_waitcnt lgkmcnt(1)
	v_fma_f64 v[19:20], -v[7:8], v[41:42], v[19:20]
	v_fma_f64 v[21:22], -v[7:8], v[43:44], v[21:22]
	s_waitcnt lgkmcnt(0)
	v_fma_f64 v[23:24], -v[7:8], v[45:46], v[23:24]
	ds_read2_b64 v[41:44], v32 offset0:55 offset1:56
	v_fma_f64 v[25:26], -v[7:8], v[47:48], v[25:26]
	ds_read2_b64 v[45:48], v32 offset0:57 offset1:58
	v_fma_f64 v[37:38], -v[11:12], v[17:18], v[19:20]
	ds_read_b128 v[17:20], v32 offset:560
	s_waitcnt lgkmcnt(2)
	v_fma_f64 v[21:22], -v[11:12], v[41:42], v[21:22]
	v_fma_f64 v[23:24], -v[11:12], v[43:44], v[23:24]
	ds_read_b128 v[41:44], v32 offset:576
	s_waitcnt lgkmcnt(2)
	v_fma_f64 v[25:26], -v[11:12], v[45:46], v[25:26]
	s_waitcnt lgkmcnt(1)
	v_fma_f64 v[17:18], -v[13:14], v[17:18], v[37:38]
	;; [unrolled: 2-line block ×3, first 2 shown]
	v_fma_f64 v[25:26], -v[13:14], v[43:44], v[25:26]
	ds_read2_b64 v[41:44], v32 offset0:89 offset1:90
	v_fma_f64 v[17:18], -v[15:16], v[39:40], v[17:18]
	ds_read_b128 v[37:40], v32 offset:816
	s_waitcnt lgkmcnt(1)
	v_fma_f64 v[25:26], -v[15:16], v[41:42], v[25:26]
	s_waitcnt lgkmcnt(0)
	v_mul_f64 v[17:18], v[17:18], v[37:38]
	v_fma_f64 v[37:38], -v[13:14], v[19:20], v[21:22]
	ds_read2_b64 v[19:22], v32 offset0:87 offset1:88
	s_waitcnt lgkmcnt(0)
	v_fma_f64 v[19:20], -v[15:16], v[19:20], v[37:38]
	v_fma_f64 v[19:20], -v[17:18], v[39:40], v[19:20]
	ds_read2_b64 v[37:40], v32 offset0:119 offset1:120
	s_waitcnt lgkmcnt(0)
	v_mul_f64 v[19:20], v[19:20], v[37:38]
	v_fma_f64 v[37:38], -v[15:16], v[21:22], v[23:24]
	ds_read_b128 v[21:24], v32 offset:832
	ds_write2_b64 v31, v[17:18], v[19:20] offset0:96 offset1:112
	s_waitcnt lgkmcnt(1)
	v_fma_f64 v[21:22], -v[17:18], v[21:22], v[37:38]
	v_fma_f64 v[21:22], -v[19:20], v[39:40], v[21:22]
	ds_read_b128 v[37:40], v32 offset:1088
	s_waitcnt lgkmcnt(0)
	v_mul_f64 v[21:22], v[21:22], v[37:38]
	v_fma_f64 v[37:38], -v[17:18], v[23:24], v[25:26]
	ds_read2_b64 v[23:26], v32 offset0:121 offset1:122
	s_waitcnt lgkmcnt(0)
	v_fma_f64 v[23:24], -v[19:20], v[23:24], v[37:38]
	v_fma_f64 v[23:24], -v[21:22], v[39:40], v[23:24]
	ds_read2_b64 v[37:40], v32 offset0:153 offset1:154
	s_waitcnt lgkmcnt(0)
	v_mul_f64 v[23:24], v[23:24], v[37:38]
	ds_write2_b64 v31, v[21:22], v[23:24] offset0:128 offset1:144
	ds_read_b128 v[53:56], v32 offset:80
	ds_read_b128 v[57:60], v32 offset:96
	;; [unrolled: 1-line block ×3, first 2 shown]
	s_waitcnt lgkmcnt(2)
	v_fma_f64 v[27:28], -v[9:10], v[53:54], v[27:28]
	v_fma_f64 v[29:30], -v[9:10], v[55:56], v[29:30]
	ds_read2_b64 v[53:56], v32 offset0:27 offset1:28
	s_waitcnt lgkmcnt(2)
	v_fma_f64 v[33:34], -v[9:10], v[57:58], v[33:34]
	v_fma_f64 v[27:28], -v[5:6], v[51:52], v[27:28]
	ds_read_b128 v[49:52], v32 offset:336
	s_waitcnt lgkmcnt(1)
	v_fma_f64 v[29:30], -v[5:6], v[53:54], v[29:30]
	v_fma_f64 v[33:34], -v[5:6], v[55:56], v[33:34]
	ds_read_b128 v[53:56], v32 offset:352
	s_waitcnt lgkmcnt(1)
	v_fma_f64 v[27:28], -v[7:8], v[49:50], v[27:28]
	v_fma_f64 v[29:30], -v[7:8], v[51:52], v[29:30]
	ds_read2_b64 v[49:52], v32 offset0:59 offset1:60
	s_waitcnt lgkmcnt(1)
	v_fma_f64 v[33:34], -v[7:8], v[53:54], v[33:34]
	v_fma_f64 v[27:28], -v[11:12], v[47:48], v[27:28]
	ds_read_b128 v[45:48], v32 offset:592
	s_waitcnt lgkmcnt(1)
	v_fma_f64 v[29:30], -v[11:12], v[49:50], v[29:30]
	v_fma_f64 v[33:34], -v[11:12], v[51:52], v[33:34]
	ds_read_b128 v[49:52], v32 offset:608
	;; [unrolled: 12-line block ×4, first 2 shown]
	s_waitcnt lgkmcnt(1)
	v_fma_f64 v[25:26], -v[21:22], v[25:26], v[37:38]
	s_waitcnt lgkmcnt(0)
	v_fma_f64 v[33:34], -v[21:22], v[41:42], v[33:34]
	v_fma_f64 v[25:26], -v[23:24], v[39:40], v[25:26]
	ds_read_b128 v[37:40], v32 offset:1360
	s_waitcnt lgkmcnt(0)
	v_mul_f64 v[25:26], v[25:26], v[37:38]
	v_fma_f64 v[37:38], -v[21:22], v[27:28], v[29:30]
	ds_read2_b64 v[27:30], v32 offset0:155 offset1:156
	s_waitcnt lgkmcnt(0)
	v_fma_f64 v[29:30], -v[23:24], v[29:30], v[33:34]
	v_fma_f64 v[27:28], -v[23:24], v[27:28], v[37:38]
	v_fma_f64 v[29:30], -v[25:26], v[61:62], v[29:30]
	v_fma_f64 v[27:28], -v[25:26], v[39:40], v[27:28]
	ds_read2_b64 v[37:40], v32 offset0:187 offset1:188
	s_waitcnt lgkmcnt(0)
	v_mul_f64 v[27:28], v[27:28], v[37:38]
	v_fma_f64 v[29:30], -v[27:28], v[39:40], v[29:30]
	ds_read_b128 v[37:40], v32 offset:1632
	ds_write2_b64 v31, v[25:26], v[27:28] offset0:160 offset1:176
	s_waitcnt lgkmcnt(1)
	v_mul_f64 v[29:30], v[29:30], v[37:38]
	v_fma_f64 v[37:38], -v[9:10], v[59:60], v[35:36]
	ds_read2_b64 v[33:36], v32 offset0:29 offset1:30
	ds_read2_b64 v[57:60], v32 offset0:189 offset1:190
	s_waitcnt lgkmcnt(1)
	v_fma_f64 v[33:34], -v[5:6], v[33:34], v[37:38]
	v_fma_f64 v[33:34], -v[7:8], v[55:56], v[33:34]
	ds_read2_b64 v[53:56], v32 offset0:61 offset1:62
	s_waitcnt lgkmcnt(0)
	v_fma_f64 v[33:34], -v[11:12], v[53:54], v[33:34]
	v_fma_f64 v[33:34], -v[13:14], v[51:52], v[33:34]
	;; [unrolled: 4-line block ×5, first 2 shown]
	ds_read_b128 v[61:64], v32 offset:112
	s_waitcnt lgkmcnt(0)
	v_fma_f64 v[1:2], -v[9:10], v[61:62], v[1:2]
	v_fma_f64 v[9:10], -v[9:10], v[63:64], v[3:4]
	;; [unrolled: 1-line block ×5, first 2 shown]
	ds_read2_b64 v[37:40], v32 offset0:221 offset1:222
	s_waitcnt lgkmcnt(0)
	v_mul_f64 v[65:66], v[33:34], v[37:38]
	ds_read_b128 v[33:36], v32 offset:368
	s_waitcnt lgkmcnt(0)
	v_fma_f64 v[1:2], -v[7:8], v[33:34], v[1:2]
	ds_write2_b64 v31, v[29:30], v[65:66] offset0:192 offset1:208
	v_fma_f64 v[1:2], -v[11:12], v[55:56], v[1:2]
	ds_read_b128 v[53:56], v32 offset:624
	s_waitcnt lgkmcnt(0)
	v_fma_f64 v[1:2], -v[13:14], v[53:54], v[1:2]
	v_fma_f64 v[1:2], -v[15:16], v[51:52], v[1:2]
	ds_read_b128 v[49:52], v32 offset:880
	s_waitcnt lgkmcnt(0)
	v_fma_f64 v[1:2], -v[17:18], v[49:50], v[1:2]
	;; [unrolled: 4-line block ×5, first 2 shown]
	v_fma_f64 v[1:2], -v[65:66], v[39:40], v[1:2]
	ds_read_b128 v[37:40], v32 offset:1904
	s_waitcnt lgkmcnt(0)
	v_mul_f64 v[33:34], v[1:2], v[37:38]
	ds_read2_b64 v[1:4], v32 offset0:31 offset1:63
	s_waitcnt lgkmcnt(0)
	v_fma_f64 v[1:2], -v[5:6], v[1:2], v[9:10]
	v_fma_f64 v[1:2], -v[7:8], v[35:36], v[1:2]
	v_fma_f64 v[1:2], -v[11:12], v[3:4], v[1:2]
	v_fma_f64 v[5:6], -v[13:14], v[55:56], v[1:2]
	ds_read2_b64 v[1:4], v32 offset0:95 offset1:127
	s_waitcnt lgkmcnt(0)
	v_fma_f64 v[1:2], -v[15:16], v[1:2], v[5:6]
	v_fma_f64 v[1:2], -v[17:18], v[51:52], v[1:2]
	v_fma_f64 v[1:2], -v[19:20], v[3:4], v[1:2]
	v_fma_f64 v[5:6], -v[21:22], v[47:48], v[1:2]
	;; [unrolled: 6-line block ×3, first 2 shown]
	ds_read2_b64 v[1:4], v32 offset0:223 offset1:255
	s_waitcnt lgkmcnt(0)
	v_fma_f64 v[1:2], -v[65:66], v[1:2], v[5:6]
	v_fma_f64 v[1:2], -v[33:34], v[39:40], v[1:2]
	v_mul_f64 v[1:2], v[1:2], v[3:4]
	ds_write2_b64 v31, v[33:34], v[1:2] offset0:224 offset1:240
	s_cmp_lt_i32 s8, s22
	s_cbranch_scc1 .LBB84_40
	s_branch .LBB84_50
.LBB84_39:
	s_mov_b32 s8, 0
	s_cmp_lt_i32 s8, s22
	s_cbranch_scc0 .LBB84_50
.LBB84_40:
	s_or_b32 s11, s8, 11
	s_cmp_ge_u32 s11, s22
	s_cbranch_scc1 .LBB84_45
; %bb.41:
	s_lshl_b32 s10, s8, 7
	v_add_u32_e32 v25, s10, v31
	ds_read2_b64 v[17:20], v25 offset1:16
	ds_read2_b64 v[13:16], v25 offset0:32 offset1:48
	ds_read2_b64 v[9:12], v25 offset0:64 offset1:80
	;; [unrolled: 1-line block ×4, first 2 shown]
	s_lshl_b32 s11, s11, 7
	v_add_u32_e32 v26, s11, v31
	ds_read_b64 v[23:24], v25 offset:1280
	ds_read_b64 v[21:22], v26
	s_andn2_b64 vcc, exec, s[4:5]
	s_lshl_b32 s4, s8, 3
	s_cbranch_vccnz .LBB84_44
; %bb.42:
	v_mov_b32_e32 v27, 0x800
	v_lshl_or_b32 v27, v0, 3, v27
	s_mov_b32 s5, s4
	s_mov_b32 s11, s8
.LBB84_43:                              ; =>This Inner Loop Header: Depth=1
	v_mov_b32_e32 v30, s5
	ds_read_b64 v[28:29], v27
	ds_read_b128 v[32:35], v30
	ds_read_b128 v[36:39], v30 offset:16
	ds_read_b128 v[40:43], v30 offset:32
	;; [unrolled: 1-line block ×5, first 2 shown]
	s_add_i32 s11, s11, -1
	s_addk_i32 s5, 0x80
	s_cmp_lg_u32 s11, 0
	s_waitcnt lgkmcnt(5)
	v_fma_f64 v[17:18], -v[28:29], v[32:33], v[17:18]
	v_fma_f64 v[19:20], -v[28:29], v[34:35], v[19:20]
	s_waitcnt lgkmcnt(4)
	v_fma_f64 v[13:14], -v[28:29], v[36:37], v[13:14]
	v_fma_f64 v[15:16], -v[28:29], v[38:39], v[15:16]
	;; [unrolled: 3-line block ×6, first 2 shown]
	v_add_u32_e32 v27, 0x80, v27
	s_cbranch_scc1 .LBB84_43
.LBB84_44:
	s_add_i32 s5, s4, s10
	v_mov_b32_e32 v60, s5
	ds_read_b128 v[27:30], v60
	ds_read_b128 v[32:35], v60 offset:16
	s_or_b32 s5, s10, 0x80
	s_add_i32 s14, s4, s5
	v_mov_b32_e32 v56, s14
	s_waitcnt lgkmcnt(1)
	v_mul_f64 v[48:49], v[17:18], v[27:28]
	s_or_b32 s11, s10, 0x100
	s_add_i32 s15, s4, s11
	v_mov_b32_e32 v58, s15
	s_or_b32 s12, s10, 0x180
	s_add_i32 s16, s4, s12
	v_mov_b32_e32 v61, s16
	s_or_b32 s13, s10, 0x200
	v_fma_f64 v[36:37], -v[48:49], v[29:30], v[19:20]
	ds_read2_b64 v[17:20], v60 offset0:17 offset1:18
	ds_read_b128 v[27:30], v60 offset:272
	s_waitcnt lgkmcnt(2)
	v_fma_f64 v[13:14], -v[48:49], v[32:33], v[13:14]
	v_fma_f64 v[40:41], -v[48:49], v[34:35], v[15:16]
	s_add_i32 s14, s4, s13
	v_mov_b32_e32 v62, s14
	s_or_b32 s14, s10, 0x280
	s_waitcnt lgkmcnt(1)
	v_mul_f64 v[50:51], v[36:37], v[17:18]
	ds_read_b128 v[36:39], v60 offset:32
	s_add_i32 s15, s4, s14
	s_or_b32 s8, s8, 12
	v_fma_f64 v[42:43], -v[50:51], v[19:20], v[13:14]
	ds_read2_b64 v[13:16], v56 offset0:3 offset1:4
	s_waitcnt lgkmcnt(1)
	v_fma_f64 v[36:37], -v[48:49], v[36:37], v[9:10]
	ds_read_b128 v[17:20], v60 offset:48
	ds_read2_b64 v[32:35], v56 offset0:5 offset1:6
	s_waitcnt lgkmcnt(2)
	v_fma_f64 v[13:14], -v[50:51], v[13:14], v[40:41]
	s_waitcnt lgkmcnt(1)
	v_fma_f64 v[17:18], -v[48:49], v[17:18], v[1:2]
	v_mul_f64 v[52:53], v[42:43], v[27:28]
	v_fma_f64 v[27:28], -v[48:49], v[38:39], v[11:12]
	v_fma_f64 v[36:37], -v[50:51], v[15:16], v[36:37]
	ds_read2_b64 v[40:43], v60 offset0:51 offset1:52
	ds_read_b128 v[44:47], v60 offset:544
	ds_read_b128 v[9:12], v60 offset:64
	v_fma_f64 v[54:55], -v[48:49], v[19:20], v[3:4]
	s_waitcnt lgkmcnt(3)
	v_fma_f64 v[34:35], -v[50:51], v[34:35], v[17:18]
	v_fma_f64 v[29:30], -v[52:53], v[29:30], v[13:14]
	ds_read_b128 v[13:16], v58 offset:32
	ds_read_b64 v[38:39], v56 offset:88
	v_fma_f64 v[19:20], -v[50:51], v[32:33], v[27:28]
	ds_read_b128 v[1:4], v60 offset:80
	s_waitcnt lgkmcnt(3)
	v_fma_f64 v[27:28], -v[48:49], v[9:10], v[5:6]
	s_waitcnt lgkmcnt(2)
	v_fma_f64 v[13:14], -v[52:53], v[13:14], v[36:37]
	v_mul_f64 v[32:33], v[29:30], v[40:41]
	v_fma_f64 v[29:30], -v[48:49], v[11:12], v[7:8]
	v_fma_f64 v[36:37], -v[52:53], v[15:16], v[19:20]
	ds_read_b128 v[5:8], v58 offset:48
	ds_read_b128 v[9:12], v58 offset:64
	v_fma_f64 v[40:41], -v[32:33], v[42:43], v[13:14]
	ds_read2_b64 v[13:16], v56 offset0:7 offset1:8
	ds_read2_b64 v[17:20], v56 offset0:9 offset1:10
	s_waitcnt lgkmcnt(4)
	v_fma_f64 v[42:43], -v[48:49], v[1:2], v[23:24]
	v_fma_f64 v[56:57], -v[48:49], v[3:4], v[21:22]
	ds_read2_b64 v[1:4], v61 offset0:5 offset1:6
	ds_read_b128 v[21:24], v58 offset:80
	s_waitcnt lgkmcnt(3)
	v_fma_f64 v[54:55], -v[50:51], v[13:14], v[54:55]
	v_fma_f64 v[58:59], -v[50:51], v[15:16], v[27:28]
	;; [unrolled: 1-line block ×3, first 2 shown]
	s_waitcnt lgkmcnt(1)
	v_fma_f64 v[1:2], -v[32:33], v[1:2], v[36:37]
	v_mul_f64 v[34:35], v[40:41], v[44:45]
	v_fma_f64 v[36:37], -v[50:51], v[17:18], v[29:30]
	v_fma_f64 v[40:41], -v[50:51], v[19:20], v[42:43]
	ds_read2_b64 v[13:16], v60 offset0:85 offset1:86
	ds_read_b128 v[17:20], v60 offset:816
	v_fma_f64 v[42:43], -v[52:53], v[7:8], v[54:55]
	ds_read_b128 v[5:8], v62 offset:48
	v_fma_f64 v[44:45], -v[32:33], v[3:4], v[27:28]
	v_fma_f64 v[9:10], -v[52:53], v[9:10], v[58:59]
	;; [unrolled: 1-line block ×3, first 2 shown]
	ds_read2_b64 v[1:4], v61 offset0:7 offset1:8
	ds_read2_b64 v[27:30], v61 offset0:9 offset1:10
	v_fma_f64 v[36:37], -v[52:53], v[11:12], v[36:37]
	ds_read_b64 v[54:55], v61 offset:88
	v_fma_f64 v[38:39], -v[50:51], v[38:39], v[56:57]
	s_waitcnt lgkmcnt(2)
	v_fma_f64 v[11:12], -v[32:33], v[1:2], v[42:43]
	v_fma_f64 v[5:6], -v[34:35], v[5:6], v[44:45]
	;; [unrolled: 1-line block ×3, first 2 shown]
	v_mul_f64 v[42:43], v[46:47], v[13:14]
	ds_read_b128 v[1:4], v62 offset:64
	v_mov_b32_e32 v61, s15
	v_fma_f64 v[21:22], -v[52:53], v[21:22], v[40:41]
	s_waitcnt lgkmcnt(2)
	v_fma_f64 v[27:28], -v[32:33], v[27:28], v[36:37]
	v_fma_f64 v[46:47], -v[34:35], v[7:8], v[11:12]
	;; [unrolled: 1-line block ×3, first 2 shown]
	s_waitcnt lgkmcnt(0)
	v_fma_f64 v[1:2], -v[34:35], v[1:2], v[44:45]
	v_fma_f64 v[58:59], -v[42:43], v[15:16], v[5:6]
	ds_read2_b64 v[5:8], v61 offset0:7 offset1:8
	ds_read2_b64 v[9:12], v61 offset0:9 offset1:10
	s_or_b32 s15, s10, 0x300
	v_fma_f64 v[21:22], -v[32:33], v[29:30], v[21:22]
	v_fma_f64 v[27:28], -v[34:35], v[3:4], v[27:28]
	s_waitcnt lgkmcnt(1)
	v_fma_f64 v[5:6], -v[42:43], v[5:6], v[46:47]
	ds_read_b128 v[13:16], v62 offset:80
	v_fma_f64 v[29:30], -v[42:43], v[7:8], v[1:2]
	v_mul_f64 v[36:37], v[58:59], v[17:18]
	s_add_i32 s16, s4, s15
	v_mov_b32_e32 v44, s16
	v_fma_f64 v[23:24], -v[32:33], v[54:55], v[23:24]
	s_waitcnt lgkmcnt(0)
	v_fma_f64 v[13:14], -v[34:35], v[13:14], v[21:22]
	v_fma_f64 v[9:10], -v[42:43], v[9:10], v[27:28]
	s_or_b32 s16, s10, 0x380
	s_add_i32 s17, s4, s16
	v_fma_f64 v[38:39], -v[36:37], v[19:20], v[5:6]
	ds_read2_b64 v[1:4], v60 offset0:119 offset1:120
	ds_read_b128 v[5:8], v60 offset:1088
	ds_read_b128 v[17:20], v44 offset:64
	ds_read_b64 v[40:41], v61 offset:88
	v_mov_b32_e32 v27, s17
	v_fma_f64 v[15:16], -v[34:35], v[15:16], v[23:24]
	v_fma_f64 v[13:14], -v[42:43], v[11:12], v[13:14]
	s_waitcnt lgkmcnt(1)
	v_fma_f64 v[17:18], -v[36:37], v[17:18], v[29:30]
	v_fma_f64 v[19:20], -v[36:37], v[19:20], v[9:10]
	s_or_b32 s17, s10, 0x400
	v_mul_f64 v[21:22], v[38:39], v[1:2]
	s_add_i32 s18, s4, s17
	s_or_b32 s10, s10, 0x480
	s_waitcnt lgkmcnt(0)
	v_fma_f64 v[15:16], -v[42:43], v[40:41], v[15:16]
	s_add_i32 s4, s4, s10
	v_fma_f64 v[17:18], -v[21:22], v[3:4], v[17:18]
	ds_read_b128 v[1:4], v44 offset:80
	ds_read2_b64 v[9:12], v27 offset0:9 offset1:10
	s_waitcnt lgkmcnt(1)
	v_fma_f64 v[1:2], -v[36:37], v[1:2], v[13:14]
	s_waitcnt lgkmcnt(0)
	v_fma_f64 v[9:10], -v[21:22], v[9:10], v[19:20]
	v_fma_f64 v[15:16], -v[36:37], v[3:4], v[15:16]
	v_mul_f64 v[13:14], v[17:18], v[5:6]
	v_mov_b32_e32 v5, s18
	v_fma_f64 v[17:18], -v[21:22], v[11:12], v[1:2]
	v_fma_f64 v[19:20], -v[13:14], v[7:8], v[9:10]
	ds_read_b64 v[23:24], v27 offset:88
	ds_read_b128 v[1:4], v5 offset:80
	ds_read2_b64 v[5:8], v60 offset0:153 offset1:154
	ds_read_b128 v[9:12], v60 offset:1360
	s_waitcnt lgkmcnt(3)
	v_fma_f64 v[15:16], -v[21:22], v[23:24], v[15:16]
	s_waitcnt lgkmcnt(2)
	v_fma_f64 v[1:2], -v[13:14], v[1:2], v[17:18]
	v_add_u32_e32 v17, s14, v31
	v_add_u32_e32 v18, s15, v31
	s_waitcnt lgkmcnt(1)
	v_mul_f64 v[5:6], v[19:20], v[5:6]
	v_add_u32_e32 v19, s16, v31
	v_fma_f64 v[3:4], -v[13:14], v[3:4], v[15:16]
	v_add_u32_e32 v16, s13, v31
	v_add_u32_e32 v15, s12, v31
	v_fma_f64 v[1:2], -v[5:6], v[7:8], v[1:2]
	v_mov_b32_e32 v7, s4
	ds_read_b64 v[7:8], v7 offset:88
	s_waitcnt lgkmcnt(0)
	v_fma_f64 v[3:4], -v[5:6], v[7:8], v[3:4]
	v_mul_f64 v[1:2], v[1:2], v[9:10]
	ds_read_b64 v[7:8], v60 offset:1496
	v_add_u32_e32 v9, s5, v31
	v_add_u32_e32 v10, s11, v31
	ds_write_b64 v25, v[48:49]
	ds_write_b64 v9, v[50:51]
	;; [unrolled: 1-line block ×4, first 2 shown]
	v_fma_f64 v[3:4], -v[1:2], v[11:12], v[3:4]
	v_add_u32_e32 v11, s17, v31
	v_add_u32_e32 v12, s10, v31
	s_waitcnt lgkmcnt(4)
	v_mul_f64 v[3:4], v[3:4], v[7:8]
	ds_write_b64 v16, v[34:35]
	ds_write_b64 v17, v[42:43]
	;; [unrolled: 1-line block ×6, first 2 shown]
	ds_write_b64 v25, v[1:2] offset:1280
	ds_write_b64 v26, v[3:4]
.LBB84_45:
	s_cmp_ge_i32 s8, s22
	s_cbranch_scc1 .LBB84_50
; %bb.46:
	v_mov_b32_e32 v1, 0x800
	s_lshl_b32 s4, s8, 3
	v_lshl_or_b32 v3, v0, 3, v1
	s_branch .LBB84_48
.LBB84_47:                              ;   in Loop: Header=BB84_48 Depth=1
	s_lshl_b32 s10, s8, 3
	s_add_i32 s5, s10, s5
	v_mov_b32_e32 v5, s5
	ds_read_b64 v[5:6], v5
	s_add_i32 s8, s8, 1
	s_add_i32 s4, s4, 8
	s_cmp_ge_i32 s8, s22
	s_waitcnt lgkmcnt(0)
	v_mul_f64 v[1:2], v[1:2], v[5:6]
	ds_write_b64 v4, v[1:2]
	s_cbranch_scc1 .LBB84_50
.LBB84_48:                              ; =>This Loop Header: Depth=1
                                        ;     Child Loop BB84_49 Depth 2
	s_lshl_b32 s5, s8, 7
	v_add_u32_e32 v4, s5, v31
	ds_read_b64 v[1:2], v4
	s_cmp_eq_u32 s8, 0
	v_mov_b32_e32 v5, v3
	s_mov_b32 s10, s4
	s_mov_b32 s11, s8
	s_cbranch_scc1 .LBB84_47
.LBB84_49:                              ;   Parent Loop BB84_48 Depth=1
                                        ; =>  This Inner Loop Header: Depth=2
	v_mov_b32_e32 v8, s10
	ds_read_b64 v[6:7], v5
	ds_read_b64 v[8:9], v8
	s_add_i32 s11, s11, -1
	s_addk_i32 s10, 0x80
	s_cmp_lg_u32 s11, 0
	v_add_u32_e32 v5, 0x80, v5
	s_waitcnt lgkmcnt(0)
	v_fma_f64 v[1:2], -v[6:7], v[8:9], v[1:2]
	s_cbranch_scc1 .LBB84_49
	s_branch .LBB84_47
.LBB84_50:
	s_waitcnt lgkmcnt(0)
	; wave barrier
	s_and_saveexec_b64 s[4:5], s[0:1]
	s_cbranch_execz .LBB84_54
; %bb.51:
	s_andn2_b64 vcc, exec, s[2:3]
	s_cbranch_vccnz .LBB84_54
; %bb.52:
	v_mad_i64_i32 v[1:2], s[0:1], s9, v0, 0
	v_mov_b32_e32 v3, s7
	v_lshlrev_b64 v[1:2], 3, v[1:2]
	v_add_co_u32_e32 v1, vcc, s6, v1
	v_addc_co_u32_e32 v2, vcc, v3, v2, vcc
	v_mov_b32_e32 v3, 0x800
	v_lshl_or_b32 v0, v0, 3, v3
.LBB84_53:                              ; =>This Inner Loop Header: Depth=1
	ds_read_b64 v[3:4], v0
	s_add_i32 s22, s22, -1
	v_add_u32_e32 v0, 0x80, v0
	s_cmp_lg_u32 s22, 0
	s_waitcnt lgkmcnt(0)
	global_store_dwordx2 v[1:2], v[3:4], off
	v_add_co_u32_e32 v1, vcc, 8, v1
	v_addc_co_u32_e32 v2, vcc, 0, v2, vcc
	s_cbranch_scc1 .LBB84_53
.LBB84_54:
	s_endpgm
	.section	.rodata,"a",@progbits
	.p2align	6, 0x0
	.amdhsa_kernel _ZL38rocblas_trsm_small_left_device_sharedBILi16ELi16ELb1EddPKdPdEv13rocblas_fill_18rocblas_operation_17rocblas_diagonal_iiT3_T4_lilT5_lili
		.amdhsa_group_segment_fixed_size 4096
		.amdhsa_private_segment_fixed_size 0
		.amdhsa_kernarg_size 360
		.amdhsa_user_sgpr_count 6
		.amdhsa_user_sgpr_private_segment_buffer 1
		.amdhsa_user_sgpr_dispatch_ptr 0
		.amdhsa_user_sgpr_queue_ptr 0
		.amdhsa_user_sgpr_kernarg_segment_ptr 1
		.amdhsa_user_sgpr_dispatch_id 0
		.amdhsa_user_sgpr_flat_scratch_init 0
		.amdhsa_user_sgpr_private_segment_size 0
		.amdhsa_uses_dynamic_stack 0
		.amdhsa_system_sgpr_private_segment_wavefront_offset 0
		.amdhsa_system_sgpr_workgroup_id_x 1
		.amdhsa_system_sgpr_workgroup_id_y 0
		.amdhsa_system_sgpr_workgroup_id_z 1
		.amdhsa_system_sgpr_workgroup_info 0
		.amdhsa_system_vgpr_workitem_id 0
		.amdhsa_next_free_vgpr 67
		.amdhsa_next_free_sgpr 98
		.amdhsa_reserve_vcc 1
		.amdhsa_reserve_flat_scratch 0
		.amdhsa_float_round_mode_32 0
		.amdhsa_float_round_mode_16_64 0
		.amdhsa_float_denorm_mode_32 3
		.amdhsa_float_denorm_mode_16_64 3
		.amdhsa_dx10_clamp 1
		.amdhsa_ieee_mode 1
		.amdhsa_fp16_overflow 0
		.amdhsa_exception_fp_ieee_invalid_op 0
		.amdhsa_exception_fp_denorm_src 0
		.amdhsa_exception_fp_ieee_div_zero 0
		.amdhsa_exception_fp_ieee_overflow 0
		.amdhsa_exception_fp_ieee_underflow 0
		.amdhsa_exception_fp_ieee_inexact 0
		.amdhsa_exception_int_div_zero 0
	.end_amdhsa_kernel
	.section	.text._ZL38rocblas_trsm_small_left_device_sharedBILi16ELi16ELb1EddPKdPdEv13rocblas_fill_18rocblas_operation_17rocblas_diagonal_iiT3_T4_lilT5_lili,"axG",@progbits,_ZL38rocblas_trsm_small_left_device_sharedBILi16ELi16ELb1EddPKdPdEv13rocblas_fill_18rocblas_operation_17rocblas_diagonal_iiT3_T4_lilT5_lili,comdat
.Lfunc_end84:
	.size	_ZL38rocblas_trsm_small_left_device_sharedBILi16ELi16ELb1EddPKdPdEv13rocblas_fill_18rocblas_operation_17rocblas_diagonal_iiT3_T4_lilT5_lili, .Lfunc_end84-_ZL38rocblas_trsm_small_left_device_sharedBILi16ELi16ELb1EddPKdPdEv13rocblas_fill_18rocblas_operation_17rocblas_diagonal_iiT3_T4_lilT5_lili
                                        ; -- End function
	.set _ZL38rocblas_trsm_small_left_device_sharedBILi16ELi16ELb1EddPKdPdEv13rocblas_fill_18rocblas_operation_17rocblas_diagonal_iiT3_T4_lilT5_lili.num_vgpr, 67
	.set _ZL38rocblas_trsm_small_left_device_sharedBILi16ELi16ELb1EddPKdPdEv13rocblas_fill_18rocblas_operation_17rocblas_diagonal_iiT3_T4_lilT5_lili.num_agpr, 0
	.set _ZL38rocblas_trsm_small_left_device_sharedBILi16ELi16ELb1EddPKdPdEv13rocblas_fill_18rocblas_operation_17rocblas_diagonal_iiT3_T4_lilT5_lili.numbered_sgpr, 28
	.set _ZL38rocblas_trsm_small_left_device_sharedBILi16ELi16ELb1EddPKdPdEv13rocblas_fill_18rocblas_operation_17rocblas_diagonal_iiT3_T4_lilT5_lili.num_named_barrier, 0
	.set _ZL38rocblas_trsm_small_left_device_sharedBILi16ELi16ELb1EddPKdPdEv13rocblas_fill_18rocblas_operation_17rocblas_diagonal_iiT3_T4_lilT5_lili.private_seg_size, 0
	.set _ZL38rocblas_trsm_small_left_device_sharedBILi16ELi16ELb1EddPKdPdEv13rocblas_fill_18rocblas_operation_17rocblas_diagonal_iiT3_T4_lilT5_lili.uses_vcc, 1
	.set _ZL38rocblas_trsm_small_left_device_sharedBILi16ELi16ELb1EddPKdPdEv13rocblas_fill_18rocblas_operation_17rocblas_diagonal_iiT3_T4_lilT5_lili.uses_flat_scratch, 0
	.set _ZL38rocblas_trsm_small_left_device_sharedBILi16ELi16ELb1EddPKdPdEv13rocblas_fill_18rocblas_operation_17rocblas_diagonal_iiT3_T4_lilT5_lili.has_dyn_sized_stack, 0
	.set _ZL38rocblas_trsm_small_left_device_sharedBILi16ELi16ELb1EddPKdPdEv13rocblas_fill_18rocblas_operation_17rocblas_diagonal_iiT3_T4_lilT5_lili.has_recursion, 0
	.set _ZL38rocblas_trsm_small_left_device_sharedBILi16ELi16ELb1EddPKdPdEv13rocblas_fill_18rocblas_operation_17rocblas_diagonal_iiT3_T4_lilT5_lili.has_indirect_call, 0
	.section	.AMDGPU.csdata,"",@progbits
; Kernel info:
; codeLenInByte = 9676
; TotalNumSgprs: 32
; NumVgprs: 67
; ScratchSize: 0
; MemoryBound: 0
; FloatMode: 240
; IeeeMode: 1
; LDSByteSize: 4096 bytes/workgroup (compile time only)
; SGPRBlocks: 12
; VGPRBlocks: 16
; NumSGPRsForWavesPerEU: 102
; NumVGPRsForWavesPerEU: 67
; Occupancy: 3
; WaveLimiterHint : 0
; COMPUTE_PGM_RSRC2:SCRATCH_EN: 0
; COMPUTE_PGM_RSRC2:USER_SGPR: 6
; COMPUTE_PGM_RSRC2:TRAP_HANDLER: 0
; COMPUTE_PGM_RSRC2:TGID_X_EN: 1
; COMPUTE_PGM_RSRC2:TGID_Y_EN: 0
; COMPUTE_PGM_RSRC2:TGID_Z_EN: 1
; COMPUTE_PGM_RSRC2:TIDIG_COMP_CNT: 0
	.section	.text._ZL30rocblas_trsm_small_left_deviceILi16ELi16ELb1EddPKdPdEv13rocblas_fill_18rocblas_operation_17rocblas_diagonal_iiT3_T4_lilT5_lili,"axG",@progbits,_ZL30rocblas_trsm_small_left_deviceILi16ELi16ELb1EddPKdPdEv13rocblas_fill_18rocblas_operation_17rocblas_diagonal_iiT3_T4_lilT5_lili,comdat
	.globl	_ZL30rocblas_trsm_small_left_deviceILi16ELi16ELb1EddPKdPdEv13rocblas_fill_18rocblas_operation_17rocblas_diagonal_iiT3_T4_lilT5_lili ; -- Begin function _ZL30rocblas_trsm_small_left_deviceILi16ELi16ELb1EddPKdPdEv13rocblas_fill_18rocblas_operation_17rocblas_diagonal_iiT3_T4_lilT5_lili
	.p2align	8
	.type	_ZL30rocblas_trsm_small_left_deviceILi16ELi16ELb1EddPKdPdEv13rocblas_fill_18rocblas_operation_17rocblas_diagonal_iiT3_T4_lilT5_lili,@function
_ZL30rocblas_trsm_small_left_deviceILi16ELi16ELb1EddPKdPdEv13rocblas_fill_18rocblas_operation_17rocblas_diagonal_iiT3_T4_lilT5_lili: ; @_ZL30rocblas_trsm_small_left_deviceILi16ELi16ELb1EddPKdPdEv13rocblas_fill_18rocblas_operation_17rocblas_diagonal_iiT3_T4_lilT5_lili
; %bb.0:
	s_load_dwordx4 s[8:11], s[4:5], 0x4
	s_load_dwordx4 s[0:3], s[4:5], 0x18
	s_load_dwordx2 s[20:21], s[4:5], 0x28
	s_load_dwordx4 s[12:15], s[4:5], 0x38
	s_load_dwordx2 s[16:17], s[4:5], 0x48
	s_waitcnt lgkmcnt(0)
	s_min_i32 s22, s10, 16
	v_cmp_gt_i32_e32 vcc, s22, v0
	s_and_saveexec_b64 s[18:19], vcc
	s_cbranch_execz .LBB85_6
; %bb.1:
	s_load_dword s24, s[4:5], 0x30
	s_mul_i32 s13, s13, s7
	s_mul_hi_u32 s23, s12, s7
	s_mul_i32 s12, s12, s7
	s_add_i32 s13, s23, s13
	s_waitcnt lgkmcnt(0)
	s_ashr_i32 s25, s24, 31
	s_lshl_b64 s[12:13], s[12:13], 3
	s_add_u32 s12, s2, s12
	s_addc_u32 s13, s3, s13
	s_lshl_b64 s[2:3], s[20:21], 3
	s_add_u32 s2, s12, s2
	s_addc_u32 s3, s13, s3
	v_lshlrev_b32_e32 v3, 3, v0
	v_mov_b32_e32 v2, s3
	v_add_co_u32_e32 v1, vcc, s2, v3
	s_lshl_b64 s[2:3], s[24:25], 3
	v_addc_co_u32_e32 v2, vcc, 0, v2, vcc
	v_mov_b32_e32 v4, s3
	v_mov_b32_e32 v5, v3
	s_mov_b32 s3, s22
.LBB85_2:                               ; =>This Inner Loop Header: Depth=1
	global_load_dwordx2 v[6:7], v[1:2], off
	v_add_co_u32_e32 v1, vcc, s2, v1
	s_add_i32 s3, s3, -1
	v_addc_co_u32_e32 v2, vcc, v2, v4, vcc
	s_cmp_eq_u32 s3, 0
	s_waitcnt vmcnt(0)
	ds_write_b64 v5, v[6:7]
	v_add_u32_e32 v5, 0x80, v5
	s_cbranch_scc0 .LBB85_2
; %bb.3:
	v_lshlrev_b32_e32 v4, 7, v0
	v_mov_b32_e32 v1, 0
	s_cmpk_lg_i32 s9, 0x84
	v_mov_b32_e32 v2, 0x3ff00000
	v_add_u32_e32 v3, v3, v4
	s_cbranch_scc0 .LBB85_5
; %bb.4:
	ds_read_b64 v[1:2], v3
	s_waitcnt lgkmcnt(0)
	v_div_scale_f64 v[4:5], s[2:3], v[1:2], v[1:2], 1.0
	v_div_scale_f64 v[10:11], vcc, 1.0, v[1:2], 1.0
	v_rcp_f64_e32 v[6:7], v[4:5]
	v_fma_f64 v[8:9], -v[4:5], v[6:7], 1.0
	v_fma_f64 v[6:7], v[6:7], v[8:9], v[6:7]
	v_fma_f64 v[8:9], -v[4:5], v[6:7], 1.0
	v_fma_f64 v[6:7], v[6:7], v[8:9], v[6:7]
	v_mul_f64 v[8:9], v[10:11], v[6:7]
	v_fma_f64 v[4:5], -v[4:5], v[8:9], v[10:11]
	v_div_fmas_f64 v[4:5], v[4:5], v[6:7], v[8:9]
	v_div_fixup_f64 v[1:2], v[4:5], v[1:2], 1.0
.LBB85_5:
	ds_write_b64 v3, v[1:2]
.LBB85_6:
	s_or_b64 exec, exec, s[18:19]
	s_load_dword s2, s[4:5], 0x68
	s_waitcnt lgkmcnt(0)
	; wave barrier
	s_add_i32 s3, s2, -1
	s_lshl_b32 s2, s6, 4
	s_sub_i32 s9, s11, s2
	s_cmp_ge_u32 s6, s3
	s_cselect_b32 s3, s9, 16
	v_cmp_gt_i32_e32 vcc, s3, v0
	s_and_saveexec_b64 s[12:13], vcc
	s_cbranch_execz .LBB85_44
; %bb.7:
	s_load_dwordx2 s[12:13], s[4:5], 0x58
	s_load_dword s6, s[4:5], 0x50
	v_add_u32_e32 v0, s2, v0
	s_waitcnt lgkmcnt(0)
	s_mul_i32 s3, s13, s7
	s_mul_hi_u32 s4, s12, s7
	s_mul_i32 s2, s12, s7
	s_add_i32 s3, s4, s3
	s_lshl_b64 s[2:3], s[2:3], 3
	s_add_u32 s4, s14, s2
	s_addc_u32 s5, s15, s3
	v_mad_i64_i32 v[0:1], s[2:3], s6, v0, 0
	s_lshl_b64 s[2:3], s[16:17], 3
	s_add_u32 s2, s4, s2
	v_lshlrev_b64 v[0:1], 3, v[0:1]
	s_addc_u32 s3, s5, s3
	v_mov_b32_e32 v2, s3
	v_add_co_u32_e32 v20, vcc, s2, v0
	v_addc_co_u32_e32 v21, vcc, v2, v1, vcc
	s_cmpk_eq_i32 s8, 0x6f
	s_mov_b64 s[2:3], -1
	s_cbranch_scc1 .LBB85_30
; %bb.8:
	s_add_i32 s11, s22, -1
	s_cmp_gt_i32 s10, 15
	s_mov_b32 s2, -1
	s_cbranch_scc0 .LBB85_10
; %bb.9:
	global_load_dwordx4 v[0:3], v[20:21], off offset:112
	global_load_dwordx4 v[4:7], v[20:21], off offset:96
	;; [unrolled: 1-line block ×5, first 2 shown]
	v_mov_b32_e32 v12, 0
	ds_read2_b64 v[26:29], v12 offset0:223 offset1:255
	s_waitcnt vmcnt(4)
	v_mul_f64 v[2:3], s[0:1], v[2:3]
	s_waitcnt lgkmcnt(0)
	v_mul_f64 v[2:3], v[2:3], v[28:29]
	ds_read_b128 v[28:31], v12 offset:1904
	ds_read2_b64 v[32:35], v12 offset0:221 offset1:222
	ds_read_b128 v[36:39], v12 offset:1648
	ds_read_b128 v[40:43], v12 offset:1632
	s_waitcnt lgkmcnt(3)
	v_mul_f64 v[17:18], v[2:3], v[30:31]
	v_mul_f64 v[26:27], v[2:3], v[26:27]
	v_fma_f64 v[0:1], s[0:1], v[0:1], -v[17:18]
	s_waitcnt lgkmcnt(1)
	v_mul_f64 v[17:18], v[2:3], v[38:39]
	s_waitcnt vmcnt(3)
	v_fma_f64 v[6:7], s[0:1], v[6:7], -v[26:27]
	v_mul_f64 v[0:1], v[0:1], v[28:29]
	v_fma_f64 v[4:5], s[0:1], v[4:5], -v[17:18]
	v_fma_f64 v[6:7], -v[0:1], v[34:35], v[6:7]
	v_fma_f64 v[4:5], -v[0:1], v[36:37], v[4:5]
	v_mul_f64 v[6:7], v[6:7], v[32:33]
	ds_read2_b64 v[26:29], v12 offset0:159 offset1:191
	ds_read_b128 v[30:33], v12 offset:1392
	s_waitcnt lgkmcnt(1)
	v_mul_f64 v[17:18], v[2:3], v[28:29]
	s_waitcnt lgkmcnt(0)
	v_mul_f64 v[28:29], v[2:3], v[32:33]
	v_mul_f64 v[26:27], v[2:3], v[26:27]
	v_fma_f64 v[4:5], -v[6:7], v[42:43], v[4:5]
	ds_read2_b64 v[34:37], v12 offset0:95 offset1:127
	ds_read_b128 v[42:45], v12 offset:1376
	ds_read_b128 v[46:49], v12 offset:1136
	;; [unrolled: 1-line block ×3, first 2 shown]
	s_waitcnt vmcnt(2)
	v_fma_f64 v[17:18], s[0:1], v[10:11], -v[17:18]
	v_fma_f64 v[28:29], s[0:1], v[8:9], -v[28:29]
	s_waitcnt lgkmcnt(3)
	v_mul_f64 v[8:9], v[2:3], v[36:37]
	v_mul_f64 v[4:5], v[4:5], v[40:41]
	ds_read_b128 v[38:41], v12 offset:880
	ds_read_b128 v[54:57], v12 offset:864
	s_waitcnt lgkmcnt(3)
	v_mul_f64 v[32:33], v[2:3], v[48:49]
	s_waitcnt vmcnt(1)
	v_fma_f64 v[36:37], s[0:1], v[15:16], -v[26:27]
	s_waitcnt lgkmcnt(1)
	v_mul_f64 v[10:11], v[2:3], v[40:41]
	v_fma_f64 v[58:59], -v[0:1], v[30:31], v[28:29]
	s_waitcnt vmcnt(0)
	v_fma_f64 v[40:41], s[0:1], v[24:25], -v[8:9]
	v_fma_f64 v[26:27], s[0:1], v[13:14], -v[32:33]
	global_load_dwordx4 v[13:16], v[20:21], off offset:32
	ds_read_b128 v[30:33], v12 offset:1360
	v_fma_f64 v[48:49], s[0:1], v[22:23], -v[10:11]
	ds_read2_b64 v[8:11], v12 offset0:189 offset1:190
	ds_read2_b64 v[22:25], v12 offset0:187 offset1:188
	s_waitcnt lgkmcnt(1)
	v_fma_f64 v[10:11], -v[0:1], v[10:11], v[17:18]
	v_fma_f64 v[17:18], -v[0:1], v[46:47], v[26:27]
	ds_read2_b64 v[26:29], v12 offset0:157 offset1:158
	v_fma_f64 v[46:47], -v[6:7], v[8:9], v[10:11]
	s_waitcnt lgkmcnt(0)
	v_fma_f64 v[8:9], -v[0:1], v[28:29], v[36:37]
	v_fma_f64 v[28:29], -v[6:7], v[44:45], v[58:59]
	;; [unrolled: 1-line block ×5, first 2 shown]
	ds_read2_b64 v[8:11], v12 offset0:125 offset1:126
	ds_read2_b64 v[24:27], v12 offset0:123 offset1:124
	v_fma_f64 v[28:29], -v[4:5], v[42:43], v[28:29]
	v_fma_f64 v[17:18], -v[4:5], v[50:51], v[17:18]
	s_waitcnt lgkmcnt(1)
	v_fma_f64 v[40:41], -v[0:1], v[10:11], v[40:41]
	v_mul_f64 v[10:11], v[36:37], v[22:23]
	v_fma_f64 v[22:23], -v[0:1], v[38:39], v[48:49]
	ds_read2_b64 v[36:39], v12 offset0:155 offset1:156
	v_fma_f64 v[48:49], -v[6:7], v[8:9], v[40:41]
	ds_read2_b64 v[40:43], v12 offset0:153 offset1:154
	s_waitcnt lgkmcnt(1)
	v_fma_f64 v[8:9], -v[4:5], v[38:39], v[44:45]
	v_fma_f64 v[28:29], -v[10:11], v[32:33], v[28:29]
	global_load_dwordx4 v[44:47], v[20:21], off offset:16
	v_fma_f64 v[22:23], -v[6:7], v[56:57], v[22:23]
	v_fma_f64 v[26:27], -v[4:5], v[26:27], v[48:49]
	ds_read_b128 v[48:51], v12 offset:1088
	v_fma_f64 v[32:33], -v[10:11], v[36:37], v[8:9]
	v_mul_f64 v[8:9], v[28:29], v[30:31]
	ds_read_b128 v[28:31], v12 offset:1104
	v_fma_f64 v[52:53], -v[4:5], v[54:55], v[22:23]
	ds_read_b128 v[36:39], v12 offset:848
	v_fma_f64 v[26:27], -v[10:11], v[24:25], v[26:27]
	s_waitcnt lgkmcnt(1)
	v_fma_f64 v[17:18], -v[10:11], v[30:31], v[17:18]
	ds_read_b128 v[22:25], v12 offset:832
	v_fma_f64 v[42:43], -v[8:9], v[42:43], v[32:33]
	global_load_dwordx4 v[30:33], v[20:21], off
	s_waitcnt lgkmcnt(1)
	v_fma_f64 v[52:53], -v[10:11], v[38:39], v[52:53]
	v_fma_f64 v[17:18], -v[8:9], v[28:29], v[17:18]
	v_mul_f64 v[28:29], v[42:43], v[40:41]
	ds_read2_b64 v[38:41], v12 offset0:121 offset1:122
	v_fma_f64 v[36:37], -v[8:9], v[36:37], v[52:53]
	ds_read2_b64 v[52:55], v12 offset0:119 offset1:120
	s_waitcnt lgkmcnt(1)
	v_fma_f64 v[26:27], -v[8:9], v[40:41], v[26:27]
	v_fma_f64 v[17:18], -v[28:29], v[50:51], v[17:18]
	;; [unrolled: 1-line block ×3, first 2 shown]
	v_mul_f64 v[26:27], v[17:18], v[48:49]
	v_fma_f64 v[17:18], -v[28:29], v[24:25], v[36:37]
	s_waitcnt lgkmcnt(0)
	v_fma_f64 v[24:25], -v[26:27], v[54:55], v[38:39]
	v_fma_f64 v[17:18], -v[26:27], v[22:23], v[17:18]
	ds_read_b128 v[36:39], v12 offset:816
	ds_read_b128 v[40:43], v12 offset:624
	;; [unrolled: 1-line block ×3, first 2 shown]
	v_mul_f64 v[24:25], v[24:25], v[52:53]
	ds_read_b128 v[52:55], v12 offset:368
	s_waitcnt lgkmcnt(3)
	v_fma_f64 v[17:18], -v[24:25], v[38:39], v[17:18]
	s_waitcnt lgkmcnt(2)
	v_mul_f64 v[38:39], v[2:3], v[42:43]
	v_mul_f64 v[42:43], v[2:3], v[34:35]
	;; [unrolled: 1-line block ×3, first 2 shown]
	ds_read2_b64 v[34:37], v12 offset0:31 offset1:63
	ds_read_b128 v[56:59], v12 offset:352
	s_waitcnt vmcnt(2)
	v_fma_f64 v[17:18], s[0:1], v[13:14], -v[38:39]
	v_fma_f64 v[38:39], s[0:1], v[15:16], -v[42:43]
	s_waitcnt lgkmcnt(2)
	v_mul_f64 v[13:14], v[2:3], v[54:55]
	s_waitcnt lgkmcnt(1)
	v_mul_f64 v[15:16], v[2:3], v[36:37]
	v_fma_f64 v[60:61], -v[0:1], v[40:41], v[17:18]
	s_waitcnt vmcnt(1)
	v_fma_f64 v[42:43], s[0:1], v[44:45], -v[13:14]
	v_fma_f64 v[44:45], s[0:1], v[46:47], -v[15:16]
	ds_read_b128 v[13:16], v12 offset:112
	v_mul_f64 v[46:47], v[2:3], v[34:35]
	ds_read_b128 v[34:37], v12 offset:96
	s_waitcnt lgkmcnt(1)
	v_mul_f64 v[15:16], v[2:3], v[15:16]
	v_fma_f64 v[42:43], -v[0:1], v[52:53], v[42:43]
	s_waitcnt vmcnt(0)
	v_fma_f64 v[46:47], s[0:1], v[32:33], -v[46:47]
	v_fma_f64 v[54:55], s[0:1], v[30:31], -v[15:16]
	ds_read2_b64 v[15:18], v12 offset0:93 offset1:94
	ds_read2_b64 v[30:33], v12 offset0:61 offset1:62
	s_waitcnt lgkmcnt(1)
	v_fma_f64 v[17:18], -v[0:1], v[17:18], v[38:39]
	ds_read2_b64 v[38:41], v12 offset0:29 offset1:30
	v_fma_f64 v[52:53], -v[0:1], v[13:14], v[54:55]
	v_fma_f64 v[17:18], -v[6:7], v[15:16], v[17:18]
	ds_read2_b64 v[13:16], v12 offset0:59 offset1:60
	s_waitcnt lgkmcnt(1)
	v_fma_f64 v[40:41], -v[0:1], v[40:41], v[46:47]
	v_fma_f64 v[52:53], -v[6:7], v[36:37], v[52:53]
	;; [unrolled: 1-line block ×3, first 2 shown]
	ds_read2_b64 v[36:39], v12 offset0:89 offset1:90
	v_fma_f64 v[32:33], -v[0:1], v[32:33], v[44:45]
	v_fma_f64 v[44:45], -v[6:7], v[50:51], v[60:61]
	;; [unrolled: 1-line block ×3, first 2 shown]
	ds_read2_b64 v[40:43], v12 offset0:27 offset1:28
	v_fma_f64 v[60:61], -v[4:5], v[34:35], v[52:53]
	v_fma_f64 v[46:47], -v[6:7], v[30:31], v[32:33]
	ds_read2_b64 v[30:33], v12 offset0:91 offset1:92
	v_fma_f64 v[58:59], -v[4:5], v[48:49], v[44:45]
	v_fma_f64 v[56:57], -v[4:5], v[56:57], v[50:51]
	s_waitcnt lgkmcnt(0)
	v_fma_f64 v[44:45], -v[4:5], v[32:33], v[17:18]
	ds_read_b128 v[32:35], v12 offset:592
	v_fma_f64 v[46:47], -v[4:5], v[15:16], v[46:47]
	ds_read2_b64 v[15:18], v12 offset0:25 offset1:26
	v_fma_f64 v[50:51], -v[4:5], v[42:43], v[54:55]
	v_fma_f64 v[54:55], -v[10:11], v[30:31], v[44:45]
	ds_read_b128 v[42:45], v12 offset:576
	v_fma_f64 v[13:14], -v[10:11], v[13:14], v[46:47]
	ds_read_b128 v[46:49], v12 offset:336
	s_waitcnt lgkmcnt(3)
	v_fma_f64 v[30:31], -v[10:11], v[34:35], v[58:59]
	v_fma_f64 v[40:41], -v[10:11], v[40:41], v[50:51]
	ds_read_b128 v[50:53], v12 offset:320
	s_waitcnt lgkmcnt(1)
	v_fma_f64 v[34:35], -v[10:11], v[48:49], v[56:57]
	v_fma_f64 v[56:57], -v[8:9], v[32:33], v[30:31]
	ds_read_b128 v[30:33], v12 offset:80
	v_fma_f64 v[17:18], -v[8:9], v[17:18], v[40:41]
	v_fma_f64 v[58:59], -v[8:9], v[46:47], v[34:35]
	ds_read_b128 v[46:49], v12 offset:64
	s_waitcnt lgkmcnt(1)
	v_fma_f64 v[32:33], -v[10:11], v[32:33], v[60:61]
	v_fma_f64 v[34:35], -v[8:9], v[38:39], v[54:55]
	;; [unrolled: 1-line block ×6, first 2 shown]
	ds_read2_b64 v[30:33], v12 offset0:57 offset1:58
	v_fma_f64 v[54:55], -v[28:29], v[36:37], v[34:35]
	ds_read2_b64 v[34:37], v12 offset0:55 offset1:56
	v_fma_f64 v[52:53], -v[26:27], v[42:43], v[40:41]
	s_waitcnt lgkmcnt(1)
	v_fma_f64 v[13:14], -v[8:9], v[32:33], v[13:14]
	v_fma_f64 v[50:51], -v[26:27], v[50:51], v[44:45]
	;; [unrolled: 1-line block ×3, first 2 shown]
	ds_read_b128 v[38:41], v12 offset:560
	ds_read2_b64 v[42:45], v12 offset0:23 offset1:24
	v_fma_f64 v[60:61], -v[28:29], v[30:31], v[13:14]
	ds_read2_b64 v[30:33], v12 offset0:87 offset1:88
	ds_read2_b64 v[13:16], v12 offset0:85 offset1:86
	s_waitcnt lgkmcnt(1)
	v_fma_f64 v[32:33], -v[26:27], v[32:33], v[54:55]
	v_fma_f64 v[36:37], -v[26:27], v[36:37], v[60:61]
	;; [unrolled: 1-line block ×3, first 2 shown]
	ds_read_b128 v[30:33], v12 offset:544
	v_fma_f64 v[40:41], -v[24:25], v[40:41], v[52:53]
	v_fma_f64 v[52:53], -v[26:27], v[46:47], v[48:49]
	ds_read_b128 v[46:49], v12 offset:304
	v_fma_f64 v[56:57], -v[24:25], v[34:35], v[36:37]
	ds_read2_b64 v[34:37], v12 offset0:21 offset1:22
	v_fma_f64 v[44:45], -v[26:27], v[44:45], v[17:18]
	s_waitcnt lgkmcnt(3)
	v_fma_f64 v[54:55], -v[22:23], v[15:16], v[54:55]
	ds_read_b128 v[15:18], v12 offset:288
	v_fma_f64 v[38:39], -v[22:23], v[38:39], v[40:41]
	s_waitcnt lgkmcnt(2)
	v_fma_f64 v[48:49], -v[24:25], v[48:49], v[50:51]
	v_mul_f64 v[40:41], v[54:55], v[13:14]
	v_fma_f64 v[13:14], -v[24:25], v[42:43], v[44:45]
	ds_read2_b64 v[42:45], v12 offset0:53 offset1:54
	v_fma_f64 v[50:51], -v[22:23], v[46:47], v[48:49]
	ds_read2_b64 v[46:49], v12 offset0:51 offset1:52
	s_waitcnt lgkmcnt(1)
	v_fma_f64 v[44:45], -v[22:23], v[44:45], v[56:57]
	v_fma_f64 v[32:33], -v[40:41], v[32:33], v[38:39]
	;; [unrolled: 1-line block ×5, first 2 shown]
	v_mul_f64 v[38:39], v[32:33], v[30:31]
	ds_read_b128 v[30:33], v12 offset:48
	ds_read_b128 v[42:45], v12 offset:32
	v_fma_f64 v[13:14], -v[40:41], v[34:35], v[13:14]
	s_waitcnt lgkmcnt(1)
	v_fma_f64 v[32:33], -v[24:25], v[32:33], v[52:53]
	v_fma_f64 v[48:49], -v[38:39], v[48:49], v[54:55]
	;; [unrolled: 1-line block ×4, first 2 shown]
	v_mul_f64 v[15:16], v[48:49], v[46:47]
	ds_read_b128 v[30:33], v12 offset:272
	ds_read2_b64 v[34:37], v12 offset0:19 offset1:20
	ds_read2_b64 v[46:49], v12 offset0:17 offset1:18
	s_waitcnt lgkmcnt(3)
	v_fma_f64 v[44:45], -v[40:41], v[44:45], v[50:51]
	s_waitcnt lgkmcnt(2)
	v_fma_f64 v[17:18], -v[15:16], v[32:33], v[17:18]
	;; [unrolled: 2-line block ×3, first 2 shown]
	v_fma_f64 v[42:43], -v[38:39], v[42:43], v[44:45]
	v_mul_f64 v[13:14], v[17:18], v[30:31]
	v_fma_f64 v[17:18], -v[15:16], v[34:35], v[32:33]
	ds_read_b128 v[30:33], v12 offset:16
	ds_read_b128 v[34:37], v12
	s_waitcnt lgkmcnt(1)
	v_fma_f64 v[32:33], -v[15:16], v[32:33], v[42:43]
	v_fma_f64 v[17:18], -v[13:14], v[48:49], v[17:18]
	;; [unrolled: 1-line block ×3, first 2 shown]
	v_mul_f64 v[32:33], v[17:18], v[46:47]
	s_waitcnt lgkmcnt(0)
	v_fma_f64 v[17:18], -v[32:33], v[36:37], v[30:31]
	v_mul_f64 v[30:31], v[17:18], v[34:35]
	global_store_dwordx4 v[20:21], v[0:3], off offset:112
	global_store_dwordx4 v[20:21], v[4:7], off offset:96
	;; [unrolled: 1-line block ×7, first 2 shown]
	global_store_dwordx4 v[20:21], v[30:33], off
	s_cmp_gt_i32 s2, -1
	s_cbranch_scc1 .LBB85_11
	s_branch .LBB85_29
.LBB85_10:
	s_mov_b32 s2, s11
	s_cmp_gt_i32 s2, -1
	s_cbranch_scc0 .LBB85_29
.LBB85_11:
	s_cmp_lt_u32 s2, 11
	s_cbranch_scc1 .LBB85_16
; %bb.12:
	s_mov_b32 s5, 0
	s_mov_b32 s3, s5
	s_lshl_b64 s[6:7], s[2:3], 3
	v_mov_b32_e32 v0, s7
	v_add_co_u32_e32 v12, vcc, s6, v20
	v_addc_co_u32_e32 v13, vcc, v21, v0, vcc
	global_load_dwordx4 v[0:3], v[12:13], off offset:-8
	global_load_dwordx4 v[14:17], v[12:13], off offset:-24
	;; [unrolled: 1-line block ×6, first 2 shown]
	s_cmp_le_i32 s11, s2
	s_waitcnt vmcnt(5)
	v_mul_f64 v[6:7], s[0:1], v[2:3]
	v_mul_f64 v[26:27], s[0:1], v[0:1]
	s_waitcnt vmcnt(4)
	v_mul_f64 v[8:9], s[0:1], v[16:17]
	v_mul_f64 v[10:11], s[0:1], v[14:15]
	s_waitcnt vmcnt(3)
	v_mul_f64 v[24:25], s[0:1], v[24:25]
	v_mul_f64 v[22:23], s[0:1], v[22:23]
	s_waitcnt vmcnt(2)
	v_mul_f64 v[18:19], s[0:1], v[30:31]
	v_mul_f64 v[16:17], s[0:1], v[28:29]
	s_waitcnt vmcnt(1)
	v_mul_f64 v[14:15], s[0:1], v[34:35]
	v_mul_f64 v[4:5], s[0:1], v[32:33]
	s_waitcnt vmcnt(0)
	v_mul_f64 v[2:3], s[0:1], v[38:39]
	v_mul_f64 v[0:1], s[0:1], v[36:37]
	s_cbranch_scc1 .LBB85_15
; %bb.13:
	s_lshl_b32 s3, s2, 7
	s_lshl_b32 s4, s22, 3
	s_add_i32 s3, s3, s4
	s_addk_i32 s3, 0xfa78
	s_mov_b32 s4, s11
.LBB85_14:                              ; =>This Inner Loop Header: Depth=1
	s_lshl_b64 s[6:7], s[4:5], 3
	v_mov_b32_e32 v29, s7
	v_add_co_u32_e32 v28, vcc, s6, v20
	v_addc_co_u32_e32 v29, vcc, v21, v29, vcc
	global_load_dwordx2 v[52:53], v[28:29], off
	v_mov_b32_e32 v48, s3
	ds_read2_b64 v[28:31], v48 offset0:160 offset1:176
	ds_read2_b64 v[32:35], v48 offset0:128 offset1:144
	;; [unrolled: 1-line block ×5, first 2 shown]
	ds_read2_b64 v[48:51], v48 offset1:16
	s_add_i32 s4, s4, -1
	s_add_i32 s3, s3, -8
	s_cmp_gt_i32 s4, s2
	s_waitcnt vmcnt(0) lgkmcnt(5)
	v_fma_f64 v[6:7], -v[52:53], v[30:31], v[6:7]
	v_fma_f64 v[26:27], -v[52:53], v[28:29], v[26:27]
	s_waitcnt lgkmcnt(4)
	v_fma_f64 v[8:9], -v[52:53], v[34:35], v[8:9]
	v_fma_f64 v[10:11], -v[52:53], v[32:33], v[10:11]
	s_waitcnt lgkmcnt(3)
	;; [unrolled: 3-line block ×5, first 2 shown]
	v_fma_f64 v[2:3], -v[52:53], v[50:51], v[2:3]
	v_fma_f64 v[0:1], -v[52:53], v[48:49], v[0:1]
	s_cbranch_scc1 .LBB85_14
.LBB85_15:
	s_mul_i32 s3, s2, 0x88
	v_mov_b32_e32 v28, s3
	ds_read_b64 v[32:33], v28
	s_add_i32 s4, s2, -1
	s_lshl_b32 s3, s4, 7
	s_lshl_b32 s5, s4, 3
	s_add_i32 s3, s3, s5
	s_waitcnt lgkmcnt(0)
	v_mul_f64 v[6:7], v[6:7], v[32:33]
	v_mov_b32_e32 v28, s3
	ds_read2_b64 v[28:31], v28 offset1:1
	s_mov_b32 s5, 0
	s_lshl_b64 s[16:17], s[4:5], 3
	s_add_i32 s4, s2, -2
	s_lshl_b32 s3, s2, 3
	s_lshl_b32 s6, s4, 7
	s_waitcnt lgkmcnt(0)
	v_fma_f64 v[26:27], -v[6:7], v[30:31], v[26:27]
	s_add_i32 s7, s6, s3
	v_mov_b32_e32 v30, s7
	ds_read_b64 v[34:35], v30
	s_lshl_b32 s7, s4, 3
	s_add_i32 s6, s6, s7
	v_mov_b32_e32 v30, s6
	ds_read2_b64 v[30:33], v30 offset1:1
	s_waitcnt lgkmcnt(1)
	v_fma_f64 v[34:35], -v[6:7], v[34:35], v[8:9]
	v_mul_f64 v[8:9], v[26:27], v[28:29]
	s_lshl_b64 s[18:19], s[4:5], 3
	s_add_i32 s4, s2, -3
	s_lshl_b32 s6, s4, 7
	s_add_i32 s7, s6, s3
	s_add_i32 s7, s7, -8
	v_mov_b32_e32 v26, s7
	ds_read2_b64 v[26:29], v26 offset1:1
	s_waitcnt lgkmcnt(1)
	v_fma_f64 v[36:37], -v[8:9], v[32:33], v[34:35]
	s_lshl_b32 s7, s4, 3
	s_lshl_b64 s[8:9], s[4:5], 3
	s_add_i32 s4, s2, -4
	s_waitcnt lgkmcnt(0)
	v_fma_f64 v[28:29], -v[6:7], v[28:29], v[10:11]
	s_add_i32 s6, s6, s7
	s_lshl_b32 s12, s4, 7
	v_mov_b32_e32 v32, s6
	s_add_i32 s6, s12, s3
	v_mul_f64 v[10:11], v[36:37], v[30:31]
	v_mov_b32_e32 v30, s6
	ds_read_b64 v[30:31], v30
	s_add_i32 s6, s6, -16
	v_fma_f64 v[36:37], -v[8:9], v[26:27], v[28:29]
	v_mov_b32_e32 v26, s6
	ds_read2_b64 v[26:29], v26 offset1:1
	s_waitcnt lgkmcnt(1)
	v_fma_f64 v[24:25], -v[6:7], v[30:31], v[24:25]
	ds_read2_b64 v[32:35], v32 offset1:1
	s_lshl_b32 s13, s4, 3
	s_lshl_b64 s[6:7], s[4:5], 3
	s_add_i32 s4, s2, -5
	s_lshl_b32 s14, s4, 7
	s_waitcnt lgkmcnt(0)
	v_fma_f64 v[34:35], -v[10:11], v[34:35], v[36:37]
	s_add_i32 s15, s14, s3
	v_fma_f64 v[24:25], -v[8:9], v[28:29], v[24:25]
	s_add_i32 s20, s15, -8
	v_mov_b32_e32 v28, s20
	ds_read2_b64 v[28:31], v28 offset1:1
	s_add_i32 s12, s12, s13
	v_mul_f64 v[46:47], v[34:35], v[32:33]
	v_fma_f64 v[32:33], -v[10:11], v[26:27], v[24:25]
	v_mov_b32_e32 v24, s12
	ds_read2_b64 v[24:27], v24 offset1:1
	s_waitcnt lgkmcnt(1)
	v_fma_f64 v[22:23], -v[6:7], v[30:31], v[22:23]
	s_sub_i32 s12, s15, 24
	s_waitcnt lgkmcnt(0)
	v_fma_f64 v[38:39], -v[46:47], v[26:27], v[32:33]
	v_mov_b32_e32 v26, s12
	s_lshl_b32 s12, s4, 3
	v_fma_f64 v[22:23], -v[8:9], v[28:29], v[22:23]
	ds_read2_b64 v[26:29], v26 offset1:1
	s_add_i32 s14, s14, s12
	s_lshl_b64 s[12:13], s[4:5], 3
	s_add_i32 s4, s2, -6
	s_lshl_b32 s20, s4, 7
	s_add_i32 s21, s20, s3
	v_mov_b32_e32 v30, s21
	ds_read_b64 v[40:41], v30
	s_waitcnt lgkmcnt(1)
	v_fma_f64 v[22:23], -v[10:11], v[28:29], v[22:23]
	v_mov_b32_e32 v34, s14
	s_add_i32 s14, s21, -16
	v_mov_b32_e32 v30, s14
	s_lshl_b32 s23, s4, 3
	s_lshl_b64 s[14:15], s[4:5], 3
	s_add_i32 s4, s2, -7
	s_lshl_b32 s24, s4, 7
	s_add_i32 s25, s24, s3
	s_add_i32 s26, s25, -8
	s_waitcnt lgkmcnt(0)
	v_fma_f64 v[18:19], -v[6:7], v[40:41], v[18:19]
	v_mul_f64 v[48:49], v[38:39], v[24:25]
	v_fma_f64 v[38:39], -v[46:47], v[26:27], v[22:23]
	v_mov_b32_e32 v22, s26
	ds_read2_b64 v[30:33], v30 offset1:1
	ds_read2_b64 v[34:37], v34 offset1:1
	;; [unrolled: 1-line block ×3, first 2 shown]
	global_store_dwordx2 v[12:13], v[6:7], off
	s_sub_i32 s26, s25, 24
	s_waitcnt lgkmcnt(2)
	v_fma_f64 v[18:19], -v[8:9], v[32:33], v[18:19]
	v_mov_b32_e32 v26, s26
	s_waitcnt lgkmcnt(0)
	v_fma_f64 v[24:25], -v[6:7], v[24:25], v[16:17]
	v_fma_f64 v[12:13], -v[48:49], v[36:37], v[38:39]
	ds_read2_b64 v[26:29], v26 offset1:1
	s_sub_i32 s21, s21, 32
	v_mov_b32_e32 v16, s21
	s_add_i32 s20, s20, s23
	v_fma_f64 v[30:31], -v[10:11], v[30:31], v[18:19]
	ds_read2_b64 v[16:19], v16 offset1:1
	v_fma_f64 v[32:33], -v[8:9], v[22:23], v[24:25]
	v_mul_f64 v[50:51], v[12:13], v[34:35]
	v_mov_b32_e32 v22, s20
	ds_read2_b64 v[22:25], v22 offset1:1
	s_waitcnt lgkmcnt(1)
	v_fma_f64 v[18:19], -v[46:47], v[18:19], v[30:31]
	v_mov_b32_e32 v31, s17
	v_fma_f64 v[12:13], -v[10:11], v[28:29], v[32:33]
	v_add_co_u32_e32 v30, vcc, s16, v20
	v_addc_co_u32_e32 v31, vcc, v21, v31, vcc
	v_add_co_u32_e32 v52, vcc, s18, v20
	s_lshl_b32 s18, s4, 3
	s_lshl_b64 s[16:17], s[4:5], 3
	s_add_i32 s4, s2, -8
	s_lshl_b32 s21, s4, 7
	s_add_i32 s20, s21, s3
	global_store_dwordx2 v[30:31], v[8:9], off
	v_fma_f64 v[30:31], -v[46:47], v[26:27], v[12:13]
	v_mov_b32_e32 v12, s20
	ds_read_b64 v[12:13], v12
	v_fma_f64 v[28:29], -v[48:49], v[16:17], v[18:19]
	v_mov_b32_e32 v16, s19
	s_add_i32 s23, s20, -16
	v_addc_co_u32_e32 v53, vcc, v21, v16, vcc
	v_mov_b32_e32 v16, s23
	ds_read2_b64 v[16:19], v16 offset1:1
	s_waitcnt lgkmcnt(1)
	v_fma_f64 v[32:33], -v[6:7], v[12:13], v[14:15]
	s_sub_i32 s19, s25, 40
	v_mov_b32_e32 v12, s19
	ds_read2_b64 v[12:15], v12 offset1:1
	s_add_i32 s18, s24, s18
	v_fma_f64 v[34:35], -v[50:51], v[24:25], v[28:29]
	v_mov_b32_e32 v24, s18
	s_lshl_b32 s25, s4, 3
	s_lshl_b64 s[18:19], s[4:5], 3
	s_add_i32 s4, s2, -9
	s_lshl_b32 s23, s4, 7
	s_add_i32 s24, s23, s3
	s_add_i32 s26, s24, -8
	s_waitcnt lgkmcnt(0)
	v_fma_f64 v[54:55], -v[48:49], v[14:15], v[30:31]
	v_fma_f64 v[14:15], -v[8:9], v[18:19], v[32:33]
	v_mov_b32_e32 v18, s26
	ds_read2_b64 v[28:31], v18 offset1:1
	s_sub_i32 s26, s20, 32
	s_sub_i32 s20, s20, 48
	v_mul_f64 v[22:23], v[34:35], v[22:23]
	v_mov_b32_e32 v34, s20
	ds_read2_b64 v[34:37], v34 offset1:1
	s_waitcnt lgkmcnt(1)
	v_fma_f64 v[4:5], -v[6:7], v[30:31], v[4:5]
	s_add_i32 s21, s21, s25
	s_sub_i32 s20, s24, 24
	v_fma_f64 v[18:19], -v[10:11], v[16:17], v[14:15]
	v_mov_b32_e32 v14, s21
	v_mov_b32_e32 v30, s26
	s_lshl_b32 s26, s4, 3
	ds_read2_b64 v[24:27], v24 offset1:1
	v_fma_f64 v[28:29], -v[8:9], v[28:29], v[4:5]
	v_mov_b32_e32 v4, s20
	s_lshl_b64 s[20:21], s[4:5], 3
	s_add_i32 s4, s2, -10
	s_lshl_b32 s27, s4, 7
	s_add_i32 s28, s27, s3
	ds_read2_b64 v[30:33], v30 offset1:1
	ds_read2_b64 v[38:41], v4 offset1:1
	v_mov_b32_e32 v4, s28
	ds_read_b64 v[4:5], v4
	s_sub_i32 s25, s24, 40
	v_mov_b32_e32 v56, s25
	s_add_i32 s25, s28, -16
	s_waitcnt lgkmcnt(2)
	v_fma_f64 v[18:19], -v[46:47], v[32:33], v[18:19]
	v_mov_b32_e32 v32, s25
	ds_read2_b64 v[42:45], v32 offset1:1
	s_waitcnt lgkmcnt(1)
	v_fma_f64 v[32:33], -v[6:7], v[4:5], v[2:3]
	v_fma_f64 v[28:29], -v[10:11], v[40:41], v[28:29]
	;; [unrolled: 1-line block ×3, first 2 shown]
	ds_read2_b64 v[2:5], v56 offset1:1
	s_lshl_b32 s29, s4, 3
	v_fma_f64 v[18:19], -v[48:49], v[30:31], v[18:19]
	s_sub_i32 s25, s28, 48
	ds_read2_b64 v[14:17], v14 offset1:1
	s_waitcnt lgkmcnt(2)
	v_fma_f64 v[30:31], -v[8:9], v[44:45], v[32:33]
	v_fma_f64 v[28:29], -v[46:47], v[38:39], v[28:29]
	v_add_co_u32_e32 v32, vcc, s8, v20
	s_sub_i32 s8, s28, 32
	v_mov_b32_e32 v38, s9
	v_fma_f64 v[12:13], -v[22:23], v[26:27], v[12:13]
	v_mov_b32_e32 v26, s8
	s_lshl_b64 s[8:9], s[4:5], 3
	s_add_i32 s4, s2, -11
	s_lshl_b32 s30, s4, 7
	v_fma_f64 v[40:41], -v[10:11], v[42:43], v[30:31]
	s_add_i32 s3, s30, s3
	s_add_i32 s31, s3, -8
	v_addc_co_u32_e32 v33, vcc, v21, v38, vcc
	v_mov_b32_e32 v30, s31
	global_store_dwordx2 v[32:33], v[46:47], off
	s_waitcnt lgkmcnt(1)
	v_fma_f64 v[4:5], -v[48:49], v[4:5], v[28:29]
	ds_read2_b64 v[26:29], v26 offset1:1
	ds_read2_b64 v[30:33], v30 offset1:1
	v_fma_f64 v[18:19], -v[50:51], v[36:37], v[18:19]
	v_mul_f64 v[24:25], v[12:13], v[24:25]
	v_mov_b32_e32 v36, s25
	s_waitcnt lgkmcnt(1)
	v_fma_f64 v[28:29], -v[46:47], v[28:29], v[40:41]
	s_waitcnt lgkmcnt(0)
	v_fma_f64 v[0:1], -v[6:7], v[32:33], v[0:1]
	v_fma_f64 v[12:13], -v[50:51], v[2:3], v[4:5]
	s_sub_i32 s25, s3, 24
	v_mov_b32_e32 v40, s25
	v_fma_f64 v[6:7], -v[22:23], v[34:35], v[18:19]
	ds_read2_b64 v[36:39], v36 offset1:1
	ds_read2_b64 v[40:43], v40 offset1:1
	v_fma_f64 v[18:19], -v[48:49], v[26:27], v[28:29]
	v_fma_f64 v[8:9], -v[8:9], v[30:31], v[0:1]
	v_mov_b32_e32 v26, s7
	s_sub_i32 s7, s24, 56
	v_mov_b32_e32 v2, s7
	ds_read2_b64 v[0:3], v2 offset1:1
	v_fma_f64 v[16:17], -v[24:25], v[16:17], v[6:7]
	global_store_dwordx2 v[52:53], v[10:11], off
	s_add_i32 s7, s23, s26
	s_waitcnt lgkmcnt(1)
	v_fma_f64 v[8:9], -v[10:11], v[42:43], v[8:9]
	s_waitcnt lgkmcnt(0)
	v_fma_f64 v[2:3], -v[22:23], v[2:3], v[12:13]
	v_fma_f64 v[12:13], -v[50:51], v[38:39], v[18:19]
	v_add_co_u32_e32 v10, vcc, s6, v20
	s_sub_i32 s6, s3, 40
	v_mov_b32_e32 v4, s7
	v_addc_co_u32_e32 v11, vcc, v21, v26, vcc
	v_mul_f64 v[26:27], v[16:17], v[14:15]
	v_fma_f64 v[28:29], -v[22:23], v[36:37], v[12:13]
	v_fma_f64 v[12:13], -v[46:47], v[40:41], v[8:9]
	;; [unrolled: 1-line block ×3, first 2 shown]
	v_mov_b32_e32 v0, s6
	ds_read2_b64 v[4:7], v4 offset1:1
	ds_read2_b64 v[0:3], v0 offset1:1
	s_sub_i32 s6, s28, 64
	s_sub_i32 s7, s3, 56
	v_mov_b32_e32 v8, s7
	global_store_dwordx2 v[10:11], v[48:49], off
	s_waitcnt lgkmcnt(0)
	v_fma_f64 v[2:3], -v[48:49], v[2:3], v[12:13]
	v_mov_b32_e32 v12, s6
	ds_read2_b64 v[8:11], v8 offset1:1
	ds_read2_b64 v[12:15], v12 offset1:1
	v_fma_f64 v[6:7], -v[26:27], v[6:7], v[16:17]
	v_mov_b32_e32 v30, s13
	s_add_i32 s6, s27, s29
	v_mov_b32_e32 v16, s6
	v_fma_f64 v[0:1], -v[50:51], v[0:1], v[2:3]
	s_waitcnt lgkmcnt(0)
	v_fma_f64 v[14:15], -v[24:25], v[14:15], v[28:29]
	v_add_co_u32_e32 v2, vcc, s12, v20
	v_addc_co_u32_e32 v3, vcc, v21, v30, vcc
	global_store_dwordx2 v[2:3], v[50:51], off
	v_mul_f64 v[28:29], v[6:7], v[4:5]
	v_fma_f64 v[0:1], -v[22:23], v[10:11], v[0:1]
	v_fma_f64 v[2:3], -v[26:27], v[12:13], v[14:15]
	ds_read2_b64 v[16:19], v16 offset1:1
	s_addk_i32 s3, 0xffb8
	v_mov_b32_e32 v5, s15
	v_add_co_u32_e32 v4, vcc, s14, v20
	v_addc_co_u32_e32 v5, vcc, v21, v5, vcc
	v_fma_f64 v[8:9], -v[24:25], v[8:9], v[0:1]
	v_mov_b32_e32 v0, s3
	s_waitcnt lgkmcnt(0)
	v_fma_f64 v[10:11], -v[28:29], v[18:19], v[2:3]
	ds_read2_b64 v[0:3], v0 offset1:1
	s_lshl_b32 s3, s4, 3
	s_add_i32 s3, s30, s3
	global_store_dwordx2 v[4:5], v[22:23], off
	v_mov_b32_e32 v4, s3
	ds_read2_b64 v[4:7], v4 offset1:1
	s_waitcnt lgkmcnt(1)
	v_fma_f64 v[2:3], -v[26:27], v[2:3], v[8:9]
	v_mov_b32_e32 v9, s17
	v_add_co_u32_e32 v8, vcc, s16, v20
	v_addc_co_u32_e32 v9, vcc, v21, v9, vcc
	global_store_dwordx2 v[8:9], v[24:25], off
	v_mul_f64 v[8:9], v[10:11], v[16:17]
	v_fma_f64 v[0:1], -v[28:29], v[0:1], v[2:3]
	v_mov_b32_e32 v3, s19
	v_add_co_u32_e32 v2, vcc, s18, v20
	v_addc_co_u32_e32 v3, vcc, v21, v3, vcc
	global_store_dwordx2 v[2:3], v[26:27], off
	v_mov_b32_e32 v3, s21
	s_waitcnt lgkmcnt(0)
	v_fma_f64 v[0:1], -v[8:9], v[6:7], v[0:1]
	v_add_co_u32_e32 v2, vcc, s20, v20
	v_addc_co_u32_e32 v3, vcc, v21, v3, vcc
	global_store_dwordx2 v[2:3], v[28:29], off
	v_mov_b32_e32 v3, s9
	v_add_co_u32_e32 v2, vcc, s8, v20
	v_mul_f64 v[0:1], v[0:1], v[4:5]
	v_addc_co_u32_e32 v3, vcc, v21, v3, vcc
	s_lshl_b64 s[4:5], s[4:5], 3
	global_store_dwordx2 v[2:3], v[8:9], off
	v_mov_b32_e32 v3, s5
	v_add_co_u32_e32 v2, vcc, s4, v20
	v_addc_co_u32_e32 v3, vcc, v21, v3, vcc
	s_add_i32 s2, s2, -12
	global_store_dwordx2 v[2:3], v[0:1], off
.LBB85_16:
	s_cmp_lt_i32 s2, 0
	s_cbranch_scc1 .LBB85_29
; %bb.17:
	s_bitcmp1_b32 s2, 0
	s_cselect_b64 s[4:5], -1, 0
	s_and_b64 vcc, exec, s[4:5]
	s_mov_b32 s4, s2
	s_cbranch_vccnz .LBB85_22
; %bb.18:
	s_mov_b32 s5, 0
	s_mov_b32 s3, s5
	s_lshl_b64 s[6:7], s[2:3], 3
	v_mov_b32_e32 v1, s7
	v_add_co_u32_e32 v0, vcc, s6, v20
	v_addc_co_u32_e32 v1, vcc, v21, v1, vcc
	global_load_dwordx2 v[2:3], v[0:1], off
	s_cmp_le_i32 s11, s2
	s_waitcnt vmcnt(0)
	v_mul_f64 v[2:3], s[0:1], v[2:3]
	s_cbranch_scc1 .LBB85_21
; %bb.19:
	s_lshl_b32 s3, s2, 7
	s_lshl_b32 s4, s22, 3
	s_add_i32 s3, s3, s4
	s_add_i32 s3, s3, -8
	s_mov_b32 s4, s11
.LBB85_20:                              ; =>This Inner Loop Header: Depth=1
	s_lshl_b64 s[6:7], s[4:5], 3
	v_mov_b32_e32 v5, s7
	v_add_co_u32_e32 v4, vcc, s6, v20
	v_addc_co_u32_e32 v5, vcc, v21, v5, vcc
	global_load_dwordx2 v[4:5], v[4:5], off
	v_mov_b32_e32 v6, s3
	ds_read_b64 v[6:7], v6
	s_add_i32 s4, s4, -1
	s_add_i32 s3, s3, -8
	s_cmp_gt_i32 s4, s2
	s_waitcnt vmcnt(0) lgkmcnt(0)
	v_fma_f64 v[2:3], -v[4:5], v[6:7], v[2:3]
	s_cbranch_scc1 .LBB85_20
.LBB85_21:
	s_mul_i32 s3, s2, 0x88
	v_mov_b32_e32 v4, s3
	ds_read_b64 v[4:5], v4
	s_add_i32 s4, s2, -1
	s_waitcnt lgkmcnt(0)
	v_mul_f64 v[2:3], v[2:3], v[4:5]
	global_store_dwordx2 v[0:1], v[2:3], off
.LBB85_22:
	s_cmp_eq_u32 s2, 0
	s_mov_b32 s3, 0
	s_cbranch_scc1 .LBB85_29
; %bb.23:
	s_lshl_b32 s2, s4, 7
	s_lshl_b32 s5, s22, 3
	s_add_i32 s2, s2, s5
	s_add_i32 s6, s2, -8
	s_add_i32 s7, s2, 0xffffff78
	s_branch .LBB85_25
.LBB85_24:                              ;   in Loop: Header=BB85_25 Depth=1
	s_add_i32 s2, s5, 0xffffff78
	v_mov_b32_e32 v0, s2
	ds_read_b64 v[0:1], v0
	s_add_i32 s2, s4, -2
	s_addk_i32 s6, 0xff00
	s_addk_i32 s7, 0xff00
	s_cmp_lt_i32 s4, 2
	s_waitcnt lgkmcnt(0)
	v_mul_f64 v[0:1], v[4:5], v[0:1]
	s_mov_b32 s4, s2
	global_store_dwordx2 v[2:3], v[0:1], off
	s_cbranch_scc1 .LBB85_29
.LBB85_25:                              ; =>This Loop Header: Depth=1
                                        ;     Child Loop BB85_26 Depth 2
                                        ;     Child Loop BB85_28 Depth 2
	s_mov_b32 s5, s3
	s_lshl_b64 s[8:9], s[4:5], 3
	v_mov_b32_e32 v1, s9
	v_add_co_u32_e32 v0, vcc, s8, v20
	v_addc_co_u32_e32 v1, vcc, v21, v1, vcc
	global_load_dwordx2 v[2:3], v[0:1], off
	s_cmp_le_i32 s11, s4
	s_mov_b32 s5, s6
	s_mov_b32 s2, s11
	s_waitcnt vmcnt(0)
	v_mul_f64 v[4:5], s[0:1], v[2:3]
	s_cbranch_scc1 .LBB85_27
.LBB85_26:                              ;   Parent Loop BB85_25 Depth=1
                                        ; =>  This Inner Loop Header: Depth=2
	s_lshl_b64 s[8:9], s[2:3], 3
	v_mov_b32_e32 v3, s9
	v_add_co_u32_e32 v2, vcc, s8, v20
	v_addc_co_u32_e32 v3, vcc, v21, v3, vcc
	global_load_dwordx2 v[2:3], v[2:3], off
	v_mov_b32_e32 v6, s5
	ds_read_b64 v[6:7], v6
	s_add_i32 s2, s2, -1
	s_add_i32 s5, s5, -8
	s_cmp_gt_i32 s2, s4
	s_waitcnt vmcnt(0) lgkmcnt(0)
	v_fma_f64 v[4:5], -v[2:3], v[6:7], v[4:5]
	s_cbranch_scc1 .LBB85_26
.LBB85_27:                              ;   in Loop: Header=BB85_25 Depth=1
	s_add_i32 s2, s4, -1
	s_lshl_b64 s[8:9], s[2:3], 3
	v_mov_b32_e32 v3, s9
	v_add_co_u32_e32 v2, vcc, s8, v20
	v_addc_co_u32_e32 v3, vcc, v21, v3, vcc
	global_load_dwordx2 v[6:7], v[2:3], off
	s_mul_i32 s5, s4, 0x88
	v_mov_b32_e32 v8, s5
	ds_read_b64 v[8:9], v8
	s_cmp_le_i32 s22, s4
	s_mov_b32 s8, s7
	s_mov_b32 s2, s22
	s_waitcnt lgkmcnt(0)
	v_mul_f64 v[8:9], v[4:5], v[8:9]
	global_store_dwordx2 v[0:1], v[8:9], off
	s_waitcnt vmcnt(1)
	v_mul_f64 v[4:5], s[0:1], v[6:7]
	s_cbranch_scc1 .LBB85_24
.LBB85_28:                              ;   Parent Loop BB85_25 Depth=1
                                        ; =>  This Inner Loop Header: Depth=2
	s_add_i32 s2, s2, -1
	s_lshl_b64 s[12:13], s[2:3], 3
	v_mov_b32_e32 v1, s13
	v_add_co_u32_e32 v0, vcc, s12, v20
	v_addc_co_u32_e32 v1, vcc, v21, v1, vcc
	global_load_dwordx2 v[0:1], v[0:1], off
	v_mov_b32_e32 v6, s8
	ds_read_b64 v[6:7], v6
	s_add_i32 s8, s8, -8
	s_cmp_gt_i32 s2, s4
	s_waitcnt vmcnt(0) lgkmcnt(0)
	v_fma_f64 v[4:5], -v[0:1], v[6:7], v[4:5]
	s_cbranch_scc1 .LBB85_28
	s_branch .LBB85_24
.LBB85_29:
	s_mov_b64 s[2:3], 0
.LBB85_30:
	s_and_b64 vcc, exec, s[2:3]
	s_cbranch_vccz .LBB85_44
; %bb.31:
	s_cmp_gt_i32 s10, 15
	s_cselect_b64 s[2:3], -1, 0
	s_and_b64 vcc, exec, s[2:3]
	s_cbranch_vccz .LBB85_33
; %bb.32:
	global_load_dwordx4 v[0:3], v[20:21], off
	global_load_dwordx4 v[23:26], v[20:21], off offset:16
	global_load_dwordx4 v[27:30], v[20:21], off offset:32
	;; [unrolled: 1-line block ×3, first 2 shown]
	v_mov_b32_e32 v22, 0
	ds_read_b128 v[31:34], v22
	ds_read_b128 v[35:38], v22 offset:16
	global_load_dwordx4 v[12:15], v[20:21], off offset:64
	global_load_dwordx4 v[8:11], v[20:21], off offset:80
	;; [unrolled: 1-line block ×3, first 2 shown]
	ds_read_b128 v[39:42], v22 offset:32
	ds_read_b128 v[43:46], v22 offset:48
	s_mov_b32 s4, 16
	s_waitcnt vmcnt(6)
	v_mul_f64 v[0:1], s[0:1], v[0:1]
	s_waitcnt lgkmcnt(3)
	v_mul_f64 v[0:1], v[0:1], v[31:32]
	v_mul_f64 v[47:48], v[0:1], v[33:34]
	s_waitcnt lgkmcnt(2)
	v_mul_f64 v[49:50], v[0:1], v[35:36]
	;; [unrolled: 3-line block ×4, first 2 shown]
	v_mul_f64 v[45:46], v[0:1], v[45:46]
	ds_read_b128 v[31:34], v22 offset:64
	ds_read_b128 v[35:38], v22 offset:80
	v_fma_f64 v[2:3], s[0:1], v[2:3], -v[47:48]
	s_waitcnt vmcnt(5)
	v_fma_f64 v[47:48], s[0:1], v[23:24], -v[49:50]
	v_fma_f64 v[49:50], s[0:1], v[25:26], -v[51:52]
	ds_read_b128 v[23:26], v22 offset:96
	ds_read_b128 v[39:42], v22 offset:112
	s_waitcnt vmcnt(4)
	v_fma_f64 v[51:52], s[0:1], v[27:28], -v[53:54]
	v_fma_f64 v[53:54], s[0:1], v[29:30], -v[55:56]
	s_waitcnt vmcnt(3)
	v_fma_f64 v[43:44], s[0:1], v[16:17], -v[43:44]
	v_fma_f64 v[45:46], s[0:1], v[18:19], -v[45:46]
	ds_read2_b64 v[16:19], v22 offset0:17 offset1:18
	ds_read2_b64 v[27:30], v22 offset0:19 offset1:20
	s_waitcnt lgkmcnt(3)
	v_mul_f64 v[55:56], v[0:1], v[23:24]
	v_mul_f64 v[57:58], v[0:1], v[25:26]
	global_load_dwordx4 v[23:26], v[20:21], off offset:112
	s_waitcnt lgkmcnt(1)
	v_mul_f64 v[2:3], v[2:3], v[16:17]
	v_mul_f64 v[31:32], v[0:1], v[31:32]
	;; [unrolled: 1-line block ×5, first 2 shown]
	s_waitcnt vmcnt(1)
	v_fma_f64 v[55:56], s[0:1], v[4:5], -v[55:56]
	v_fma_f64 v[57:58], s[0:1], v[6:7], -v[57:58]
	v_mul_f64 v[39:40], v[0:1], v[39:40]
	v_fma_f64 v[47:48], -v[2:3], v[18:19], v[47:48]
	v_fma_f64 v[31:32], s[0:1], v[12:13], -v[31:32]
	v_fma_f64 v[33:34], s[0:1], v[14:15], -v[33:34]
	ds_read_b128 v[12:15], v22 offset:272
	s_waitcnt lgkmcnt(1)
	v_fma_f64 v[6:7], -v[2:3], v[27:28], v[49:50]
	v_mul_f64 v[41:42], v[0:1], v[41:42]
	v_fma_f64 v[35:36], s[0:1], v[8:9], -v[35:36]
	v_fma_f64 v[37:38], s[0:1], v[10:11], -v[37:38]
	s_waitcnt lgkmcnt(0)
	v_mul_f64 v[4:5], v[47:48], v[12:13]
	ds_read2_b64 v[8:11], v22 offset0:21 offset1:22
	ds_read2_b64 v[16:19], v22 offset0:23 offset1:24
	v_fma_f64 v[47:48], -v[2:3], v[29:30], v[51:52]
	s_waitcnt lgkmcnt(1)
	v_fma_f64 v[49:50], -v[2:3], v[8:9], v[53:54]
	v_fma_f64 v[43:44], -v[2:3], v[10:11], v[43:44]
	s_waitcnt lgkmcnt(0)
	v_fma_f64 v[45:46], -v[2:3], v[16:17], v[45:46]
	v_fma_f64 v[51:52], -v[4:5], v[14:15], v[6:7]
	;; [unrolled: 1-line block ×3, first 2 shown]
	s_waitcnt vmcnt(0)
	v_fma_f64 v[39:40], s[0:1], v[23:24], -v[39:40]
	v_fma_f64 v[41:42], s[0:1], v[25:26], -v[41:42]
	ds_read2_b64 v[23:26], v22 offset0:25 offset1:26
	ds_read2_b64 v[27:30], v22 offset0:27 offset1:28
	ds_read_b128 v[6:9], v22 offset:288
	ds_read_b128 v[10:13], v22 offset:304
	ds_read2_b64 v[14:17], v22 offset0:51 offset1:52
	s_waitcnt lgkmcnt(4)
	v_fma_f64 v[53:54], -v[2:3], v[23:24], v[33:34]
	s_waitcnt lgkmcnt(2)
	v_fma_f64 v[47:48], -v[4:5], v[6:7], v[47:48]
	ds_read2_b64 v[31:34], v22 offset0:29 offset1:30
	s_waitcnt lgkmcnt(1)
	v_mul_f64 v[6:7], v[51:52], v[14:15]
	v_fma_f64 v[8:9], -v[4:5], v[8:9], v[49:50]
	v_fma_f64 v[59:60], -v[2:3], v[25:26], v[35:36]
	ds_read2_b64 v[23:26], v22 offset0:53 offset1:54
	v_fma_f64 v[51:52], -v[2:3], v[27:28], v[37:38]
	v_fma_f64 v[55:56], -v[2:3], v[29:30], v[55:56]
	ds_read_b128 v[27:30], v22 offset:320
	ds_read_b128 v[35:38], v22 offset:336
	s_waitcnt lgkmcnt(3)
	v_fma_f64 v[49:50], -v[2:3], v[31:32], v[57:58]
	v_fma_f64 v[47:48], -v[6:7], v[16:17], v[47:48]
	;; [unrolled: 1-line block ×3, first 2 shown]
	ds_read_b128 v[14:17], v22 offset:544
	ds_read_b128 v[31:34], v22 offset:560
	v_fma_f64 v[43:44], -v[4:5], v[10:11], v[43:44]
	s_waitcnt lgkmcnt(4)
	v_fma_f64 v[23:24], -v[6:7], v[23:24], v[8:9]
	v_fma_f64 v[45:46], -v[4:5], v[12:13], v[45:46]
	ds_read2_b64 v[10:13], v22 offset0:31 offset1:63
	s_waitcnt lgkmcnt(4)
	v_fma_f64 v[18:19], -v[4:5], v[27:28], v[18:19]
	s_waitcnt lgkmcnt(2)
	v_mul_f64 v[8:9], v[47:48], v[14:15]
	v_fma_f64 v[47:48], -v[4:5], v[29:30], v[53:54]
	ds_read_b128 v[27:30], v22 offset:352
	v_fma_f64 v[53:54], -v[4:5], v[35:36], v[59:60]
	s_waitcnt lgkmcnt(1)
	v_fma_f64 v[10:11], -v[2:3], v[10:11], v[41:42]
	v_fma_f64 v[43:44], -v[6:7], v[25:26], v[43:44]
	;; [unrolled: 1-line block ×4, first 2 shown]
	ds_read_b128 v[14:17], v22 offset:368
	s_waitcnt lgkmcnt(1)
	v_fma_f64 v[41:42], -v[4:5], v[27:28], v[55:56]
	v_fma_f64 v[49:50], -v[4:5], v[29:30], v[49:50]
	ds_read2_b64 v[27:30], v22 offset0:85 offset1:86
	ds_read2_b64 v[23:26], v22 offset0:55 offset1:56
	s_waitcnt lgkmcnt(2)
	v_fma_f64 v[39:40], -v[4:5], v[14:15], v[39:40]
	v_fma_f64 v[55:56], -v[4:5], v[16:17], v[10:11]
	ds_read2_b64 v[14:17], v22 offset0:87 offset1:88
	s_waitcnt lgkmcnt(2)
	v_mul_f64 v[10:11], v[35:36], v[27:28]
	ds_read2_b64 v[35:38], v22 offset0:57 offset1:58
	s_waitcnt lgkmcnt(2)
	v_fma_f64 v[23:24], -v[6:7], v[23:24], v[45:46]
	v_fma_f64 v[27:28], -v[8:9], v[31:32], v[43:44]
	;; [unrolled: 1-line block ×3, first 2 shown]
	s_waitcnt lgkmcnt(0)
	v_fma_f64 v[47:48], -v[6:7], v[35:36], v[47:48]
	v_fma_f64 v[53:54], -v[6:7], v[37:38], v[53:54]
	;; [unrolled: 1-line block ×5, first 2 shown]
	ds_read2_b64 v[23:26], v22 offset0:59 offset1:60
	ds_read2_b64 v[31:34], v22 offset0:61 offset1:62
	ds_read_b128 v[27:30], v22 offset:576
	ds_read_b128 v[35:38], v22 offset:816
	s_waitcnt lgkmcnt(3)
	v_fma_f64 v[51:52], -v[6:7], v[23:24], v[51:52]
	v_fma_f64 v[57:58], -v[6:7], v[25:26], v[41:42]
	s_waitcnt lgkmcnt(2)
	v_fma_f64 v[59:60], -v[6:7], v[33:34], v[39:40]
	v_fma_f64 v[39:40], -v[10:11], v[14:15], v[43:44]
	s_waitcnt lgkmcnt(0)
	v_mul_f64 v[14:15], v[45:46], v[35:36]
	ds_read_b128 v[23:26], v22 offset:592
	v_fma_f64 v[18:19], -v[8:9], v[27:28], v[18:19]
	v_fma_f64 v[41:42], -v[8:9], v[29:30], v[47:48]
	v_fma_f64 v[49:50], -v[6:7], v[31:32], v[49:50]
	ds_read2_b64 v[27:30], v22 offset0:89 offset1:90
	ds_read2_b64 v[31:34], v22 offset0:91 offset1:92
	s_waitcnt lgkmcnt(2)
	v_fma_f64 v[47:48], -v[8:9], v[23:24], v[53:54]
	v_fma_f64 v[51:52], -v[8:9], v[25:26], v[51:52]
	;; [unrolled: 1-line block ×3, first 2 shown]
	ds_read_b128 v[35:38], v22 offset:832
	v_fma_f64 v[43:44], -v[10:11], v[16:17], v[18:19]
	ds_read2_b64 v[16:19], v22 offset0:119 offset1:120
	ds_read2_b64 v[23:26], v22 offset0:121 offset1:122
	s_waitcnt lgkmcnt(4)
	v_fma_f64 v[27:28], -v[10:11], v[27:28], v[41:42]
	v_fma_f64 v[47:48], -v[10:11], v[29:30], v[47:48]
	s_waitcnt lgkmcnt(1)
	v_mul_f64 v[16:17], v[39:40], v[16:17]
	ds_read_b128 v[39:42], v22 offset:848
	v_fma_f64 v[43:44], -v[14:15], v[35:36], v[43:44]
	v_fma_f64 v[53:54], -v[14:15], v[37:38], v[27:28]
	ds_read_b128 v[35:38], v22 offset:608
	v_fma_f64 v[18:19], -v[16:17], v[18:19], v[43:44]
	ds_read_b128 v[43:46], v22 offset:624
	s_waitcnt lgkmcnt(1)
	v_fma_f64 v[55:56], -v[8:9], v[35:36], v[57:58]
	v_fma_f64 v[57:58], -v[8:9], v[37:38], v[49:50]
	ds_read_b128 v[27:30], v22 offset:1088
	ds_read_b128 v[35:38], v22 offset:1104
	s_waitcnt lgkmcnt(2)
	v_fma_f64 v[59:60], -v[8:9], v[43:44], v[59:60]
	v_fma_f64 v[43:44], -v[16:17], v[23:24], v[53:54]
	s_waitcnt lgkmcnt(1)
	v_mul_f64 v[23:24], v[18:19], v[27:28]
	v_fma_f64 v[18:19], -v[10:11], v[31:32], v[51:52]
	v_fma_f64 v[31:32], -v[14:15], v[39:40], v[47:48]
	;; [unrolled: 1-line block ×7, first 2 shown]
	ds_read2_b64 v[39:42], v22 offset0:153 offset1:154
	ds_read2_b64 v[43:46], v22 offset0:123 offset1:124
	;; [unrolled: 1-line block ×4, first 2 shown]
	s_waitcnt lgkmcnt(3)
	v_mul_f64 v[25:26], v[47:48], v[39:40]
	ds_read2_b64 v[47:50], v22 offset0:125 offset1:126
	v_fma_f64 v[39:40], -v[23:24], v[35:36], v[51:52]
	s_waitcnt lgkmcnt(3)
	v_fma_f64 v[18:19], -v[16:17], v[43:44], v[18:19]
	v_fma_f64 v[55:56], -v[25:26], v[41:42], v[39:40]
	ds_read_b128 v[39:42], v22 offset:880
	s_waitcnt lgkmcnt(3)
	v_fma_f64 v[43:44], -v[10:11], v[27:28], v[57:58]
	v_fma_f64 v[51:52], -v[10:11], v[29:30], v[59:60]
	ds_read_b128 v[27:30], v22 offset:864
	v_fma_f64 v[18:19], -v[23:24], v[37:38], v[18:19]
	ds_read2_b64 v[35:38], v22 offset0:95 offset1:127
	s_waitcnt lgkmcnt(1)
	v_fma_f64 v[53:54], -v[14:15], v[27:28], v[53:54]
	s_waitcnt lgkmcnt(0)
	v_fma_f64 v[12:13], -v[10:11], v[35:36], v[12:13]
	v_fma_f64 v[35:36], -v[14:15], v[29:30], v[43:44]
	;; [unrolled: 1-line block ×3, first 2 shown]
	ds_read_b128 v[27:30], v22 offset:1360
	v_fma_f64 v[18:19], -v[25:26], v[31:32], v[18:19]
	v_fma_f64 v[51:52], -v[16:17], v[45:46], v[53:54]
	ds_read_b128 v[43:46], v22 offset:1120
	v_fma_f64 v[12:13], -v[14:15], v[41:42], v[12:13]
	s_waitcnt lgkmcnt(1)
	v_mul_f64 v[27:28], v[55:56], v[27:28]
	v_fma_f64 v[31:32], -v[16:17], v[47:48], v[35:36]
	v_fma_f64 v[55:56], -v[16:17], v[49:50], v[39:40]
	ds_read_b128 v[39:42], v22 offset:1136
	ds_read2_b64 v[47:50], v22 offset0:157 offset1:158
	s_waitcnt lgkmcnt(2)
	v_fma_f64 v[35:36], -v[23:24], v[43:44], v[51:52]
	ds_read_b128 v[51:54], v22 offset:1392
	v_fma_f64 v[12:13], -v[16:17], v[37:38], v[12:13]
	v_fma_f64 v[18:19], -v[27:28], v[29:30], v[18:19]
	;; [unrolled: 1-line block ×3, first 2 shown]
	ds_read2_b64 v[29:32], v22 offset0:187 offset1:188
	ds_read2_b64 v[43:46], v22 offset0:189 offset1:190
	v_fma_f64 v[59:60], -v[25:26], v[33:34], v[35:36]
	ds_read_b128 v[33:36], v22 offset:1376
	s_waitcnt lgkmcnt(5)
	v_fma_f64 v[12:13], -v[23:24], v[41:42], v[12:13]
	s_waitcnt lgkmcnt(2)
	v_mul_f64 v[29:30], v[18:19], v[29:30]
	v_fma_f64 v[18:19], -v[23:24], v[39:40], v[55:56]
	v_fma_f64 v[37:38], -v[25:26], v[47:48], v[57:58]
	s_waitcnt lgkmcnt(0)
	v_fma_f64 v[33:34], -v[27:28], v[33:34], v[59:60]
	v_fma_f64 v[18:19], -v[25:26], v[49:50], v[18:19]
	;; [unrolled: 1-line block ×4, first 2 shown]
	ds_read2_b64 v[31:34], v22 offset0:159 offset1:191
	ds_read_b128 v[35:38], v22 offset:1632
	ds_read_b128 v[39:42], v22 offset:1648
	s_waitcnt lgkmcnt(2)
	v_fma_f64 v[12:13], -v[25:26], v[31:32], v[12:13]
	v_fma_f64 v[18:19], -v[27:28], v[51:52], v[18:19]
	;; [unrolled: 1-line block ×3, first 2 shown]
	s_waitcnt lgkmcnt(1)
	v_mul_f64 v[31:32], v[49:50], v[35:36]
	v_fma_f64 v[12:13], -v[27:28], v[53:54], v[12:13]
	v_fma_f64 v[18:19], -v[29:30], v[45:46], v[18:19]
	;; [unrolled: 1-line block ×3, first 2 shown]
	ds_read2_b64 v[35:38], v22 offset0:221 offset1:222
	ds_read_b128 v[43:46], v22 offset:1904
	v_fma_f64 v[12:13], -v[29:30], v[33:34], v[12:13]
	s_waitcnt lgkmcnt(2)
	v_fma_f64 v[18:19], -v[31:32], v[39:40], v[18:19]
	s_waitcnt lgkmcnt(1)
	v_mul_f64 v[33:34], v[47:48], v[35:36]
	v_fma_f64 v[12:13], -v[31:32], v[41:42], v[12:13]
	v_fma_f64 v[18:19], -v[33:34], v[37:38], v[18:19]
	ds_read2_b64 v[35:38], v22 offset0:223 offset1:255
	s_waitcnt lgkmcnt(0)
	v_fma_f64 v[12:13], -v[33:34], v[35:36], v[12:13]
	v_mul_f64 v[35:36], v[18:19], v[43:44]
	v_fma_f64 v[12:13], -v[35:36], v[45:46], v[12:13]
	v_mul_f64 v[37:38], v[12:13], v[37:38]
	global_store_dwordx4 v[20:21], v[0:3], off
	global_store_dwordx4 v[20:21], v[4:7], off offset:16
	global_store_dwordx4 v[20:21], v[8:11], off offset:32
	;; [unrolled: 1-line block ×7, first 2 shown]
	s_cmp_lt_i32 s4, s22
	s_cbranch_scc1 .LBB85_34
	s_branch .LBB85_44
.LBB85_33:
	s_mov_b32 s4, 0
	s_cmp_lt_i32 s4, s22
	s_cbranch_scc0 .LBB85_44
.LBB85_34:
	s_or_b32 s5, s4, 11
	s_cmp_ge_u32 s5, s22
	s_cbranch_scc1 .LBB85_39
; %bb.35:
	s_lshl_b32 s5, s4, 3
	v_add_co_u32_e32 v0, vcc, s5, v20
	v_addc_co_u32_e32 v1, vcc, 0, v21, vcc
	global_load_dwordx4 v[2:5], v[0:1], off
	global_load_dwordx4 v[6:9], v[0:1], off offset:16
	global_load_dwordx4 v[10:13], v[0:1], off offset:32
	global_load_dwordx4 v[28:31], v[0:1], off offset:48
	global_load_dwordx4 v[32:35], v[0:1], off offset:64
	global_load_dwordx4 v[36:39], v[0:1], off offset:80
	s_andn2_b64 vcc, exec, s[2:3]
	s_waitcnt vmcnt(5)
	v_mul_f64 v[26:27], s[0:1], v[2:3]
	v_mul_f64 v[24:25], s[0:1], v[4:5]
	s_waitcnt vmcnt(4)
	v_mul_f64 v[22:23], s[0:1], v[6:7]
	v_mul_f64 v[18:19], s[0:1], v[8:9]
	s_waitcnt vmcnt(3)
	v_mul_f64 v[16:17], s[0:1], v[10:11]
	v_mul_f64 v[14:15], s[0:1], v[12:13]
	s_waitcnt vmcnt(2)
	v_mul_f64 v[12:13], s[0:1], v[28:29]
	v_mul_f64 v[10:11], s[0:1], v[30:31]
	s_waitcnt vmcnt(1)
	v_mul_f64 v[4:5], s[0:1], v[32:33]
	v_mul_f64 v[2:3], s[0:1], v[34:35]
	s_waitcnt vmcnt(0)
	v_mul_f64 v[6:7], s[0:1], v[36:37]
	v_mul_f64 v[8:9], s[0:1], v[38:39]
	s_cbranch_vccnz .LBB85_38
; %bb.36:
	v_mov_b32_e32 v29, v21
	v_mov_b32_e32 v28, v20
	s_mov_b32 s2, s4
.LBB85_37:                              ; =>This Inner Loop Header: Depth=1
	global_load_dwordx2 v[46:47], v[28:29], off
	v_mov_b32_e32 v42, s5
	ds_read_b128 v[30:33], v42
	ds_read_b128 v[34:37], v42 offset:16
	ds_read_b128 v[38:41], v42 offset:32
	s_add_i32 s2, s2, -1
	s_addk_i32 s5, 0x80
	v_add_co_u32_e32 v28, vcc, 8, v28
	s_cmp_lg_u32 s2, 0
	v_addc_co_u32_e32 v29, vcc, 0, v29, vcc
	s_waitcnt vmcnt(0) lgkmcnt(2)
	v_fma_f64 v[26:27], -v[46:47], v[30:31], v[26:27]
	v_fma_f64 v[24:25], -v[46:47], v[32:33], v[24:25]
	ds_read_b128 v[30:33], v42 offset:48
	s_waitcnt lgkmcnt(2)
	v_fma_f64 v[22:23], -v[46:47], v[34:35], v[22:23]
	v_fma_f64 v[18:19], -v[46:47], v[36:37], v[18:19]
	ds_read_b128 v[34:37], v42 offset:64
	ds_read_b128 v[42:45], v42 offset:80
	s_waitcnt lgkmcnt(3)
	v_fma_f64 v[16:17], -v[46:47], v[38:39], v[16:17]
	v_fma_f64 v[14:15], -v[46:47], v[40:41], v[14:15]
	s_waitcnt lgkmcnt(2)
	v_fma_f64 v[12:13], -v[46:47], v[30:31], v[12:13]
	v_fma_f64 v[10:11], -v[46:47], v[32:33], v[10:11]
	;; [unrolled: 3-line block ×4, first 2 shown]
	s_cbranch_scc1 .LBB85_37
.LBB85_38:
	s_lshl_b32 s2, s4, 3
	s_lshl_b32 s3, s4, 7
	s_add_i32 s2, s2, s3
	v_mov_b32_e32 v62, s2
	ds_read_b128 v[28:31], v62
	ds_read_b128 v[32:35], v62 offset:16
	s_or_b32 s4, s4, 12
	s_waitcnt lgkmcnt(1)
	v_mul_f64 v[26:27], v[26:27], v[28:29]
	v_fma_f64 v[24:25], -v[26:27], v[30:31], v[24:25]
	ds_read2_b64 v[28:31], v62 offset0:17 offset1:18
	ds_read2_b64 v[36:39], v62 offset0:19 offset1:20
	s_waitcnt lgkmcnt(2)
	v_fma_f64 v[22:23], -v[26:27], v[32:33], v[22:23]
	v_fma_f64 v[18:19], -v[26:27], v[34:35], v[18:19]
	s_waitcnt lgkmcnt(1)
	v_mul_f64 v[28:29], v[24:25], v[28:29]
	v_fma_f64 v[34:35], -v[28:29], v[30:31], v[22:23]
	ds_read_b128 v[22:25], v62 offset:272
	ds_read_b128 v[30:33], v62 offset:32
	ds_read2_b64 v[40:43], v62 offset0:25 offset1:26
	s_waitcnt lgkmcnt(3)
	v_fma_f64 v[44:45], -v[28:29], v[36:37], v[18:19]
	s_waitcnt lgkmcnt(1)
	v_fma_f64 v[30:31], -v[26:27], v[30:31], v[16:17]
	v_fma_f64 v[56:57], -v[26:27], v[32:33], v[14:15]
	ds_read2_b64 v[16:19], v62 offset0:51 offset1:52
	v_mul_f64 v[22:23], v[34:35], v[22:23]
	ds_read_b128 v[34:37], v62 offset:48
	v_fma_f64 v[38:39], -v[28:29], v[38:39], v[30:31]
	s_waitcnt lgkmcnt(0)
	v_fma_f64 v[34:35], -v[26:27], v[34:35], v[12:13]
	v_fma_f64 v[10:11], -v[26:27], v[36:37], v[10:11]
	;; [unrolled: 1-line block ×3, first 2 shown]
	ds_read2_b64 v[30:33], v62 offset0:21 offset1:22
	ds_read2_b64 v[44:47], v62 offset0:23 offset1:24
	ds_read_b128 v[48:51], v62 offset:288
	ds_read2_b64 v[52:55], v62 offset0:53 offset1:54
	ds_read_b128 v[12:15], v62 offset:304
	s_waitcnt lgkmcnt(2)
	v_fma_f64 v[38:39], -v[22:23], v[48:49], v[38:39]
	v_mul_f64 v[24:25], v[24:25], v[16:17]
	v_fma_f64 v[16:17], -v[28:29], v[30:31], v[56:57]
	v_fma_f64 v[56:57], -v[28:29], v[32:33], v[34:35]
	ds_read_b128 v[30:33], v62 offset:64
	ds_read_b128 v[34:37], v62 offset:80
	s_waitcnt lgkmcnt(1)
	v_fma_f64 v[4:5], -v[26:27], v[30:31], v[4:5]
	v_fma_f64 v[38:39], -v[24:25], v[18:19], v[38:39]
	;; [unrolled: 1-line block ×3, first 2 shown]
	ds_read_b128 v[16:19], v62 offset:544
	ds_read_b128 v[48:51], v62 offset:560
	v_fma_f64 v[60:61], -v[26:27], v[32:33], v[2:3]
	v_fma_f64 v[30:31], -v[28:29], v[44:45], v[10:11]
	s_waitcnt lgkmcnt(2)
	v_fma_f64 v[44:45], -v[26:27], v[36:37], v[8:9]
	v_fma_f64 v[36:37], -v[22:23], v[12:13], v[56:57]
	;; [unrolled: 1-line block ×3, first 2 shown]
	s_waitcnt lgkmcnt(1)
	v_mul_f64 v[2:3], v[38:39], v[16:17]
	v_fma_f64 v[32:33], -v[24:25], v[52:53], v[58:59]
	v_fma_f64 v[38:39], -v[28:29], v[46:47], v[4:5]
	ds_read_b128 v[4:7], v62 offset:320
	ds_read_b128 v[8:11], v62 offset:336
	v_fma_f64 v[46:47], -v[22:23], v[14:15], v[30:31]
	v_fma_f64 v[56:57], -v[28:29], v[40:41], v[60:61]
	;; [unrolled: 1-line block ×4, first 2 shown]
	ds_read2_b64 v[34:37], v62 offset0:87 offset1:88
	v_fma_f64 v[52:53], -v[2:3], v[18:19], v[32:33]
	ds_read2_b64 v[16:19], v62 offset0:55 offset1:56
	ds_read2_b64 v[30:33], v62 offset0:85 offset1:86
	s_waitcnt lgkmcnt(4)
	v_fma_f64 v[42:43], -v[22:23], v[4:5], v[38:39]
	ds_read2_b64 v[38:41], v62 offset0:57 offset1:58
	ds_read2_b64 v[12:15], v62 offset0:27 offset1:59
	v_fma_f64 v[6:7], -v[22:23], v[6:7], v[56:57]
	s_waitcnt lgkmcnt(5)
	v_fma_f64 v[8:9], -v[22:23], v[8:9], v[58:59]
	s_waitcnt lgkmcnt(2)
	v_mul_f64 v[4:5], v[52:53], v[30:31]
	v_fma_f64 v[30:31], -v[24:25], v[16:17], v[46:47]
	v_fma_f64 v[46:47], -v[2:3], v[48:49], v[54:55]
	s_waitcnt lgkmcnt(0)
	v_fma_f64 v[12:13], -v[28:29], v[12:13], v[44:45]
	v_fma_f64 v[52:53], -v[24:25], v[18:19], v[42:43]
	ds_read_b128 v[16:19], v62 offset:576
	ds_read_b128 v[42:45], v62 offset:592
	v_fma_f64 v[50:51], -v[2:3], v[50:51], v[30:31]
	v_fma_f64 v[54:55], -v[4:5], v[32:33], v[46:47]
	ds_read_b128 v[30:33], v62 offset:816
	ds_read2_b64 v[46:49], v62 offset0:89 offset1:90
	v_fma_f64 v[12:13], -v[22:23], v[10:11], v[12:13]
	v_fma_f64 v[10:11], -v[24:25], v[38:39], v[6:7]
	s_waitcnt lgkmcnt(3)
	v_fma_f64 v[16:17], -v[2:3], v[16:17], v[52:53]
	v_fma_f64 v[38:39], -v[24:25], v[40:41], v[8:9]
	;; [unrolled: 1-line block ×3, first 2 shown]
	s_waitcnt lgkmcnt(1)
	v_mul_f64 v[6:7], v[54:55], v[30:31]
	v_fma_f64 v[12:13], -v[24:25], v[14:15], v[12:13]
	v_fma_f64 v[40:41], -v[2:3], v[18:19], v[10:11]
	;; [unrolled: 1-line block ×5, first 2 shown]
	ds_read_b128 v[8:11], v62 offset:832
	ds_read_b128 v[16:19], v62 offset:848
	ds_read2_b64 v[30:33], v62 offset0:119 offset1:120
	ds_read2_b64 v[34:37], v62 offset0:121 offset1:122
	v_fma_f64 v[42:43], -v[2:3], v[44:45], v[12:13]
	s_waitcnt lgkmcnt(4)
	v_fma_f64 v[38:39], -v[4:5], v[46:47], v[40:41]
	s_waitcnt lgkmcnt(3)
	v_fma_f64 v[40:41], -v[6:7], v[8:9], v[50:51]
	v_fma_f64 v[14:15], -v[4:5], v[48:49], v[14:15]
	s_waitcnt lgkmcnt(1)
	v_mul_f64 v[8:9], v[52:53], v[30:31]
	v_fma_f64 v[44:45], -v[6:7], v[10:11], v[38:39]
	v_fma_f64 v[14:15], -v[6:7], v[16:17], v[14:15]
	;; [unrolled: 1-line block ×3, first 2 shown]
	ds_read2_b64 v[10:13], v62 offset0:91 offset1:123
	ds_read_b128 v[30:33], v62 offset:1088
	ds_read_b128 v[38:41], v62 offset:1104
	s_waitcnt lgkmcnt(3)
	v_fma_f64 v[16:17], -v[8:9], v[34:35], v[44:45]
	s_waitcnt lgkmcnt(2)
	v_fma_f64 v[42:43], -v[4:5], v[10:11], v[42:43]
	v_fma_f64 v[34:35], -v[8:9], v[36:37], v[14:15]
	s_waitcnt lgkmcnt(1)
	v_mul_f64 v[10:11], v[46:47], v[30:31]
	v_fma_f64 v[18:19], -v[6:7], v[18:19], v[42:43]
	v_fma_f64 v[36:37], -v[10:11], v[32:33], v[16:17]
	ds_read2_b64 v[14:17], v62 offset0:153 offset1:154
	ds_read_b128 v[30:33], v62 offset:1360
	s_waitcnt lgkmcnt(2)
	v_fma_f64 v[34:35], -v[10:11], v[38:39], v[34:35]
	v_fma_f64 v[18:19], -v[8:9], v[12:13], v[18:19]
	s_waitcnt lgkmcnt(1)
	v_mul_f64 v[12:13], v[36:37], v[14:15]
	v_fma_f64 v[18:19], -v[10:11], v[40:41], v[18:19]
	v_fma_f64 v[34:35], -v[12:13], v[16:17], v[34:35]
	ds_read2_b64 v[14:17], v62 offset0:155 offset1:187
	s_waitcnt lgkmcnt(0)
	v_fma_f64 v[18:19], -v[12:13], v[14:15], v[18:19]
	v_mul_f64 v[14:15], v[34:35], v[30:31]
	v_fma_f64 v[18:19], -v[14:15], v[32:33], v[18:19]
	v_mul_f64 v[16:17], v[18:19], v[16:17]
	global_store_dwordx4 v[0:1], v[26:29], off
	global_store_dwordx4 v[0:1], v[22:25], off offset:16
	global_store_dwordx4 v[0:1], v[2:5], off offset:32
	;; [unrolled: 1-line block ×5, first 2 shown]
.LBB85_39:
	s_cmp_ge_i32 s4, s22
	s_cbranch_scc1 .LBB85_44
; %bb.40:
	s_lshl_b32 s2, s4, 3
	s_mov_b32 s5, 0
	s_branch .LBB85_42
.LBB85_41:                              ;   in Loop: Header=BB85_42 Depth=1
	s_mul_i32 s3, s4, 0x88
	v_mov_b32_e32 v4, s3
	ds_read_b64 v[4:5], v4
	s_add_i32 s4, s4, 1
	s_add_i32 s2, s2, 8
	s_cmp_ge_i32 s4, s22
	s_waitcnt lgkmcnt(0)
	v_mul_f64 v[2:3], v[2:3], v[4:5]
	global_store_dwordx2 v[0:1], v[2:3], off
	s_cbranch_scc1 .LBB85_44
.LBB85_42:                              ; =>This Loop Header: Depth=1
                                        ;     Child Loop BB85_43 Depth 2
	s_lshl_b64 s[6:7], s[4:5], 3
	v_mov_b32_e32 v1, s7
	v_add_co_u32_e32 v0, vcc, s6, v20
	v_addc_co_u32_e32 v1, vcc, v21, v1, vcc
	global_load_dwordx2 v[2:3], v[0:1], off
	v_mov_b32_e32 v4, v20
	s_cmp_eq_u32 s4, 0
	v_mov_b32_e32 v5, v21
	s_mov_b32 s3, s2
	s_mov_b32 s6, s4
	s_waitcnt vmcnt(0)
	v_mul_f64 v[2:3], s[0:1], v[2:3]
	s_cbranch_scc1 .LBB85_41
.LBB85_43:                              ;   Parent Loop BB85_42 Depth=1
                                        ; =>  This Inner Loop Header: Depth=2
	global_load_dwordx2 v[6:7], v[4:5], off
	v_mov_b32_e32 v8, s3
	ds_read_b64 v[8:9], v8
	s_add_i32 s6, s6, -1
	s_addk_i32 s3, 0x80
	v_add_co_u32_e32 v4, vcc, 8, v4
	s_cmp_lg_u32 s6, 0
	v_addc_co_u32_e32 v5, vcc, 0, v5, vcc
	s_waitcnt vmcnt(0) lgkmcnt(0)
	v_fma_f64 v[2:3], -v[6:7], v[8:9], v[2:3]
	s_cbranch_scc1 .LBB85_43
	s_branch .LBB85_41
.LBB85_44:
	s_endpgm
	.section	.rodata,"a",@progbits
	.p2align	6, 0x0
	.amdhsa_kernel _ZL30rocblas_trsm_small_left_deviceILi16ELi16ELb1EddPKdPdEv13rocblas_fill_18rocblas_operation_17rocblas_diagonal_iiT3_T4_lilT5_lili
		.amdhsa_group_segment_fixed_size 2048
		.amdhsa_private_segment_fixed_size 0
		.amdhsa_kernarg_size 360
		.amdhsa_user_sgpr_count 6
		.amdhsa_user_sgpr_private_segment_buffer 1
		.amdhsa_user_sgpr_dispatch_ptr 0
		.amdhsa_user_sgpr_queue_ptr 0
		.amdhsa_user_sgpr_kernarg_segment_ptr 1
		.amdhsa_user_sgpr_dispatch_id 0
		.amdhsa_user_sgpr_flat_scratch_init 0
		.amdhsa_user_sgpr_private_segment_size 0
		.amdhsa_uses_dynamic_stack 0
		.amdhsa_system_sgpr_private_segment_wavefront_offset 0
		.amdhsa_system_sgpr_workgroup_id_x 1
		.amdhsa_system_sgpr_workgroup_id_y 0
		.amdhsa_system_sgpr_workgroup_id_z 1
		.amdhsa_system_sgpr_workgroup_info 0
		.amdhsa_system_vgpr_workitem_id 0
		.amdhsa_next_free_vgpr 63
		.amdhsa_next_free_sgpr 61
		.amdhsa_reserve_vcc 1
		.amdhsa_reserve_flat_scratch 0
		.amdhsa_float_round_mode_32 0
		.amdhsa_float_round_mode_16_64 0
		.amdhsa_float_denorm_mode_32 3
		.amdhsa_float_denorm_mode_16_64 3
		.amdhsa_dx10_clamp 1
		.amdhsa_ieee_mode 1
		.amdhsa_fp16_overflow 0
		.amdhsa_exception_fp_ieee_invalid_op 0
		.amdhsa_exception_fp_denorm_src 0
		.amdhsa_exception_fp_ieee_div_zero 0
		.amdhsa_exception_fp_ieee_overflow 0
		.amdhsa_exception_fp_ieee_underflow 0
		.amdhsa_exception_fp_ieee_inexact 0
		.amdhsa_exception_int_div_zero 0
	.end_amdhsa_kernel
	.section	.text._ZL30rocblas_trsm_small_left_deviceILi16ELi16ELb1EddPKdPdEv13rocblas_fill_18rocblas_operation_17rocblas_diagonal_iiT3_T4_lilT5_lili,"axG",@progbits,_ZL30rocblas_trsm_small_left_deviceILi16ELi16ELb1EddPKdPdEv13rocblas_fill_18rocblas_operation_17rocblas_diagonal_iiT3_T4_lilT5_lili,comdat
.Lfunc_end85:
	.size	_ZL30rocblas_trsm_small_left_deviceILi16ELi16ELb1EddPKdPdEv13rocblas_fill_18rocblas_operation_17rocblas_diagonal_iiT3_T4_lilT5_lili, .Lfunc_end85-_ZL30rocblas_trsm_small_left_deviceILi16ELi16ELb1EddPKdPdEv13rocblas_fill_18rocblas_operation_17rocblas_diagonal_iiT3_T4_lilT5_lili
                                        ; -- End function
	.set _ZL30rocblas_trsm_small_left_deviceILi16ELi16ELb1EddPKdPdEv13rocblas_fill_18rocblas_operation_17rocblas_diagonal_iiT3_T4_lilT5_lili.num_vgpr, 63
	.set _ZL30rocblas_trsm_small_left_deviceILi16ELi16ELb1EddPKdPdEv13rocblas_fill_18rocblas_operation_17rocblas_diagonal_iiT3_T4_lilT5_lili.num_agpr, 0
	.set _ZL30rocblas_trsm_small_left_deviceILi16ELi16ELb1EddPKdPdEv13rocblas_fill_18rocblas_operation_17rocblas_diagonal_iiT3_T4_lilT5_lili.numbered_sgpr, 32
	.set _ZL30rocblas_trsm_small_left_deviceILi16ELi16ELb1EddPKdPdEv13rocblas_fill_18rocblas_operation_17rocblas_diagonal_iiT3_T4_lilT5_lili.num_named_barrier, 0
	.set _ZL30rocblas_trsm_small_left_deviceILi16ELi16ELb1EddPKdPdEv13rocblas_fill_18rocblas_operation_17rocblas_diagonal_iiT3_T4_lilT5_lili.private_seg_size, 0
	.set _ZL30rocblas_trsm_small_left_deviceILi16ELi16ELb1EddPKdPdEv13rocblas_fill_18rocblas_operation_17rocblas_diagonal_iiT3_T4_lilT5_lili.uses_vcc, 1
	.set _ZL30rocblas_trsm_small_left_deviceILi16ELi16ELb1EddPKdPdEv13rocblas_fill_18rocblas_operation_17rocblas_diagonal_iiT3_T4_lilT5_lili.uses_flat_scratch, 0
	.set _ZL30rocblas_trsm_small_left_deviceILi16ELi16ELb1EddPKdPdEv13rocblas_fill_18rocblas_operation_17rocblas_diagonal_iiT3_T4_lilT5_lili.has_dyn_sized_stack, 0
	.set _ZL30rocblas_trsm_small_left_deviceILi16ELi16ELb1EddPKdPdEv13rocblas_fill_18rocblas_operation_17rocblas_diagonal_iiT3_T4_lilT5_lili.has_recursion, 0
	.set _ZL30rocblas_trsm_small_left_deviceILi16ELi16ELb1EddPKdPdEv13rocblas_fill_18rocblas_operation_17rocblas_diagonal_iiT3_T4_lilT5_lili.has_indirect_call, 0
	.section	.AMDGPU.csdata,"",@progbits
; Kernel info:
; codeLenInByte = 9368
; TotalNumSgprs: 36
; NumVgprs: 63
; ScratchSize: 0
; MemoryBound: 1
; FloatMode: 240
; IeeeMode: 1
; LDSByteSize: 2048 bytes/workgroup (compile time only)
; SGPRBlocks: 8
; VGPRBlocks: 15
; NumSGPRsForWavesPerEU: 65
; NumVGPRsForWavesPerEU: 63
; Occupancy: 4
; WaveLimiterHint : 1
; COMPUTE_PGM_RSRC2:SCRATCH_EN: 0
; COMPUTE_PGM_RSRC2:USER_SGPR: 6
; COMPUTE_PGM_RSRC2:TRAP_HANDLER: 0
; COMPUTE_PGM_RSRC2:TGID_X_EN: 1
; COMPUTE_PGM_RSRC2:TGID_Y_EN: 0
; COMPUTE_PGM_RSRC2:TGID_Z_EN: 1
; COMPUTE_PGM_RSRC2:TIDIG_COMP_CNT: 0
	.section	.text._ZL31rocblas_trsm_small_right_deviceIddPKdPdLi16EEv13rocblas_fill_18rocblas_operation_17rocblas_diagonal_iiT0_T1_lilT2_lili,"axG",@progbits,_ZL31rocblas_trsm_small_right_deviceIddPKdPdLi16EEv13rocblas_fill_18rocblas_operation_17rocblas_diagonal_iiT0_T1_lilT2_lili,comdat
	.globl	_ZL31rocblas_trsm_small_right_deviceIddPKdPdLi16EEv13rocblas_fill_18rocblas_operation_17rocblas_diagonal_iiT0_T1_lilT2_lili ; -- Begin function _ZL31rocblas_trsm_small_right_deviceIddPKdPdLi16EEv13rocblas_fill_18rocblas_operation_17rocblas_diagonal_iiT0_T1_lilT2_lili
	.p2align	8
	.type	_ZL31rocblas_trsm_small_right_deviceIddPKdPdLi16EEv13rocblas_fill_18rocblas_operation_17rocblas_diagonal_iiT0_T1_lilT2_lili,@function
_ZL31rocblas_trsm_small_right_deviceIddPKdPdLi16EEv13rocblas_fill_18rocblas_operation_17rocblas_diagonal_iiT0_T1_lilT2_lili: ; @_ZL31rocblas_trsm_small_right_deviceIddPKdPdLi16EEv13rocblas_fill_18rocblas_operation_17rocblas_diagonal_iiT0_T1_lilT2_lili
; %bb.0:
	s_load_dwordx4 s[8:11], s[4:5], 0x0
	s_load_dword s22, s[4:5], 0x10
	s_load_dwordx4 s[12:15], s[4:5], 0x18
	s_load_dwordx2 s[20:21], s[4:5], 0x28
	s_load_dwordx4 s[0:3], s[4:5], 0x38
	s_load_dwordx2 s[16:17], s[4:5], 0x48
	s_waitcnt lgkmcnt(0)
	s_min_i32 s23, s22, 16
	v_cmp_gt_i32_e32 vcc, s23, v0
	s_and_saveexec_b64 s[18:19], vcc
	s_cbranch_execz .LBB86_5
; %bb.1:
	s_load_dword s24, s[4:5], 0x30
	s_mul_i32 s1, s1, s7
	s_mul_hi_u32 s25, s0, s7
	s_mul_i32 s0, s0, s7
	s_add_i32 s1, s25, s1
	s_waitcnt lgkmcnt(0)
	s_ashr_i32 s25, s24, 31
	s_lshl_b64 s[0:1], s[0:1], 3
	s_add_u32 s14, s14, s0
	s_addc_u32 s15, s15, s1
	s_lshl_b64 s[0:1], s[20:21], 3
	s_add_u32 s0, s14, s0
	s_addc_u32 s1, s15, s1
	v_lshlrev_b32_e32 v3, 3, v0
	v_mov_b32_e32 v2, s1
	v_add_co_u32_e32 v1, vcc, s0, v3
	s_lshl_b64 s[0:1], s[24:25], 3
	v_addc_co_u32_e32 v2, vcc, 0, v2, vcc
	v_mov_b32_e32 v4, s1
	v_mov_b32_e32 v5, v3
	s_mov_b32 s1, s23
.LBB86_2:                               ; =>This Inner Loop Header: Depth=1
	global_load_dwordx2 v[6:7], v[1:2], off
	v_add_co_u32_e32 v1, vcc, s0, v1
	s_add_i32 s1, s1, -1
	v_addc_co_u32_e32 v2, vcc, v2, v4, vcc
	s_cmp_eq_u32 s1, 0
	s_waitcnt vmcnt(0)
	ds_write_b64 v5, v[6:7]
	v_add_u32_e32 v5, 0x80, v5
	s_cbranch_scc0 .LBB86_2
; %bb.3:
	s_cmpk_eq_i32 s10, 0x84
	s_cbranch_scc0 .LBB86_5
; %bb.4:
	v_lshl_or_b32 v3, v0, 7, v3
	v_mov_b32_e32 v1, 0
	v_mov_b32_e32 v2, 0x3ff00000
	ds_write_b64 v3, v[1:2]
.LBB86_5:
	s_or_b64 exec, exec, s[18:19]
	s_load_dword s0, s[4:5], 0x68
	s_load_dwordx2 s[14:15], s[4:5], 0x58
	s_load_dword s10, s[4:5], 0x50
	s_waitcnt lgkmcnt(0)
	s_mul_i32 s1, s15, s7
	s_mul_hi_u32 s5, s14, s7
	s_mul_i32 s4, s14, s7
	s_add_i32 s5, s5, s1
	s_lshl_b64 s[4:5], s[4:5], 3
	s_add_u32 s1, s2, s4
	s_addc_u32 s4, s3, s5
	s_lshl_b64 s[2:3], s[16:17], 3
	s_add_u32 s2, s1, s2
	s_addc_u32 s3, s4, s3
	s_lshl_b32 s1, s6, 4
	s_add_i32 s0, s0, -1
	s_sub_i32 s1, s11, s1
	s_cmp_ge_u32 s6, s0
	s_cselect_b32 s4, s1, 16
	s_ashr_i32 s7, s6, 31
	s_lshl_b64 s[0:1], s[6:7], 7
	s_add_u32 s14, s2, s0
	s_addc_u32 s15, s3, s1
	v_cmp_gt_i32_e64 s[0:1], s4, v0
	s_and_saveexec_b64 s[2:3], s[0:1]
	s_cbranch_execz .LBB86_9
; %bb.6:
	s_cmp_lt_i32 s22, 1
	s_cbranch_scc1 .LBB86_9
; %bb.7:
	s_ashr_i32 s11, s10, 31
	v_lshlrev_b32_e32 v3, 3, v0
	v_mov_b32_e32 v2, s15
	v_add_co_u32_e32 v1, vcc, s14, v3
	s_lshl_b64 s[4:5], s[10:11], 3
	v_addc_co_u32_e32 v2, vcc, 0, v2, vcc
	v_or_b32_e32 v3, 0x800, v3
	v_mov_b32_e32 v4, s5
	s_mov_b32 s5, s22
.LBB86_8:                               ; =>This Inner Loop Header: Depth=1
	global_load_dwordx2 v[5:6], v[1:2], off
	s_add_i32 s5, s5, -1
	v_add_co_u32_e32 v1, vcc, s4, v1
	v_addc_co_u32_e32 v2, vcc, v2, v4, vcc
	s_cmp_lg_u32 s5, 0
	s_waitcnt vmcnt(0)
	v_mul_f64 v[5:6], s[12:13], v[5:6]
	ds_write_b64 v3, v[5:6]
	v_add_u32_e32 v3, 0x80, v3
	s_cbranch_scc1 .LBB86_8
.LBB86_9:
	s_or_b64 exec, exec, s[2:3]
	s_cmpk_eq_i32 s9, 0x6f
	s_cselect_b64 s[2:3], -1, 0
	s_cmpk_lg_i32 s8, 0x79
	s_cselect_b64 s[4:5], -1, 0
	s_cmpk_eq_i32 s8, 0x79
	s_cselect_b64 s[6:7], -1, 0
	s_and_b64 s[6:7], s[6:7], s[2:3]
	s_andn2_b64 vcc, exec, s[6:7]
	s_mov_b64 s[6:7], -1
	s_waitcnt lgkmcnt(0)
	; wave barrier
	s_cbranch_vccz .LBB86_66
; %bb.10:
	s_cmpk_lg_i32 s8, 0x7a
	s_cselect_b64 s[12:13], -1, 0
	s_xor_b64 s[2:3], s[2:3], -1
	s_add_i32 s8, s23, -1
	s_or_b64 s[12:13], s[12:13], s[2:3]
	v_mov_b32_e32 v1, 0x800
	s_cmp_gt_i32 s22, 3
	v_lshl_or_b32 v9, v0, 3, v1
	s_cselect_b64 s[2:3], -1, 0
	s_and_b64 vcc, exec, s[12:13]
	s_cbranch_vccz .LBB86_45
; %bb.11:
	s_andn2_b64 vcc, exec, s[4:5]
	s_mov_b64 s[4:5], -1
	s_cbranch_vccnz .LBB86_24
; %bb.12:
	s_andn2_b64 vcc, exec, s[2:3]
	s_mov_b32 s6, 0
	s_cbranch_vccnz .LBB86_18
; %bb.13:
	v_mov_b32_e32 v1, 0x800
	v_lshl_or_b32 v10, v0, 3, v1
	s_mov_b32 s4, 0
	s_mov_b32 s5, 0
.LBB86_14:                              ; =>This Loop Header: Depth=1
                                        ;     Child Loop BB86_15 Depth 2
	s_lshl_b32 s7, s5, 7
	s_or_b32 s6, s5, 1
	v_add_u32_e32 v11, s7, v9
	v_lshl_add_u32 v13, s6, 7, v9
	s_or_b32 s9, s7, 0x180
	ds_read2_b64 v[1:4], v11 offset1:32
	v_add_u32_e32 v12, s9, v9
	ds_read_b64 v[7:8], v13
	ds_read_b64 v[5:6], v12
	s_cmp_eq_u32 s5, 0
	v_mov_b32_e32 v14, v10
	s_mov_b32 s9, s4
	s_mov_b32 s11, s5
	s_cbranch_scc1 .LBB86_16
.LBB86_15:                              ;   Parent Loop BB86_14 Depth=1
                                        ; =>  This Inner Loop Header: Depth=2
	v_mov_b32_e32 v19, s9
	ds_read_b64 v[23:24], v14
	ds_read_b128 v[15:18], v19
	ds_read_b128 v[19:22], v19 offset:16
	s_add_i32 s11, s11, -1
	s_addk_i32 s9, 0x80
	s_cmp_eq_u32 s11, 0
	s_waitcnt lgkmcnt(1)
	v_fma_f64 v[1:2], -v[23:24], v[15:16], v[1:2]
	v_fma_f64 v[7:8], -v[23:24], v[17:18], v[7:8]
	s_waitcnt lgkmcnt(0)
	v_fma_f64 v[3:4], -v[23:24], v[19:20], v[3:4]
	v_fma_f64 v[5:6], -v[23:24], v[21:22], v[5:6]
	v_add_u32_e32 v14, 0x80, v14
	s_cbranch_scc0 .LBB86_15
.LBB86_16:                              ;   in Loop: Header=BB86_14 Depth=1
	s_lshl_b32 s9, s5, 3
	s_add_i32 s7, s9, s7
	v_mov_b32_e32 v35, s7
	ds_read_b128 v[15:18], v35
	ds_read_b128 v[19:22], v35 offset:16
	s_lshl_b32 s6, s6, 3
	s_addk_i32 s7, 0x88
	s_sub_i32 s6, s7, s6
	s_waitcnt lgkmcnt(1)
	v_div_scale_f64 v[23:24], s[12:13], v[15:16], v[15:16], v[1:2]
	s_add_i32 s6, s6, s9
	s_add_i32 s4, s4, 32
	v_add_u32_e32 v14, 0x100, v11
	v_rcp_f64_e32 v[25:26], v[23:24]
	v_fma_f64 v[27:28], -v[23:24], v[25:26], 1.0
	v_fma_f64 v[25:26], v[25:26], v[27:28], v[25:26]
	v_div_scale_f64 v[27:28], vcc, v[1:2], v[15:16], v[1:2]
	v_fma_f64 v[29:30], -v[23:24], v[25:26], 1.0
	v_fma_f64 v[25:26], v[25:26], v[29:30], v[25:26]
	v_mul_f64 v[29:30], v[27:28], v[25:26]
	v_fma_f64 v[23:24], -v[23:24], v[29:30], v[27:28]
	v_div_fmas_f64 v[23:24], v[23:24], v[25:26], v[29:30]
	v_div_fixup_f64 v[1:2], v[23:24], v[15:16], v[1:2]
	v_fma_f64 v[7:8], -v[1:2], v[17:18], v[7:8]
	ds_read2_b64 v[15:18], v35 offset0:17 offset1:18
	ds_read_b128 v[23:26], v35 offset:272
	s_waitcnt lgkmcnt(2)
	v_fma_f64 v[3:4], -v[1:2], v[19:20], v[3:4]
	v_fma_f64 v[5:6], -v[1:2], v[21:22], v[5:6]
	s_waitcnt lgkmcnt(1)
	v_div_scale_f64 v[27:28], s[12:13], v[15:16], v[15:16], v[7:8]
	v_rcp_f64_e32 v[29:30], v[27:28]
	v_fma_f64 v[31:32], -v[27:28], v[29:30], 1.0
	v_fma_f64 v[29:30], v[29:30], v[31:32], v[29:30]
	v_div_scale_f64 v[31:32], vcc, v[7:8], v[15:16], v[7:8]
	v_fma_f64 v[33:34], -v[27:28], v[29:30], 1.0
	v_fma_f64 v[29:30], v[29:30], v[33:34], v[29:30]
	v_mul_f64 v[33:34], v[31:32], v[29:30]
	v_fma_f64 v[27:28], -v[27:28], v[33:34], v[31:32]
	v_div_fmas_f64 v[27:28], v[27:28], v[29:30], v[33:34]
	v_div_fixup_f64 v[7:8], v[27:28], v[15:16], v[7:8]
	v_fma_f64 v[3:4], -v[7:8], v[17:18], v[3:4]
	s_waitcnt lgkmcnt(0)
	v_div_scale_f64 v[15:16], s[12:13], v[23:24], v[23:24], v[3:4]
	v_rcp_f64_e32 v[17:18], v[15:16]
	v_fma_f64 v[19:20], -v[15:16], v[17:18], 1.0
	v_fma_f64 v[17:18], v[17:18], v[19:20], v[17:18]
	v_div_scale_f64 v[19:20], vcc, v[3:4], v[23:24], v[3:4]
	v_fma_f64 v[27:28], -v[15:16], v[17:18], 1.0
	v_fma_f64 v[17:18], v[17:18], v[27:28], v[17:18]
	v_mul_f64 v[27:28], v[19:20], v[17:18]
	v_fma_f64 v[15:16], -v[15:16], v[27:28], v[19:20]
	v_div_fmas_f64 v[15:16], v[15:16], v[17:18], v[27:28]
	v_mov_b32_e32 v17, s6
	ds_read_b64 v[17:18], v17 offset:24
	ds_read_b64 v[19:20], v35 offset:408
	s_waitcnt lgkmcnt(1)
	v_fma_f64 v[5:6], -v[7:8], v[17:18], v[5:6]
	v_div_fixup_f64 v[3:4], v[15:16], v[23:24], v[3:4]
	ds_write_b64 v11, v[1:2]
	ds_write_b64 v13, v[7:8]
	;; [unrolled: 1-line block ×3, first 2 shown]
	v_fma_f64 v[5:6], -v[3:4], v[25:26], v[5:6]
	s_waitcnt lgkmcnt(3)
	v_div_scale_f64 v[15:16], s[6:7], v[19:20], v[19:20], v[5:6]
	v_div_scale_f64 v[23:24], vcc, v[5:6], v[19:20], v[5:6]
	s_add_i32 s6, s5, 4
	s_add_i32 s5, s5, 7
	s_cmp_ge_i32 s5, s23
	v_rcp_f64_e32 v[17:18], v[15:16]
	v_fma_f64 v[21:22], -v[15:16], v[17:18], 1.0
	v_fma_f64 v[17:18], v[17:18], v[21:22], v[17:18]
	v_fma_f64 v[21:22], -v[15:16], v[17:18], 1.0
	v_fma_f64 v[17:18], v[17:18], v[21:22], v[17:18]
	v_mul_f64 v[21:22], v[23:24], v[17:18]
	v_fma_f64 v[15:16], -v[15:16], v[21:22], v[23:24]
	v_div_fmas_f64 v[15:16], v[15:16], v[17:18], v[21:22]
	v_div_fixup_f64 v[5:6], v[15:16], v[19:20], v[5:6]
	ds_write_b64 v12, v[5:6]
	s_cbranch_scc1 .LBB86_18
; %bb.17:                               ;   in Loop: Header=BB86_14 Depth=1
	s_mov_b32 s5, s6
	s_branch .LBB86_14
.LBB86_18:
	s_cmp_ge_i32 s6, s23
	s_cbranch_scc1 .LBB86_23
; %bb.19:
	v_mov_b32_e32 v1, 0x800
	s_lshl_b32 s4, s6, 3
	v_lshl_or_b32 v3, v0, 3, v1
	s_branch .LBB86_21
.LBB86_20:                              ;   in Loop: Header=BB86_21 Depth=1
	s_lshl_b32 s7, s6, 3
	s_add_i32 s5, s7, s5
	v_mov_b32_e32 v5, s5
	ds_read_b64 v[5:6], v5
	s_add_i32 s6, s6, 1
	s_add_i32 s4, s4, 8
	s_cmp_ge_i32 s6, s23
	s_waitcnt lgkmcnt(0)
	v_div_scale_f64 v[7:8], s[12:13], v[5:6], v[5:6], v[1:2]
	v_div_scale_f64 v[14:15], vcc, v[1:2], v[5:6], v[1:2]
	v_rcp_f64_e32 v[10:11], v[7:8]
	v_fma_f64 v[12:13], -v[7:8], v[10:11], 1.0
	v_fma_f64 v[10:11], v[10:11], v[12:13], v[10:11]
	v_fma_f64 v[12:13], -v[7:8], v[10:11], 1.0
	v_fma_f64 v[10:11], v[10:11], v[12:13], v[10:11]
	v_mul_f64 v[12:13], v[14:15], v[10:11]
	v_fma_f64 v[7:8], -v[7:8], v[12:13], v[14:15]
	v_div_fmas_f64 v[7:8], v[7:8], v[10:11], v[12:13]
	v_div_fixup_f64 v[1:2], v[7:8], v[5:6], v[1:2]
	ds_write_b64 v4, v[1:2]
	s_cbranch_scc1 .LBB86_23
.LBB86_21:                              ; =>This Loop Header: Depth=1
                                        ;     Child Loop BB86_22 Depth 2
	s_lshl_b32 s5, s6, 7
	v_add_u32_e32 v4, s5, v9
	ds_read_b64 v[1:2], v4
	s_cmp_eq_u32 s6, 0
	v_mov_b32_e32 v5, v3
	s_mov_b32 s7, s4
	s_mov_b32 s9, s6
	s_cbranch_scc1 .LBB86_20
.LBB86_22:                              ;   Parent Loop BB86_21 Depth=1
                                        ; =>  This Inner Loop Header: Depth=2
	v_mov_b32_e32 v8, s7
	ds_read_b64 v[6:7], v5
	ds_read_b64 v[10:11], v8
	s_add_i32 s9, s9, -1
	s_addk_i32 s7, 0x80
	s_cmp_eq_u32 s9, 0
	v_add_u32_e32 v5, 0x80, v5
	s_waitcnt lgkmcnt(0)
	v_fma_f64 v[1:2], -v[6:7], v[10:11], v[1:2]
	s_cbranch_scc0 .LBB86_22
	s_branch .LBB86_20
.LBB86_23:
	s_mov_b64 s[4:5], 0
.LBB86_24:
	s_and_b64 vcc, exec, s[4:5]
	s_cbranch_vccz .LBB86_44
; %bb.25:
	s_andn2_b64 vcc, exec, s[2:3]
	s_mov_b32 s6, s8
	s_cbranch_vccnz .LBB86_31
; %bb.26:
	v_lshlrev_b32_e32 v1, 3, v0
	s_mul_i32 s4, s23, 0x88
	v_lshl_or_b32 v1, s23, 7, v1
	s_addk_i32 s4, 0xff60
	v_add_u32_e32 v10, 0x780, v1
	s_mov_b32 s5, s8
.LBB86_27:                              ; =>This Loop Header: Depth=1
                                        ;     Child Loop BB86_28 Depth 2
	s_add_i32 s11, s5, -3
	v_lshl_add_u32 v11, s5, 7, v9
	s_add_i32 s9, s5, -1
	s_add_i32 s6, s5, -2
	s_lshl_b32 s7, s11, 7
	v_lshl_add_u32 v12, s9, 7, v9
	v_lshl_add_u32 v14, s6, 7, v9
	v_add_u32_e32 v13, s7, v9
	ds_read_b64 v[7:8], v11
	ds_read_b64 v[5:6], v12
	ds_read_b64 v[3:4], v14
	ds_read_b64 v[1:2], v13
	s_cmp_le_i32 s8, s5
	v_mov_b32_e32 v15, v10
	s_mov_b32 s12, s4
	s_mov_b32 s13, s8
	s_cbranch_scc1 .LBB86_29
.LBB86_28:                              ;   Parent Loop BB86_27 Depth=1
                                        ; =>  This Inner Loop Header: Depth=2
	v_mov_b32_e32 v20, s12
	ds_read_b64 v[24:25], v15
	ds_read2_b64 v[16:19], v20 offset0:2 offset1:3
	ds_read2_b64 v[20:23], v20 offset1:1
	s_add_i32 s13, s13, -1
	s_addk_i32 s12, 0xff80
	s_cmp_le_i32 s13, s5
	s_waitcnt lgkmcnt(1)
	v_fma_f64 v[7:8], -v[24:25], v[18:19], v[7:8]
	v_fma_f64 v[5:6], -v[24:25], v[16:17], v[5:6]
	s_waitcnt lgkmcnt(0)
	v_fma_f64 v[3:4], -v[24:25], v[22:23], v[3:4]
	v_fma_f64 v[1:2], -v[24:25], v[20:21], v[1:2]
	v_add_u32_e32 v15, 0xffffff80, v15
	s_cbranch_scc0 .LBB86_28
.LBB86_29:                              ;   in Loop: Header=BB86_27 Depth=1
	s_lshl_b32 s16, s5, 3
	s_lshl_b32 s13, s5, 7
	s_add_i32 s17, s16, s13
	s_add_i32 s13, s17, -8
	v_mov_b32_e32 v15, s13
	ds_read2_b64 v[15:18], v15 offset1:1
	s_lshl_b32 s12, s9, 7
	s_add_i32 s12, s16, s12
	s_add_i32 s18, s12, -8
	v_mov_b32_e32 v19, s18
	ds_read_b64 v[19:20], v19
	s_waitcnt lgkmcnt(1)
	v_div_scale_f64 v[21:22], s[12:13], v[17:18], v[17:18], v[7:8]
	s_lshl_b32 s9, s9, 3
	s_lshl_b32 s11, s11, 3
	s_sub_i32 s9, s18, s9
	s_add_i32 s9, s9, s11
	s_sub_i32 s4, s4, 32
	v_rcp_f64_e32 v[23:24], v[21:22]
	v_fma_f64 v[25:26], -v[21:22], v[23:24], 1.0
	v_fma_f64 v[23:24], v[23:24], v[25:26], v[23:24]
	v_div_scale_f64 v[25:26], vcc, v[7:8], v[17:18], v[7:8]
	v_fma_f64 v[27:28], -v[21:22], v[23:24], 1.0
	v_fma_f64 v[23:24], v[23:24], v[27:28], v[23:24]
	v_mul_f64 v[27:28], v[25:26], v[23:24]
	v_fma_f64 v[21:22], -v[21:22], v[27:28], v[25:26]
	v_div_fmas_f64 v[21:22], v[21:22], v[23:24], v[27:28]
	v_div_fixup_f64 v[21:22], v[21:22], v[17:18], v[7:8]
	v_fma_f64 v[23:24], -v[21:22], v[15:16], v[5:6]
	s_waitcnt lgkmcnt(0)
	v_div_scale_f64 v[5:6], s[12:13], v[19:20], v[19:20], v[23:24]
	s_sub_i32 s12, s17, 24
	v_rcp_f64_e32 v[7:8], v[5:6]
	v_fma_f64 v[15:16], -v[5:6], v[7:8], 1.0
	v_fma_f64 v[7:8], v[7:8], v[15:16], v[7:8]
	v_div_scale_f64 v[15:16], vcc, v[23:24], v[19:20], v[23:24]
	v_fma_f64 v[17:18], -v[5:6], v[7:8], 1.0
	v_fma_f64 v[7:8], v[7:8], v[17:18], v[7:8]
	v_mul_f64 v[17:18], v[15:16], v[7:8]
	v_fma_f64 v[5:6], -v[5:6], v[17:18], v[15:16]
	v_mov_b32_e32 v15, s9
	s_lshl_b32 s9, s6, 7
	s_lshl_b32 s6, s6, 3
	s_add_i32 s9, s16, s9
	s_sub_i32 s6, s9, s6
	s_add_i32 s6, s6, s11
	s_add_i32 s6, s6, -16
	v_div_fmas_f64 v[25:26], v[5:6], v[7:8], v[17:18]
	v_mov_b32_e32 v5, s12
	ds_read2_b64 v[5:8], v5 offset1:1
	ds_read2_b64 v[15:18], v15 offset1:1
	s_add_i32 s16, s16, s7
	s_waitcnt lgkmcnt(1)
	v_fma_f64 v[3:4], -v[21:22], v[7:8], v[3:4]
	v_fma_f64 v[1:2], -v[21:22], v[5:6], v[1:2]
	v_div_fixup_f64 v[7:8], v[25:26], v[19:20], v[23:24]
	s_waitcnt lgkmcnt(0)
	v_fma_f64 v[3:4], -v[7:8], v[17:18], v[3:4]
	v_mov_b32_e32 v17, s6
	ds_read2_b64 v[17:20], v17 offset1:1
	s_sub_i32 s6, s16, 24
	v_mov_b32_e32 v23, s6
	ds_read_b64 v[23:24], v23
	v_fma_f64 v[1:2], -v[7:8], v[15:16], v[1:2]
	s_waitcnt lgkmcnt(1)
	v_div_scale_f64 v[25:26], s[6:7], v[19:20], v[19:20], v[3:4]
	v_rcp_f64_e32 v[27:28], v[25:26]
	v_fma_f64 v[29:30], -v[25:26], v[27:28], 1.0
	v_fma_f64 v[27:28], v[27:28], v[29:30], v[27:28]
	v_div_scale_f64 v[29:30], vcc, v[3:4], v[19:20], v[3:4]
	v_fma_f64 v[31:32], -v[25:26], v[27:28], 1.0
	v_fma_f64 v[27:28], v[27:28], v[31:32], v[27:28]
	v_mul_f64 v[31:32], v[29:30], v[27:28]
	v_fma_f64 v[25:26], -v[25:26], v[31:32], v[29:30]
	v_div_fmas_f64 v[25:26], v[25:26], v[27:28], v[31:32]
	v_div_fixup_f64 v[3:4], v[25:26], v[19:20], v[3:4]
	ds_write_b64 v11, v[21:22]
	ds_write_b64 v12, v[7:8]
	;; [unrolled: 1-line block ×3, first 2 shown]
	v_fma_f64 v[1:2], -v[3:4], v[17:18], v[1:2]
	s_waitcnt lgkmcnt(3)
	v_div_scale_f64 v[5:6], s[6:7], v[23:24], v[23:24], v[1:2]
	v_div_scale_f64 v[19:20], vcc, v[1:2], v[23:24], v[1:2]
	s_add_i32 s6, s5, -4
	s_cmp_lt_i32 s5, 7
	v_rcp_f64_e32 v[15:16], v[5:6]
	v_fma_f64 v[17:18], -v[5:6], v[15:16], 1.0
	v_fma_f64 v[15:16], v[15:16], v[17:18], v[15:16]
	v_fma_f64 v[17:18], -v[5:6], v[15:16], 1.0
	v_fma_f64 v[15:16], v[15:16], v[17:18], v[15:16]
	v_mul_f64 v[17:18], v[19:20], v[15:16]
	v_fma_f64 v[5:6], -v[5:6], v[17:18], v[19:20]
	v_div_fmas_f64 v[5:6], v[5:6], v[15:16], v[17:18]
	v_div_fixup_f64 v[1:2], v[5:6], v[23:24], v[1:2]
	ds_write_b64 v13, v[1:2]
	s_cbranch_scc1 .LBB86_31
; %bb.30:                               ;   in Loop: Header=BB86_27 Depth=1
	s_mov_b32 s5, s6
	s_branch .LBB86_27
.LBB86_31:
	s_cmp_lt_i32 s6, 0
	s_cbranch_scc1 .LBB86_44
; %bb.32:
	s_bitcmp1_b32 s6, 0
	s_cselect_b64 s[4:5], -1, 0
	s_and_b64 vcc, exec, s[4:5]
	s_mov_b32 s4, s6
	s_cbranch_vccnz .LBB86_37
; %bb.33:
	s_lshl_b32 s4, s6, 7
	v_add_u32_e32 v3, s4, v9
	ds_read_b64 v[1:2], v3
	s_cmp_le_i32 s8, s6
	s_cbranch_scc1 .LBB86_36
; %bb.34:
	s_lshl_b32 s7, s23, 7
	s_lshl_b32 s5, s6, 3
	s_add_i32 s5, s7, s5
	v_lshl_or_b32 v4, v0, 3, s7
	s_addk_i32 s5, 0xff80
	v_add_u32_e32 v4, 0x780, v4
	s_mov_b32 s7, s8
.LBB86_35:                              ; =>This Inner Loop Header: Depth=1
	v_mov_b32_e32 v7, s5
	ds_read_b64 v[5:6], v4
	ds_read_b64 v[7:8], v7
	s_add_i32 s7, s7, -1
	s_addk_i32 s5, 0xff80
	s_cmp_gt_u32 s7, s6
	v_add_u32_e32 v4, 0xffffff80, v4
	s_waitcnt lgkmcnt(0)
	v_fma_f64 v[1:2], -v[5:6], v[7:8], v[1:2]
	s_cbranch_scc1 .LBB86_35
.LBB86_36:
	s_lshl_b32 s5, s6, 3
	s_add_i32 s4, s5, s4
	v_mov_b32_e32 v4, s4
	ds_read_b64 v[4:5], v4
	s_waitcnt lgkmcnt(0)
	v_div_scale_f64 v[6:7], s[4:5], v[4:5], v[4:5], v[1:2]
	s_add_i32 s4, s6, -1
	v_rcp_f64_e32 v[10:11], v[6:7]
	v_fma_f64 v[12:13], -v[6:7], v[10:11], 1.0
	v_fma_f64 v[10:11], v[10:11], v[12:13], v[10:11]
	v_div_scale_f64 v[12:13], vcc, v[1:2], v[4:5], v[1:2]
	v_fma_f64 v[14:15], -v[6:7], v[10:11], 1.0
	v_fma_f64 v[10:11], v[10:11], v[14:15], v[10:11]
	v_mul_f64 v[14:15], v[12:13], v[10:11]
	v_fma_f64 v[6:7], -v[6:7], v[14:15], v[12:13]
	v_div_fmas_f64 v[6:7], v[6:7], v[10:11], v[14:15]
	v_div_fixup_f64 v[1:2], v[6:7], v[4:5], v[1:2]
	ds_write_b64 v3, v[1:2]
.LBB86_37:
	s_cmp_eq_u32 s6, 0
	s_cbranch_scc1 .LBB86_44
; %bb.38:
	s_lshl_b32 s6, s23, 7
	s_lshl_b32 s5, s4, 3
	s_add_i32 s7, s6, s5
	v_lshl_or_b32 v1, v0, 3, s6
	s_add_i32 s5, s7, 0xffffff80
	v_add_u32_e32 v5, 0x780, v1
	s_add_i32 s6, s7, 0xffffff78
	s_branch .LBB86_40
.LBB86_39:                              ;   in Loop: Header=BB86_40 Depth=1
	s_add_i32 s9, s9, s11
	s_add_i32 s9, s9, -8
	v_mov_b32_e32 v1, s9
	ds_read_b64 v[1:2], v1
	s_add_i32 s4, s4, -2
	s_add_i32 s5, s5, -16
	;; [unrolled: 1-line block ×3, first 2 shown]
	s_cmp_eq_u32 s7, 0
	s_waitcnt lgkmcnt(0)
	v_div_scale_f64 v[10:11], s[12:13], v[1:2], v[1:2], v[3:4]
	v_div_scale_f64 v[16:17], vcc, v[3:4], v[1:2], v[3:4]
	v_rcp_f64_e32 v[12:13], v[10:11]
	v_fma_f64 v[14:15], -v[10:11], v[12:13], 1.0
	v_fma_f64 v[12:13], v[12:13], v[14:15], v[12:13]
	v_fma_f64 v[14:15], -v[10:11], v[12:13], 1.0
	v_fma_f64 v[12:13], v[12:13], v[14:15], v[12:13]
	v_mul_f64 v[14:15], v[16:17], v[12:13]
	v_fma_f64 v[10:11], -v[10:11], v[14:15], v[16:17]
	v_div_fmas_f64 v[10:11], v[10:11], v[12:13], v[14:15]
	v_div_fixup_f64 v[1:2], v[10:11], v[1:2], v[3:4]
	ds_write_b64 v7, v[1:2]
	s_cbranch_scc1 .LBB86_44
.LBB86_40:                              ; =>This Loop Header: Depth=1
                                        ;     Child Loop BB86_41 Depth 2
                                        ;     Child Loop BB86_43 Depth 2
	s_lshl_b32 s7, s4, 7
	v_add_u32_e32 v6, s7, v9
	ds_read_b64 v[1:2], v6
	s_cmp_le_i32 s8, s4
	v_mov_b32_e32 v3, v5
	s_mov_b32 s9, s5
	s_mov_b32 s11, s8
	s_cbranch_scc1 .LBB86_42
.LBB86_41:                              ;   Parent Loop BB86_40 Depth=1
                                        ; =>  This Inner Loop Header: Depth=2
	v_mov_b32_e32 v4, s9
	ds_read_b64 v[7:8], v3
	ds_read_b64 v[10:11], v4
	s_add_i32 s11, s11, -1
	s_addk_i32 s9, 0xff80
	s_cmp_le_u32 s11, s4
	v_add_u32_e32 v3, 0xffffff80, v3
	s_waitcnt lgkmcnt(0)
	v_fma_f64 v[1:2], -v[7:8], v[10:11], v[1:2]
	s_cbranch_scc0 .LBB86_41
.LBB86_42:                              ;   in Loop: Header=BB86_40 Depth=1
	s_lshl_b32 s9, s4, 3
	s_add_i32 s7, s9, s7
	v_mov_b32_e32 v3, s7
	ds_read_b64 v[10:11], v3
	s_add_i32 s7, s4, -1
	s_lshl_b32 s11, s7, 7
	v_add_u32_e32 v7, s11, v9
	ds_read_b64 v[3:4], v7
	s_waitcnt lgkmcnt(1)
	v_div_scale_f64 v[12:13], s[12:13], v[10:11], v[10:11], v[1:2]
	s_mov_b32 s12, s6
	s_cmp_le_i32 s23, s4
	s_mov_b32 s13, s8
	v_rcp_f64_e32 v[14:15], v[12:13]
	v_fma_f64 v[16:17], -v[12:13], v[14:15], 1.0
	v_fma_f64 v[14:15], v[14:15], v[16:17], v[14:15]
	v_div_scale_f64 v[16:17], vcc, v[1:2], v[10:11], v[1:2]
	v_fma_f64 v[18:19], -v[12:13], v[14:15], 1.0
	v_fma_f64 v[14:15], v[14:15], v[18:19], v[14:15]
	v_mul_f64 v[18:19], v[16:17], v[14:15]
	v_fma_f64 v[12:13], -v[12:13], v[18:19], v[16:17]
	v_div_fmas_f64 v[12:13], v[12:13], v[14:15], v[18:19]
	v_div_fixup_f64 v[10:11], v[12:13], v[10:11], v[1:2]
	v_mov_b32_e32 v1, v5
	ds_write_b64 v6, v[10:11]
	s_cbranch_scc1 .LBB86_39
.LBB86_43:                              ;   Parent Loop BB86_40 Depth=1
                                        ; =>  This Inner Loop Header: Depth=2
	v_mov_b32_e32 v2, s12
	ds_read_b64 v[10:11], v1
	ds_read_b64 v[12:13], v2
	s_add_i32 s13, s13, -1
	s_addk_i32 s12, 0xff80
	s_cmp_gt_u32 s13, s7
	v_add_u32_e32 v1, 0xffffff80, v1
	s_waitcnt lgkmcnt(0)
	v_fma_f64 v[3:4], -v[10:11], v[12:13], v[3:4]
	s_cbranch_scc1 .LBB86_43
	s_branch .LBB86_39
.LBB86_44:
	s_mov_b64 s[6:7], 0
.LBB86_45:
	s_andn2_b64 vcc, exec, s[6:7]
	s_cbranch_vccnz .LBB86_65
; %bb.46:
	s_andn2_b64 vcc, exec, s[2:3]
	s_mov_b32 s4, s8
	s_cbranch_vccnz .LBB86_52
; %bb.47:
	v_lshlrev_b32_e32 v1, 3, v0
	v_lshl_or_b32 v1, s23, 7, v1
	s_mul_i32 s2, s23, 0x88
	v_add_u32_e32 v10, 0x780, v1
	s_addk_i32 s2, 0xfdf8
	s_mov_b32 s3, s8
.LBB86_48:                              ; =>This Loop Header: Depth=1
                                        ;     Child Loop BB86_49 Depth 2
	v_lshl_add_u32 v11, s3, 7, v9
	s_add_i32 s6, s3, -1
	s_add_i32 s5, s3, -2
	;; [unrolled: 1-line block ×3, first 2 shown]
	v_lshl_add_u32 v12, s6, 7, v9
	v_lshl_add_u32 v14, s5, 7, v9
	;; [unrolled: 1-line block ×3, first 2 shown]
	ds_read_b64 v[7:8], v11
	ds_read_b64 v[5:6], v12
	;; [unrolled: 1-line block ×4, first 2 shown]
	s_cmp_le_i32 s8, s3
	s_mov_b32 s7, s2
	v_mov_b32_e32 v15, v10
	s_mov_b32 s9, s8
	s_cbranch_scc1 .LBB86_50
.LBB86_49:                              ;   Parent Loop BB86_48 Depth=1
                                        ; =>  This Inner Loop Header: Depth=2
	v_mov_b32_e32 v20, s7
	ds_read_b64 v[24:25], v15
	ds_read2_b64 v[16:19], v20 offset0:32 offset1:48
	ds_read2_b64 v[20:23], v20 offset1:16
	s_add_i32 s9, s9, -1
	s_add_i32 s7, s7, -8
	s_cmp_le_i32 s9, s3
	s_waitcnt lgkmcnt(1)
	v_fma_f64 v[7:8], -v[24:25], v[18:19], v[7:8]
	v_fma_f64 v[5:6], -v[24:25], v[16:17], v[5:6]
	s_waitcnt lgkmcnt(0)
	v_fma_f64 v[3:4], -v[24:25], v[22:23], v[3:4]
	v_fma_f64 v[1:2], -v[24:25], v[20:21], v[1:2]
	v_add_u32_e32 v15, 0xffffff80, v15
	s_cbranch_scc0 .LBB86_49
.LBB86_50:                              ;   in Loop: Header=BB86_48 Depth=1
	s_mul_i32 s12, s3, 0x88
	v_mov_b32_e32 v15, s12
	ds_read_b64 v[19:20], v15
	s_lshl_b32 s11, s6, 4
	s_lshl_b32 s11, s11, 3
	;; [unrolled: 1-line block ×3, first 2 shown]
	s_add_i32 s6, s11, s6
	s_waitcnt lgkmcnt(0)
	v_div_scale_f64 v[21:22], s[12:13], v[19:20], v[19:20], v[7:8]
	v_mov_b32_e32 v15, s6
	ds_read2_b64 v[15:18], v15 offset1:1
	s_lshl_b32 s9, s5, 4
	s_lshl_b32 s6, s9, 3
	;; [unrolled: 1-line block ×3, first 2 shown]
	s_add_i32 s11, s6, s9
	s_lshl_b32 s5, s5, 3
	s_add_i32 s5, s6, s5
	s_lshl_b32 s7, s4, 4
	s_lshl_b32 s4, s4, 3
	s_addk_i32 s2, 0xfe00
	v_rcp_f64_e32 v[23:24], v[21:22]
	v_fma_f64 v[25:26], -v[21:22], v[23:24], 1.0
	v_fma_f64 v[23:24], v[23:24], v[25:26], v[23:24]
	v_div_scale_f64 v[25:26], vcc, v[7:8], v[19:20], v[7:8]
	v_fma_f64 v[27:28], -v[21:22], v[23:24], 1.0
	v_fma_f64 v[23:24], v[23:24], v[27:28], v[23:24]
	v_mul_f64 v[27:28], v[25:26], v[23:24]
	v_fma_f64 v[21:22], -v[21:22], v[27:28], v[25:26]
	v_div_fmas_f64 v[21:22], v[21:22], v[23:24], v[27:28]
	v_div_fixup_f64 v[23:24], v[21:22], v[19:20], v[7:8]
	s_waitcnt lgkmcnt(0)
	v_fma_f64 v[17:18], -v[23:24], v[17:18], v[5:6]
	v_div_scale_f64 v[5:6], s[12:13], v[15:16], v[15:16], v[17:18]
	v_rcp_f64_e32 v[7:8], v[5:6]
	v_fma_f64 v[19:20], -v[5:6], v[7:8], 1.0
	v_fma_f64 v[7:8], v[7:8], v[19:20], v[7:8]
	v_div_scale_f64 v[19:20], vcc, v[17:18], v[15:16], v[17:18]
	v_fma_f64 v[21:22], -v[5:6], v[7:8], 1.0
	v_fma_f64 v[7:8], v[7:8], v[21:22], v[7:8]
	v_mul_f64 v[21:22], v[19:20], v[7:8]
	v_fma_f64 v[5:6], -v[5:6], v[21:22], v[19:20]
	v_div_fmas_f64 v[19:20], v[5:6], v[7:8], v[21:22]
	v_mov_b32_e32 v5, s11
	ds_read_b64 v[21:22], v5
	v_mov_b32_e32 v5, s5
	ds_read2_b64 v[5:8], v5 offset1:1
	s_lshl_b32 s5, s7, 3
	s_add_i32 s6, s5, s9
	s_waitcnt lgkmcnt(1)
	v_fma_f64 v[3:4], -v[23:24], v[21:22], v[3:4]
	s_add_i32 s6, s6, -8
	s_add_i32 s4, s5, s4
	v_div_fixup_f64 v[25:26], v[19:20], v[15:16], v[17:18]
	s_waitcnt lgkmcnt(0)
	v_fma_f64 v[3:4], -v[25:26], v[7:8], v[3:4]
	v_div_scale_f64 v[7:8], s[12:13], v[5:6], v[5:6], v[3:4]
	v_rcp_f64_e32 v[15:16], v[7:8]
	v_fma_f64 v[17:18], -v[7:8], v[15:16], 1.0
	v_fma_f64 v[15:16], v[15:16], v[17:18], v[15:16]
	v_div_scale_f64 v[17:18], vcc, v[3:4], v[5:6], v[3:4]
	v_fma_f64 v[19:20], -v[7:8], v[15:16], 1.0
	v_fma_f64 v[15:16], v[15:16], v[19:20], v[15:16]
	v_mul_f64 v[19:20], v[17:18], v[15:16]
	v_fma_f64 v[7:8], -v[7:8], v[19:20], v[17:18]
	v_div_fmas_f64 v[7:8], v[7:8], v[15:16], v[19:20]
	v_mov_b32_e32 v15, s6
	ds_read2_b64 v[15:18], v15 offset1:1
	v_mov_b32_e32 v19, s4
	ds_read2_b64 v[19:22], v19 offset1:1
	s_waitcnt lgkmcnt(1)
	v_fma_f64 v[1:2], -v[23:24], v[17:18], v[1:2]
	v_fma_f64 v[1:2], -v[25:26], v[15:16], v[1:2]
	v_div_fixup_f64 v[3:4], v[7:8], v[5:6], v[3:4]
	ds_write_b64 v11, v[23:24]
	ds_write_b64 v12, v[25:26]
	;; [unrolled: 1-line block ×3, first 2 shown]
	s_waitcnt lgkmcnt(3)
	v_fma_f64 v[1:2], -v[3:4], v[21:22], v[1:2]
	v_div_scale_f64 v[5:6], s[4:5], v[19:20], v[19:20], v[1:2]
	v_div_scale_f64 v[17:18], vcc, v[1:2], v[19:20], v[1:2]
	s_add_i32 s4, s3, -4
	s_cmp_lt_i32 s3, 7
	v_rcp_f64_e32 v[7:8], v[5:6]
	v_fma_f64 v[15:16], -v[5:6], v[7:8], 1.0
	v_fma_f64 v[7:8], v[7:8], v[15:16], v[7:8]
	v_fma_f64 v[15:16], -v[5:6], v[7:8], 1.0
	v_fma_f64 v[7:8], v[7:8], v[15:16], v[7:8]
	v_mul_f64 v[15:16], v[17:18], v[7:8]
	v_fma_f64 v[5:6], -v[5:6], v[15:16], v[17:18]
	v_div_fmas_f64 v[5:6], v[5:6], v[7:8], v[15:16]
	v_div_fixup_f64 v[1:2], v[5:6], v[19:20], v[1:2]
	ds_write_b64 v13, v[1:2]
	s_cbranch_scc1 .LBB86_52
; %bb.51:                               ;   in Loop: Header=BB86_48 Depth=1
	s_mov_b32 s3, s4
	s_branch .LBB86_48
.LBB86_52:
	s_cmp_lt_i32 s4, 0
	s_cbranch_scc1 .LBB86_65
; %bb.53:
	s_bitcmp1_b32 s4, 0
	s_cselect_b64 s[2:3], -1, 0
	s_and_b64 vcc, exec, s[2:3]
	s_mov_b32 s2, s4
	s_cbranch_vccnz .LBB86_58
; %bb.54:
	v_lshl_add_u32 v3, s4, 7, v9
	ds_read_b64 v[1:2], v3
	s_cmp_le_i32 s8, s4
	s_cbranch_scc1 .LBB86_57
; %bb.55:
	s_lshl_b32 s2, s4, 7
	s_lshl_b32 s3, s23, 3
	v_lshlrev_b32_e32 v4, 3, v0
	s_add_i32 s2, s2, s3
	v_lshl_or_b32 v4, s23, 7, v4
	s_add_i32 s2, s2, -8
	v_add_u32_e32 v4, 0x780, v4
	s_mov_b32 s3, s8
.LBB86_56:                              ; =>This Inner Loop Header: Depth=1
	v_mov_b32_e32 v7, s2
	ds_read_b64 v[5:6], v4
	ds_read_b64 v[7:8], v7
	s_add_i32 s3, s3, -1
	s_add_i32 s2, s2, -8
	s_cmp_gt_u32 s3, s4
	v_add_u32_e32 v4, 0xffffff80, v4
	s_waitcnt lgkmcnt(0)
	v_fma_f64 v[1:2], -v[5:6], v[7:8], v[1:2]
	s_cbranch_scc1 .LBB86_56
.LBB86_57:
	s_mul_i32 s2, s4, 0x88
	v_mov_b32_e32 v4, s2
	ds_read_b64 v[4:5], v4
	s_waitcnt lgkmcnt(0)
	v_div_scale_f64 v[6:7], s[2:3], v[4:5], v[4:5], v[1:2]
	s_add_i32 s2, s4, -1
	v_rcp_f64_e32 v[10:11], v[6:7]
	v_fma_f64 v[12:13], -v[6:7], v[10:11], 1.0
	v_fma_f64 v[10:11], v[10:11], v[12:13], v[10:11]
	v_div_scale_f64 v[12:13], vcc, v[1:2], v[4:5], v[1:2]
	v_fma_f64 v[14:15], -v[6:7], v[10:11], 1.0
	v_fma_f64 v[10:11], v[10:11], v[14:15], v[10:11]
	v_mul_f64 v[14:15], v[12:13], v[10:11]
	v_fma_f64 v[6:7], -v[6:7], v[14:15], v[12:13]
	v_div_fmas_f64 v[6:7], v[6:7], v[10:11], v[14:15]
	v_div_fixup_f64 v[1:2], v[6:7], v[4:5], v[1:2]
	ds_write_b64 v3, v[1:2]
.LBB86_58:
	s_cmp_eq_u32 s4, 0
	s_cbranch_scc1 .LBB86_65
; %bb.59:
	v_lshlrev_b32_e32 v1, 3, v0
	s_lshl_b32 s3, s2, 7
	s_lshl_b32 s4, s23, 3
	v_lshl_or_b32 v1, s23, 7, v1
	s_add_i32 s4, s3, s4
	v_add_u32_e32 v5, 0x780, v1
	s_add_i32 s3, s4, -8
	s_addk_i32 s4, 0xff78
	s_branch .LBB86_61
.LBB86_60:                              ;   in Loop: Header=BB86_61 Depth=1
	s_addk_i32 s6, 0xff78
	v_mov_b32_e32 v1, s6
	ds_read_b64 v[1:2], v1
	s_add_i32 s2, s2, -2
	s_addk_i32 s3, 0xff00
	s_addk_i32 s4, 0xff00
	s_cmp_eq_u32 s5, 0
	s_waitcnt lgkmcnt(0)
	v_div_scale_f64 v[10:11], s[6:7], v[1:2], v[1:2], v[3:4]
	v_div_scale_f64 v[16:17], vcc, v[3:4], v[1:2], v[3:4]
	v_rcp_f64_e32 v[12:13], v[10:11]
	v_fma_f64 v[14:15], -v[10:11], v[12:13], 1.0
	v_fma_f64 v[12:13], v[12:13], v[14:15], v[12:13]
	v_fma_f64 v[14:15], -v[10:11], v[12:13], 1.0
	v_fma_f64 v[12:13], v[12:13], v[14:15], v[12:13]
	v_mul_f64 v[14:15], v[16:17], v[12:13]
	v_fma_f64 v[10:11], -v[10:11], v[14:15], v[16:17]
	v_div_fmas_f64 v[10:11], v[10:11], v[12:13], v[14:15]
	v_div_fixup_f64 v[1:2], v[10:11], v[1:2], v[3:4]
	ds_write_b64 v7, v[1:2]
	s_cbranch_scc1 .LBB86_65
.LBB86_61:                              ; =>This Loop Header: Depth=1
                                        ;     Child Loop BB86_62 Depth 2
                                        ;     Child Loop BB86_64 Depth 2
	v_lshl_add_u32 v6, s2, 7, v9
	ds_read_b64 v[1:2], v6
	s_cmp_le_i32 s8, s2
	s_mov_b32 s5, s3
	v_mov_b32_e32 v3, v5
	s_mov_b32 s6, s8
	s_cbranch_scc1 .LBB86_63
.LBB86_62:                              ;   Parent Loop BB86_61 Depth=1
                                        ; =>  This Inner Loop Header: Depth=2
	v_mov_b32_e32 v4, s5
	ds_read_b64 v[7:8], v3
	ds_read_b64 v[10:11], v4
	s_add_i32 s6, s6, -1
	s_add_i32 s5, s5, -8
	s_cmp_le_u32 s6, s2
	v_add_u32_e32 v3, 0xffffff80, v3
	s_waitcnt lgkmcnt(0)
	v_fma_f64 v[1:2], -v[7:8], v[10:11], v[1:2]
	s_cbranch_scc0 .LBB86_62
.LBB86_63:                              ;   in Loop: Header=BB86_61 Depth=1
	s_mul_i32 s6, s2, 0x88
	v_mov_b32_e32 v3, s6
	ds_read_b64 v[10:11], v3
	s_add_i32 s5, s2, -1
	v_lshl_add_u32 v7, s5, 7, v9
	ds_read_b64 v[3:4], v7
	s_mov_b32 s7, s4
	s_waitcnt lgkmcnt(1)
	v_div_scale_f64 v[12:13], s[12:13], v[10:11], v[10:11], v[1:2]
	s_cmp_le_i32 s23, s2
	s_mov_b32 s9, s8
	v_rcp_f64_e32 v[14:15], v[12:13]
	v_fma_f64 v[16:17], -v[12:13], v[14:15], 1.0
	v_fma_f64 v[14:15], v[14:15], v[16:17], v[14:15]
	v_div_scale_f64 v[16:17], vcc, v[1:2], v[10:11], v[1:2]
	v_fma_f64 v[18:19], -v[12:13], v[14:15], 1.0
	v_fma_f64 v[14:15], v[14:15], v[18:19], v[14:15]
	v_mul_f64 v[18:19], v[16:17], v[14:15]
	v_fma_f64 v[12:13], -v[12:13], v[18:19], v[16:17]
	v_div_fmas_f64 v[12:13], v[12:13], v[14:15], v[18:19]
	v_div_fixup_f64 v[10:11], v[12:13], v[10:11], v[1:2]
	v_mov_b32_e32 v1, v5
	ds_write_b64 v6, v[10:11]
	s_cbranch_scc1 .LBB86_60
.LBB86_64:                              ;   Parent Loop BB86_61 Depth=1
                                        ; =>  This Inner Loop Header: Depth=2
	v_mov_b32_e32 v2, s7
	ds_read_b64 v[10:11], v1
	ds_read_b64 v[12:13], v2
	s_add_i32 s9, s9, -1
	s_add_i32 s7, s7, -8
	s_cmp_gt_u32 s9, s5
	v_add_u32_e32 v1, 0xffffff80, v1
	s_waitcnt lgkmcnt(0)
	v_fma_f64 v[3:4], -v[10:11], v[12:13], v[3:4]
	s_cbranch_scc1 .LBB86_64
	s_branch .LBB86_60
.LBB86_65:
	s_mov_b64 s[6:7], 0
.LBB86_66:
	s_andn2_b64 vcc, exec, s[6:7]
	s_cbranch_vccnz .LBB86_78
; %bb.67:
	v_mov_b32_e32 v1, 0x800
	v_lshl_or_b32 v9, v0, 3, v1
	s_cmp_lt_i32 s22, 4
	s_mov_b32 s4, 0
	s_cbranch_scc1 .LBB86_73
; %bb.68:
	s_mov_b32 s2, 0
	s_mov_b32 s3, 0
.LBB86_69:                              ; =>This Loop Header: Depth=1
                                        ;     Child Loop BB86_70 Depth 2
	s_or_b32 s5, s3, 3
	v_lshl_add_u32 v10, s3, 7, v9
	s_or_b32 s6, s3, 1
	s_or_b32 s4, s3, 2
	v_lshl_add_u32 v12, s6, 7, v9
	v_lshl_add_u32 v13, s4, 7, v9
	;; [unrolled: 1-line block ×3, first 2 shown]
	ds_read_b64 v[7:8], v10
	ds_read_b64 v[5:6], v12
	;; [unrolled: 1-line block ×4, first 2 shown]
	s_cmp_eq_u32 s3, 0
	s_mov_b32 s7, s2
	v_mov_b32_e32 v14, v9
	s_mov_b32 s8, s3
	s_cbranch_scc1 .LBB86_71
.LBB86_70:                              ;   Parent Loop BB86_69 Depth=1
                                        ; =>  This Inner Loop Header: Depth=2
	v_mov_b32_e32 v19, s7
	ds_read_b64 v[23:24], v14
	ds_read2_b64 v[15:18], v19 offset1:16
	ds_read2_b64 v[19:22], v19 offset0:32 offset1:48
	s_add_i32 s8, s8, -1
	s_add_i32 s7, s7, 8
	s_cmp_eq_u32 s8, 0
	s_waitcnt lgkmcnt(1)
	v_fma_f64 v[7:8], -v[23:24], v[15:16], v[7:8]
	v_fma_f64 v[5:6], -v[23:24], v[17:18], v[5:6]
	s_waitcnt lgkmcnt(0)
	v_fma_f64 v[3:4], -v[23:24], v[19:20], v[3:4]
	v_fma_f64 v[1:2], -v[23:24], v[21:22], v[1:2]
	v_add_u32_e32 v14, 0x80, v14
	s_cbranch_scc0 .LBB86_70
.LBB86_71:                              ;   in Loop: Header=BB86_69 Depth=1
	s_mul_i32 s8, s3, 0x88
	v_mov_b32_e32 v14, s8
	ds_read_b64 v[18:19], v14
	s_lshl_b32 s7, s6, 4
	s_lshl_b32 s7, s7, 3
	;; [unrolled: 1-line block ×3, first 2 shown]
	s_add_i32 s7, s7, s11
	s_waitcnt lgkmcnt(0)
	v_div_scale_f64 v[20:21], s[8:9], v[18:19], v[18:19], v[7:8]
	v_mov_b32_e32 v14, s7
	ds_read_b128 v[14:17], v14
	s_lshl_b32 s6, s4, 4
	s_lshl_b32 s6, s6, 3
	s_add_i32 s7, s6, s11
	s_lshl_b32 s4, s4, 3
	s_add_i32 s4, s6, s4
	s_lshl_b32 s5, s5, 4
	s_addk_i32 s2, 0x200
	v_rcp_f64_e32 v[22:23], v[20:21]
	v_fma_f64 v[24:25], -v[20:21], v[22:23], 1.0
	v_fma_f64 v[22:23], v[22:23], v[24:25], v[22:23]
	v_div_scale_f64 v[24:25], vcc, v[7:8], v[18:19], v[7:8]
	v_fma_f64 v[26:27], -v[20:21], v[22:23], 1.0
	v_fma_f64 v[22:23], v[22:23], v[26:27], v[22:23]
	v_mul_f64 v[26:27], v[24:25], v[22:23]
	v_fma_f64 v[20:21], -v[20:21], v[26:27], v[24:25]
	v_div_fmas_f64 v[20:21], v[20:21], v[22:23], v[26:27]
	v_div_fixup_f64 v[18:19], v[20:21], v[18:19], v[7:8]
	s_waitcnt lgkmcnt(0)
	v_fma_f64 v[14:15], -v[18:19], v[14:15], v[5:6]
	v_div_scale_f64 v[5:6], s[8:9], v[16:17], v[16:17], v[14:15]
	v_rcp_f64_e32 v[7:8], v[5:6]
	v_fma_f64 v[20:21], -v[5:6], v[7:8], 1.0
	v_fma_f64 v[7:8], v[7:8], v[20:21], v[7:8]
	v_div_scale_f64 v[20:21], vcc, v[14:15], v[16:17], v[14:15]
	v_fma_f64 v[22:23], -v[5:6], v[7:8], 1.0
	v_fma_f64 v[7:8], v[7:8], v[22:23], v[7:8]
	v_mul_f64 v[22:23], v[20:21], v[7:8]
	v_fma_f64 v[5:6], -v[5:6], v[22:23], v[20:21]
	v_div_fmas_f64 v[20:21], v[5:6], v[7:8], v[22:23]
	v_mov_b32_e32 v5, s7
	ds_read_b128 v[5:8], v5
	v_mov_b32_e32 v22, s4
	ds_read_b64 v[22:23], v22
	s_lshl_b32 s4, s5, 3
	s_add_i32 s4, s4, s11
	s_waitcnt lgkmcnt(1)
	v_fma_f64 v[3:4], -v[18:19], v[5:6], v[3:4]
	v_div_fixup_f64 v[20:21], v[20:21], v[16:17], v[14:15]
	v_fma_f64 v[7:8], -v[20:21], v[7:8], v[3:4]
	s_waitcnt lgkmcnt(0)
	v_div_scale_f64 v[3:4], s[6:7], v[22:23], v[22:23], v[7:8]
	v_rcp_f64_e32 v[5:6], v[3:4]
	v_fma_f64 v[14:15], -v[3:4], v[5:6], 1.0
	v_fma_f64 v[5:6], v[5:6], v[14:15], v[5:6]
	v_div_scale_f64 v[14:15], vcc, v[7:8], v[22:23], v[7:8]
	v_fma_f64 v[16:17], -v[3:4], v[5:6], 1.0
	v_fma_f64 v[5:6], v[5:6], v[16:17], v[5:6]
	v_mul_f64 v[16:17], v[14:15], v[5:6]
	v_fma_f64 v[3:4], -v[3:4], v[16:17], v[14:15]
	v_mov_b32_e32 v14, s4
	v_div_fmas_f64 v[24:25], v[3:4], v[5:6], v[16:17]
	ds_read_b128 v[3:6], v14
	ds_read_b128 v[14:17], v14 offset:16
	s_waitcnt lgkmcnt(1)
	v_fma_f64 v[1:2], -v[18:19], v[3:4], v[1:2]
	v_fma_f64 v[1:2], -v[20:21], v[5:6], v[1:2]
	v_div_fixup_f64 v[3:4], v[24:25], v[22:23], v[7:8]
	ds_write_b64 v10, v[18:19]
	ds_write_b64 v12, v[20:21]
	;; [unrolled: 1-line block ×3, first 2 shown]
	s_waitcnt lgkmcnt(3)
	v_fma_f64 v[1:2], -v[3:4], v[14:15], v[1:2]
	v_div_scale_f64 v[5:6], s[4:5], v[16:17], v[16:17], v[1:2]
	v_div_scale_f64 v[22:23], vcc, v[1:2], v[16:17], v[1:2]
	s_add_i32 s4, s3, 4
	s_add_i32 s3, s3, 7
	s_cmp_ge_i32 s3, s23
	v_rcp_f64_e32 v[7:8], v[5:6]
	v_fma_f64 v[14:15], -v[5:6], v[7:8], 1.0
	v_fma_f64 v[7:8], v[7:8], v[14:15], v[7:8]
	v_fma_f64 v[14:15], -v[5:6], v[7:8], 1.0
	v_fma_f64 v[7:8], v[7:8], v[14:15], v[7:8]
	v_mul_f64 v[14:15], v[22:23], v[7:8]
	v_fma_f64 v[5:6], -v[5:6], v[14:15], v[22:23]
	v_div_fmas_f64 v[5:6], v[5:6], v[7:8], v[14:15]
	v_div_fixup_f64 v[1:2], v[5:6], v[16:17], v[1:2]
	ds_write_b64 v11, v[1:2]
	s_cbranch_scc1 .LBB86_73
; %bb.72:                               ;   in Loop: Header=BB86_69 Depth=1
	s_mov_b32 s3, s4
	s_branch .LBB86_69
.LBB86_73:
	s_cmp_ge_i32 s4, s23
	s_cbranch_scc1 .LBB86_78
; %bb.74:
	v_mov_b32_e32 v1, 0x800
	v_lshl_or_b32 v3, v0, 3, v1
	s_lshl_b32 s2, s4, 7
	s_branch .LBB86_76
.LBB86_75:                              ;   in Loop: Header=BB86_76 Depth=1
	s_mul_i32 s3, s4, 0x88
	v_mov_b32_e32 v5, s3
	ds_read_b64 v[5:6], v5
	s_add_i32 s4, s4, 1
	s_addk_i32 s2, 0x80
	s_cmp_ge_i32 s4, s23
	s_waitcnt lgkmcnt(0)
	v_div_scale_f64 v[7:8], s[6:7], v[5:6], v[5:6], v[1:2]
	v_div_scale_f64 v[14:15], vcc, v[1:2], v[5:6], v[1:2]
	v_rcp_f64_e32 v[10:11], v[7:8]
	v_fma_f64 v[12:13], -v[7:8], v[10:11], 1.0
	v_fma_f64 v[10:11], v[10:11], v[12:13], v[10:11]
	v_fma_f64 v[12:13], -v[7:8], v[10:11], 1.0
	v_fma_f64 v[10:11], v[10:11], v[12:13], v[10:11]
	v_mul_f64 v[12:13], v[14:15], v[10:11]
	v_fma_f64 v[7:8], -v[7:8], v[12:13], v[14:15]
	v_div_fmas_f64 v[7:8], v[7:8], v[10:11], v[12:13]
	v_div_fixup_f64 v[1:2], v[7:8], v[5:6], v[1:2]
	ds_write_b64 v4, v[1:2]
	s_cbranch_scc1 .LBB86_78
.LBB86_76:                              ; =>This Loop Header: Depth=1
                                        ;     Child Loop BB86_77 Depth 2
	v_lshl_add_u32 v4, s4, 7, v9
	ds_read_b64 v[1:2], v4
	s_cmp_eq_u32 s4, 0
	s_mov_b32 s3, s2
	v_mov_b32_e32 v5, v3
	s_mov_b32 s5, s4
	s_cbranch_scc1 .LBB86_75
.LBB86_77:                              ;   Parent Loop BB86_76 Depth=1
                                        ; =>  This Inner Loop Header: Depth=2
	v_mov_b32_e32 v8, s3
	ds_read_b64 v[6:7], v5
	ds_read_b64 v[10:11], v8
	s_add_i32 s5, s5, -1
	s_add_i32 s3, s3, 8
	s_cmp_eq_u32 s5, 0
	v_add_u32_e32 v5, 0x80, v5
	s_waitcnt lgkmcnt(0)
	v_fma_f64 v[1:2], -v[6:7], v[10:11], v[1:2]
	s_cbranch_scc0 .LBB86_77
	s_branch .LBB86_75
.LBB86_78:
	s_and_saveexec_b64 s[2:3], s[0:1]
	s_cbranch_execz .LBB86_82
; %bb.79:
	s_cmp_lt_i32 s22, 1
	s_cbranch_scc1 .LBB86_82
; %bb.80:
	s_ashr_i32 s11, s10, 31
	v_lshlrev_b32_e32 v2, 3, v0
	v_mov_b32_e32 v1, s15
	v_add_co_u32_e32 v0, vcc, s14, v2
	s_lshl_b64 s[0:1], s[10:11], 3
	v_addc_co_u32_e32 v1, vcc, 0, v1, vcc
	v_or_b32_e32 v2, 0x800, v2
	v_mov_b32_e32 v3, s1
.LBB86_81:                              ; =>This Inner Loop Header: Depth=1
	ds_read_b64 v[4:5], v2
	s_add_i32 s22, s22, -1
	v_add_u32_e32 v2, 0x80, v2
	s_cmp_lg_u32 s22, 0
	s_waitcnt lgkmcnt(0)
	global_store_dwordx2 v[0:1], v[4:5], off
	v_add_co_u32_e32 v0, vcc, s0, v0
	v_addc_co_u32_e32 v1, vcc, v1, v3, vcc
	s_cbranch_scc1 .LBB86_81
.LBB86_82:
	s_endpgm
	.section	.rodata,"a",@progbits
	.p2align	6, 0x0
	.amdhsa_kernel _ZL31rocblas_trsm_small_right_deviceIddPKdPdLi16EEv13rocblas_fill_18rocblas_operation_17rocblas_diagonal_iiT0_T1_lilT2_lili
		.amdhsa_group_segment_fixed_size 4096
		.amdhsa_private_segment_fixed_size 0
		.amdhsa_kernarg_size 360
		.amdhsa_user_sgpr_count 6
		.amdhsa_user_sgpr_private_segment_buffer 1
		.amdhsa_user_sgpr_dispatch_ptr 0
		.amdhsa_user_sgpr_queue_ptr 0
		.amdhsa_user_sgpr_kernarg_segment_ptr 1
		.amdhsa_user_sgpr_dispatch_id 0
		.amdhsa_user_sgpr_flat_scratch_init 0
		.amdhsa_user_sgpr_private_segment_size 0
		.amdhsa_uses_dynamic_stack 0
		.amdhsa_system_sgpr_private_segment_wavefront_offset 0
		.amdhsa_system_sgpr_workgroup_id_x 1
		.amdhsa_system_sgpr_workgroup_id_y 0
		.amdhsa_system_sgpr_workgroup_id_z 1
		.amdhsa_system_sgpr_workgroup_info 0
		.amdhsa_system_vgpr_workitem_id 0
		.amdhsa_next_free_vgpr 49
		.amdhsa_next_free_sgpr 98
		.amdhsa_reserve_vcc 1
		.amdhsa_reserve_flat_scratch 0
		.amdhsa_float_round_mode_32 0
		.amdhsa_float_round_mode_16_64 0
		.amdhsa_float_denorm_mode_32 3
		.amdhsa_float_denorm_mode_16_64 3
		.amdhsa_dx10_clamp 1
		.amdhsa_ieee_mode 1
		.amdhsa_fp16_overflow 0
		.amdhsa_exception_fp_ieee_invalid_op 0
		.amdhsa_exception_fp_denorm_src 0
		.amdhsa_exception_fp_ieee_div_zero 0
		.amdhsa_exception_fp_ieee_overflow 0
		.amdhsa_exception_fp_ieee_underflow 0
		.amdhsa_exception_fp_ieee_inexact 0
		.amdhsa_exception_int_div_zero 0
	.end_amdhsa_kernel
	.section	.text._ZL31rocblas_trsm_small_right_deviceIddPKdPdLi16EEv13rocblas_fill_18rocblas_operation_17rocblas_diagonal_iiT0_T1_lilT2_lili,"axG",@progbits,_ZL31rocblas_trsm_small_right_deviceIddPKdPdLi16EEv13rocblas_fill_18rocblas_operation_17rocblas_diagonal_iiT0_T1_lilT2_lili,comdat
.Lfunc_end86:
	.size	_ZL31rocblas_trsm_small_right_deviceIddPKdPdLi16EEv13rocblas_fill_18rocblas_operation_17rocblas_diagonal_iiT0_T1_lilT2_lili, .Lfunc_end86-_ZL31rocblas_trsm_small_right_deviceIddPKdPdLi16EEv13rocblas_fill_18rocblas_operation_17rocblas_diagonal_iiT0_T1_lilT2_lili
                                        ; -- End function
	.set _ZL31rocblas_trsm_small_right_deviceIddPKdPdLi16EEv13rocblas_fill_18rocblas_operation_17rocblas_diagonal_iiT0_T1_lilT2_lili.num_vgpr, 36
	.set _ZL31rocblas_trsm_small_right_deviceIddPKdPdLi16EEv13rocblas_fill_18rocblas_operation_17rocblas_diagonal_iiT0_T1_lilT2_lili.num_agpr, 0
	.set _ZL31rocblas_trsm_small_right_deviceIddPKdPdLi16EEv13rocblas_fill_18rocblas_operation_17rocblas_diagonal_iiT0_T1_lilT2_lili.numbered_sgpr, 26
	.set _ZL31rocblas_trsm_small_right_deviceIddPKdPdLi16EEv13rocblas_fill_18rocblas_operation_17rocblas_diagonal_iiT0_T1_lilT2_lili.num_named_barrier, 0
	.set _ZL31rocblas_trsm_small_right_deviceIddPKdPdLi16EEv13rocblas_fill_18rocblas_operation_17rocblas_diagonal_iiT0_T1_lilT2_lili.private_seg_size, 0
	.set _ZL31rocblas_trsm_small_right_deviceIddPKdPdLi16EEv13rocblas_fill_18rocblas_operation_17rocblas_diagonal_iiT0_T1_lilT2_lili.uses_vcc, 1
	.set _ZL31rocblas_trsm_small_right_deviceIddPKdPdLi16EEv13rocblas_fill_18rocblas_operation_17rocblas_diagonal_iiT0_T1_lilT2_lili.uses_flat_scratch, 0
	.set _ZL31rocblas_trsm_small_right_deviceIddPKdPdLi16EEv13rocblas_fill_18rocblas_operation_17rocblas_diagonal_iiT0_T1_lilT2_lili.has_dyn_sized_stack, 0
	.set _ZL31rocblas_trsm_small_right_deviceIddPKdPdLi16EEv13rocblas_fill_18rocblas_operation_17rocblas_diagonal_iiT0_T1_lilT2_lili.has_recursion, 0
	.set _ZL31rocblas_trsm_small_right_deviceIddPKdPdLi16EEv13rocblas_fill_18rocblas_operation_17rocblas_diagonal_iiT0_T1_lilT2_lili.has_indirect_call, 0
	.section	.AMDGPU.csdata,"",@progbits
; Kernel info:
; codeLenInByte = 6036
; TotalNumSgprs: 30
; NumVgprs: 36
; ScratchSize: 0
; MemoryBound: 0
; FloatMode: 240
; IeeeMode: 1
; LDSByteSize: 4096 bytes/workgroup (compile time only)
; SGPRBlocks: 12
; VGPRBlocks: 12
; NumSGPRsForWavesPerEU: 102
; NumVGPRsForWavesPerEU: 49
; Occupancy: 4
; WaveLimiterHint : 0
; COMPUTE_PGM_RSRC2:SCRATCH_EN: 0
; COMPUTE_PGM_RSRC2:USER_SGPR: 6
; COMPUTE_PGM_RSRC2:TRAP_HANDLER: 0
; COMPUTE_PGM_RSRC2:TGID_X_EN: 1
; COMPUTE_PGM_RSRC2:TGID_Y_EN: 0
; COMPUTE_PGM_RSRC2:TGID_Z_EN: 1
; COMPUTE_PGM_RSRC2:TIDIG_COMP_CNT: 0
	.section	.text._ZL38rocblas_trsm_small_left_device_sharedBILi20ELi20ELb0EddPKdPdEv13rocblas_fill_18rocblas_operation_17rocblas_diagonal_iiT3_T4_lilT5_lili,"axG",@progbits,_ZL38rocblas_trsm_small_left_device_sharedBILi20ELi20ELb0EddPKdPdEv13rocblas_fill_18rocblas_operation_17rocblas_diagonal_iiT3_T4_lilT5_lili,comdat
	.globl	_ZL38rocblas_trsm_small_left_device_sharedBILi20ELi20ELb0EddPKdPdEv13rocblas_fill_18rocblas_operation_17rocblas_diagonal_iiT3_T4_lilT5_lili ; -- Begin function _ZL38rocblas_trsm_small_left_device_sharedBILi20ELi20ELb0EddPKdPdEv13rocblas_fill_18rocblas_operation_17rocblas_diagonal_iiT3_T4_lilT5_lili
	.p2align	8
	.type	_ZL38rocblas_trsm_small_left_device_sharedBILi20ELi20ELb0EddPKdPdEv13rocblas_fill_18rocblas_operation_17rocblas_diagonal_iiT3_T4_lilT5_lili,@function
_ZL38rocblas_trsm_small_left_device_sharedBILi20ELi20ELb0EddPKdPdEv13rocblas_fill_18rocblas_operation_17rocblas_diagonal_iiT3_T4_lilT5_lili: ; @_ZL38rocblas_trsm_small_left_device_sharedBILi20ELi20ELb0EddPKdPdEv13rocblas_fill_18rocblas_operation_17rocblas_diagonal_iiT3_T4_lilT5_lili
; %bb.0:
	s_load_dwordx4 s[8:11], s[4:5], 0x4
	s_load_dwordx4 s[12:15], s[4:5], 0x18
	s_load_dwordx2 s[20:21], s[4:5], 0x28
	s_load_dwordx4 s[0:3], s[4:5], 0x38
	s_load_dwordx2 s[16:17], s[4:5], 0x48
	s_waitcnt lgkmcnt(0)
	s_min_i32 s22, s10, 20
	v_cmp_gt_i32_e32 vcc, s22, v0
	s_and_saveexec_b64 s[18:19], vcc
	s_cbranch_execz .LBB87_6
; %bb.1:
	s_load_dword s24, s[4:5], 0x30
	s_mul_i32 s1, s1, s7
	s_mul_hi_u32 s23, s0, s7
	s_mul_i32 s0, s0, s7
	s_add_i32 s1, s23, s1
	s_waitcnt lgkmcnt(0)
	s_ashr_i32 s25, s24, 31
	s_lshl_b64 s[0:1], s[0:1], 3
	s_add_u32 s14, s14, s0
	s_addc_u32 s15, s15, s1
	s_lshl_b64 s[0:1], s[20:21], 3
	s_add_u32 s0, s14, s0
	s_addc_u32 s1, s15, s1
	v_lshlrev_b32_e32 v3, 3, v0
	v_mov_b32_e32 v2, s1
	v_add_co_u32_e32 v1, vcc, s0, v3
	s_lshl_b64 s[0:1], s[24:25], 3
	v_addc_co_u32_e32 v2, vcc, 0, v2, vcc
	v_mov_b32_e32 v4, s1
	v_mov_b32_e32 v5, v3
	s_mov_b32 s1, s22
.LBB87_2:                               ; =>This Inner Loop Header: Depth=1
	global_load_dwordx2 v[6:7], v[1:2], off
	v_add_co_u32_e32 v1, vcc, s0, v1
	s_add_i32 s1, s1, -1
	v_addc_co_u32_e32 v2, vcc, v2, v4, vcc
	s_cmp_eq_u32 s1, 0
	s_waitcnt vmcnt(0)
	ds_write_b64 v5, v[6:7]
	v_add_u32_e32 v5, 0xa0, v5
	s_cbranch_scc0 .LBB87_2
; %bb.3:
	v_mul_u32_u24_e32 v4, 0xa0, v0
	v_mov_b32_e32 v1, 0
	s_cmpk_lg_i32 s9, 0x84
	v_mov_b32_e32 v2, 0x3ff00000
	v_add_u32_e32 v3, v3, v4
	s_cbranch_scc0 .LBB87_5
; %bb.4:
	ds_read_b64 v[1:2], v3
	s_waitcnt lgkmcnt(0)
	v_div_scale_f64 v[4:5], s[0:1], v[1:2], v[1:2], 1.0
	v_div_scale_f64 v[10:11], vcc, 1.0, v[1:2], 1.0
	v_rcp_f64_e32 v[6:7], v[4:5]
	v_fma_f64 v[8:9], -v[4:5], v[6:7], 1.0
	v_fma_f64 v[6:7], v[6:7], v[8:9], v[6:7]
	v_fma_f64 v[8:9], -v[4:5], v[6:7], 1.0
	v_fma_f64 v[6:7], v[6:7], v[8:9], v[6:7]
	v_mul_f64 v[8:9], v[10:11], v[6:7]
	v_fma_f64 v[4:5], -v[4:5], v[8:9], v[10:11]
	v_div_fmas_f64 v[4:5], v[4:5], v[6:7], v[8:9]
	v_div_fixup_f64 v[1:2], v[4:5], v[1:2], 1.0
.LBB87_5:
	ds_write_b64 v3, v[1:2]
.LBB87_6:
	s_or_b64 exec, exec, s[18:19]
	s_load_dword s0, s[4:5], 0x68
	s_load_dwordx2 s[14:15], s[4:5], 0x58
	s_load_dword s9, s[4:5], 0x50
	s_waitcnt lgkmcnt(0)
	s_mul_i32 s1, s15, s7
	s_mul_hi_u32 s5, s14, s7
	s_mul_i32 s4, s14, s7
	s_add_i32 s5, s5, s1
	s_lshl_b64 s[4:5], s[4:5], 3
	s_add_u32 s1, s2, s4
	s_addc_u32 s4, s3, s5
	s_lshl_b64 s[2:3], s[16:17], 3
	s_add_u32 s2, s1, s2
	s_mul_i32 s1, s6, 0xffffffec
	s_addc_u32 s3, s4, s3
	s_add_i32 s0, s0, -1
	s_add_i32 s1, s11, s1
	s_cmp_ge_u32 s6, s0
	s_mul_i32 s6, s6, 20
	s_cselect_b32 s4, s1, 20
	s_mul_hi_i32 s1, s9, s6
	s_mul_i32 s0, s9, s6
	s_lshl_b64 s[0:1], s[0:1], 3
	s_add_u32 s6, s2, s0
	s_addc_u32 s7, s3, s1
	s_cmp_gt_i32 s10, 0
	v_cmp_gt_i32_e64 s[0:1], s4, v0
	s_cselect_b64 s[2:3], -1, 0
	s_and_b64 s[14:15], s[0:1], s[2:3]
	s_and_saveexec_b64 s[4:5], s[14:15]
	s_cbranch_execz .LBB87_9
; %bb.7:
	v_mad_i64_i32 v[1:2], s[14:15], s9, v0, 0
	v_mov_b32_e32 v3, s7
	s_mov_b32 s11, s22
	v_lshlrev_b64 v[1:2], 3, v[1:2]
	v_add_co_u32_e32 v1, vcc, s6, v1
	v_addc_co_u32_e32 v2, vcc, v3, v2, vcc
	v_mov_b32_e32 v3, 0xc80
	v_lshl_add_u32 v3, v0, 3, v3
.LBB87_8:                               ; =>This Inner Loop Header: Depth=1
	global_load_dwordx2 v[4:5], v[1:2], off
	s_add_i32 s11, s11, -1
	v_add_co_u32_e32 v1, vcc, 8, v1
	v_addc_co_u32_e32 v2, vcc, 0, v2, vcc
	s_cmp_lg_u32 s11, 0
	s_waitcnt vmcnt(0)
	v_mul_f64 v[4:5], s[12:13], v[4:5]
	ds_write_b64 v3, v[4:5]
	v_add_u32_e32 v3, 0xa0, v3
	s_cbranch_scc1 .LBB87_8
.LBB87_9:
	s_or_b64 exec, exec, s[4:5]
	v_mov_b32_e32 v1, 0xc80
	s_cmpk_eq_i32 s8, 0x6f
	v_lshl_add_u32 v33, v0, 3, v1
	s_mov_b64 s[4:5], -1
	s_waitcnt lgkmcnt(0)
	; wave barrier
	s_cbranch_scc1 .LBB87_24
; %bb.10:
	s_cmp_gt_i32 s10, 19
	s_cselect_b64 s[4:5], -1, 0
	s_mov_b32 s8, 0
	s_and_b64 vcc, exec, s[4:5]
	s_cbranch_vccz .LBB87_12
; %bb.11:
	v_mov_b32_e32 v23, 0
	ds_read2_b64 v[1:4], v33 offset1:20
	ds_read2_b64 v[5:8], v23 offset1:42
	ds_read_b128 v[9:12], v23 offset:160
	v_add_u32_e32 v24, 0x400, v33
	s_movk_i32 s8, 0x400
	s_waitcnt lgkmcnt(1)
	v_mul_f64 v[1:2], v[5:6], v[1:2]
	s_waitcnt lgkmcnt(0)
	v_fma_f64 v[9:10], -v[1:2], v[9:10], v[3:4]
	ds_read2_b64 v[3:6], v33 offset0:40 offset1:60
	ds_read_b128 v[13:16], v23 offset:320
	s_waitcnt lgkmcnt(0)
	v_fma_f64 v[13:14], -v[1:2], v[13:14], v[3:4]
	v_mul_f64 v[3:4], v[11:12], v[9:10]
	ds_read_b128 v[9:12], v23 offset:480
	ds_read2_b64 v[17:20], v33 offset0:80 offset1:100
	ds_read2_b64 v[25:28], v33 offset0:120 offset1:140
	;; [unrolled: 1-line block ×3, first 2 shown]
	s_waitcnt lgkmcnt(3)
	v_fma_f64 v[5:6], -v[1:2], v[9:10], v[5:6]
	v_fma_f64 v[9:10], -v[3:4], v[15:16], v[13:14]
	ds_read2_b64 v[13:16], v33 offset0:200 offset1:220
	ds_read2_b64 v[34:37], v24 offset0:112 offset1:132
	ds_read_b128 v[38:41], v23 offset:496
	ds_read_b128 v[42:45], v23 offset:640
	v_fma_f64 v[11:12], -v[3:4], v[11:12], v[5:6]
	s_waitcnt lgkmcnt(0)
	v_fma_f64 v[21:22], -v[1:2], v[42:43], v[17:18]
	v_mul_f64 v[5:6], v[7:8], v[9:10]
	ds_read_b128 v[7:10], v23 offset:800
	ds_read_b128 v[46:49], v23 offset:656
	;; [unrolled: 1-line block ×4, first 2 shown]
	s_waitcnt lgkmcnt(3)
	v_fma_f64 v[7:8], -v[1:2], v[7:8], v[19:20]
	ds_read_b128 v[17:20], v23 offset:1120
	ds_read_b128 v[58:61], v23 offset:1280
	;; [unrolled: 1-line block ×4, first 2 shown]
	v_fma_f64 v[21:22], -v[3:4], v[44:45], v[21:22]
	v_fma_f64 v[11:12], -v[5:6], v[38:39], v[11:12]
	ds_read_b128 v[42:45], v23 offset:1760
	ds_read_b128 v[70:73], v23 offset:1920
	s_waitcnt lgkmcnt(5)
	v_fma_f64 v[17:18], -v[1:2], v[17:18], v[27:28]
	v_fma_f64 v[9:10], -v[3:4], v[9:10], v[7:8]
	v_mul_f64 v[7:8], v[40:41], v[11:12]
	v_fma_f64 v[11:12], -v[1:2], v[54:55], v[25:26]
	s_waitcnt lgkmcnt(4)
	v_fma_f64 v[54:55], -v[1:2], v[58:59], v[29:30]
	s_waitcnt lgkmcnt(2)
	v_fma_f64 v[58:59], -v[1:2], v[66:67], v[13:14]
	v_fma_f64 v[13:14], -v[5:6], v[46:47], v[21:22]
	ds_read_b128 v[38:41], v23 offset:2080
	v_fma_f64 v[30:31], -v[1:2], v[62:63], v[31:32]
	s_waitcnt lgkmcnt(2)
	v_fma_f64 v[21:22], -v[1:2], v[42:43], v[15:16]
	s_waitcnt lgkmcnt(1)
	v_fma_f64 v[62:63], -v[1:2], v[70:71], v[34:35]
	v_fma_f64 v[34:35], -v[3:4], v[56:57], v[11:12]
	s_waitcnt lgkmcnt(0)
	v_fma_f64 v[38:39], -v[1:2], v[38:39], v[36:37]
	v_fma_f64 v[36:37], -v[5:6], v[50:51], v[9:10]
	;; [unrolled: 1-line block ×3, first 2 shown]
	ds_read_b128 v[9:12], v23 offset:976
	ds_read2_b64 v[13:16], v23 offset0:84 offset1:126
	v_fma_f64 v[50:51], -v[3:4], v[19:20], v[17:18]
	v_fma_f64 v[54:55], -v[3:4], v[60:61], v[54:55]
	ds_read_b128 v[17:20], v23 offset:1136
	s_waitcnt lgkmcnt(2)
	v_fma_f64 v[56:57], -v[5:6], v[9:10], v[34:35]
	v_fma_f64 v[60:61], -v[7:8], v[52:53], v[36:37]
	s_waitcnt lgkmcnt(1)
	v_mul_f64 v[9:10], v[13:14], v[42:43]
	ds_read_b128 v[34:37], v23 offset:832
	ds_read_b128 v[46:49], v23 offset:992
	s_waitcnt lgkmcnt(2)
	v_fma_f64 v[17:18], -v[5:6], v[17:18], v[50:51]
	v_fma_f64 v[30:31], -v[3:4], v[64:65], v[30:31]
	;; [unrolled: 1-line block ×4, first 2 shown]
	ds_read_b128 v[11:14], v23 offset:1296
	s_waitcnt lgkmcnt(2)
	v_fma_f64 v[34:35], -v[9:10], v[34:35], v[60:61]
	ds_read_b128 v[50:53], v23 offset:1152
	v_fma_f64 v[21:22], -v[3:4], v[44:45], v[21:22]
	v_fma_f64 v[58:59], -v[7:8], v[19:20], v[17:18]
	ds_read_b128 v[17:20], v23 offset:1456
	s_waitcnt lgkmcnt(2)
	v_fma_f64 v[60:61], -v[5:6], v[11:12], v[54:55]
	v_fma_f64 v[46:47], -v[9:10], v[46:47], v[56:57]
	ds_read_b128 v[42:45], v23 offset:1168
	v_mul_f64 v[11:12], v[36:37], v[34:35]
	s_waitcnt lgkmcnt(1)
	v_fma_f64 v[17:18], -v[5:6], v[17:18], v[30:31]
	v_fma_f64 v[30:31], -v[3:4], v[72:73], v[62:63]
	;; [unrolled: 1-line block ×3, first 2 shown]
	ds_read_b128 v[34:37], v23 offset:1312
	ds_read_b128 v[54:57], v23 offset:1328
	v_fma_f64 v[13:14], -v[7:8], v[13:14], v[60:61]
	v_fma_f64 v[70:71], -v[3:4], v[40:41], v[38:39]
	;; [unrolled: 1-line block ×3, first 2 shown]
	ds_read_b128 v[38:41], v23 offset:1936
	v_fma_f64 v[66:67], -v[7:8], v[19:20], v[17:18]
	v_fma_f64 v[68:69], -v[11:12], v[52:53], v[50:51]
	ds_read_b128 v[58:61], v23 offset:1616
	ds_read_b128 v[17:20], v23 offset:1472
	s_waitcnt lgkmcnt(4)
	v_fma_f64 v[34:35], -v[9:10], v[34:35], v[13:14]
	s_waitcnt lgkmcnt(2)
	v_fma_f64 v[30:31], -v[5:6], v[38:39], v[30:31]
	v_mul_f64 v[13:14], v[15:16], v[62:63]
	ds_read_b128 v[50:53], v23 offset:1776
	v_add_u32_e32 v25, 0x800, v33
	ds_read2_b64 v[26:29], v25 offset0:24 offset1:44
	ds_read2_b64 v[46:49], v23 offset0:168 offset1:210
	v_add_u32_e64 v32, s8, 0
	v_fma_f64 v[72:73], -v[11:12], v[36:37], v[34:35]
	v_fma_f64 v[30:31], -v[7:8], v[40:41], v[30:31]
	;; [unrolled: 1-line block ×3, first 2 shown]
	ds_read_b128 v[38:41], v23 offset:1664
	s_waitcnt lgkmcnt(5)
	v_fma_f64 v[58:59], -v[5:6], v[58:59], v[64:65]
	ds_read_b128 v[62:65], v23 offset:1488
	s_waitcnt lgkmcnt(5)
	v_fma_f64 v[66:67], -v[9:10], v[17:18], v[66:67]
	ds_read_b128 v[15:18], v23 offset:2096
	v_fma_f64 v[54:55], -v[13:14], v[54:55], v[72:73]
	s_movk_i32 s8, 0x800
	ds_read_b128 v[34:37], v23 offset:1632
	s_waitcnt lgkmcnt(1)
	v_fma_f64 v[68:69], -v[5:6], v[15:16], v[70:71]
	v_mul_f64 v[15:16], v[44:45], v[42:43]
	v_fma_f64 v[66:67], -v[11:12], v[19:20], v[66:67]
	ds_read_b128 v[42:45], v23 offset:1792
	v_fma_f64 v[68:69], -v[7:8], v[17:18], v[68:69]
	v_fma_f64 v[17:18], -v[13:14], v[62:63], v[66:67]
	;; [unrolled: 1-line block ×3, first 2 shown]
	ds_read_b128 v[54:57], v23 offset:1952
	s_waitcnt lgkmcnt(0)
	v_fma_f64 v[30:31], -v[9:10], v[54:55], v[30:31]
	v_fma_f64 v[64:65], -v[15:16], v[64:65], v[17:18]
	v_mul_f64 v[17:18], v[46:47], v[62:63]
	v_fma_f64 v[30:31], -v[11:12], v[56:57], v[30:31]
	ds_read_b128 v[54:57], v23 offset:1840
	v_fma_f64 v[21:22], -v[5:6], v[50:51], v[21:22]
	v_fma_f64 v[50:51], -v[7:8], v[60:61], v[58:59]
	ds_read_b128 v[58:61], v23 offset:1504
	s_waitcnt lgkmcnt(0)
	v_fma_f64 v[46:47], -v[17:18], v[58:59], v[64:65]
	v_fma_f64 v[52:53], -v[7:8], v[52:53], v[21:22]
	v_fma_f64 v[34:35], -v[9:10], v[34:35], v[50:51]
	ds_read_b128 v[19:22], v23 offset:1648
	v_fma_f64 v[42:43], -v[9:10], v[42:43], v[52:53]
	v_fma_f64 v[66:67], -v[11:12], v[36:37], v[34:35]
	ds_read_b128 v[50:53], v23 offset:2240
	ds_read_b128 v[34:37], v23 offset:2112
	s_waitcnt lgkmcnt(1)
	v_fma_f64 v[26:27], -v[1:2], v[50:51], v[26:27]
	v_fma_f64 v[70:71], -v[11:12], v[44:45], v[42:43]
	;; [unrolled: 1-line block ×3, first 2 shown]
	ds_read_b128 v[42:45], v23 offset:1808
	s_waitcnt lgkmcnt(1)
	v_fma_f64 v[34:35], -v[9:10], v[34:35], v[68:69]
	v_fma_f64 v[26:27], -v[3:4], v[52:53], v[26:27]
	ds_read_b128 v[50:53], v23 offset:1824
	s_waitcnt lgkmcnt(1)
	v_fma_f64 v[42:43], -v[13:14], v[42:43], v[70:71]
	v_fma_f64 v[62:63], -v[15:16], v[21:22], v[19:20]
	ds_read_b128 v[19:22], v23 offset:2256
	v_fma_f64 v[64:65], -v[11:12], v[36:37], v[34:35]
	ds_read_b128 v[34:37], v23 offset:1968
	;; [unrolled: 2-line block ×3, first 2 shown]
	s_waitcnt lgkmcnt(2)
	v_fma_f64 v[68:69], -v[5:6], v[19:20], v[26:27]
	v_mul_f64 v[19:20], v[60:61], v[46:47]
	v_fma_f64 v[38:39], -v[17:18], v[38:39], v[62:63]
	ds_read_b128 v[58:61], v23 offset:2128
	s_waitcnt lgkmcnt(1)
	v_fma_f64 v[42:43], -v[1:2], v[42:43], v[28:29]
	ds_read_b128 v[26:29], v23 offset:2176
	v_fma_f64 v[50:51], -v[17:18], v[50:51], v[66:67]
	v_fma_f64 v[21:22], -v[7:8], v[21:22], v[68:69]
	;; [unrolled: 1-line block ×3, first 2 shown]
	ds_read_b128 v[38:41], v23 offset:1984
	v_fma_f64 v[30:31], -v[13:14], v[34:35], v[30:31]
	v_fma_f64 v[70:71], -v[19:20], v[52:53], v[50:51]
	ds_read_b128 v[50:53], v23 offset:2560
	v_fma_f64 v[30:31], -v[15:16], v[36:37], v[30:31]
	ds_read_b128 v[34:37], v23 offset:2416
	s_waitcnt lgkmcnt(2)
	v_fma_f64 v[30:31], -v[17:18], v[38:39], v[30:31]
	v_fma_f64 v[38:39], -v[3:4], v[44:45], v[42:43]
	ds_read_b128 v[42:45], v23 offset:2000
	v_fma_f64 v[46:47], -v[13:14], v[58:59], v[64:65]
	ds_read_b128 v[62:65], v23 offset:2272
	v_fma_f64 v[30:31], -v[19:20], v[40:41], v[30:31]
	s_waitcnt lgkmcnt(0)
	v_fma_f64 v[62:63], -v[9:10], v[62:63], v[21:22]
	v_mul_f64 v[21:22], v[48:49], v[66:67]
	v_fma_f64 v[68:69], -v[15:16], v[60:61], v[46:47]
	ds_read_b128 v[58:61], v23 offset:2144
	ds_read2_b64 v[46:49], v25 offset0:64 offset1:84
	v_fma_f64 v[66:67], -v[11:12], v[64:65], v[62:63]
	v_fma_f64 v[54:55], -v[21:22], v[54:55], v[70:71]
	ds_read_b128 v[62:65], v23 offset:2288
	v_fma_f64 v[34:35], -v[5:6], v[34:35], v[38:39]
	ds_read_b128 v[38:41], v23 offset:2160
	s_waitcnt lgkmcnt(3)
	v_fma_f64 v[58:59], -v[17:18], v[58:59], v[68:69]
	v_fma_f64 v[30:31], -v[21:22], v[42:43], v[30:31]
	;; [unrolled: 1-line block ×4, first 2 shown]
	s_waitcnt lgkmcnt(1)
	v_fma_f64 v[58:59], -v[13:14], v[62:63], v[66:67]
	v_mul_f64 v[62:63], v[56:57], v[54:55]
	ds_read_b128 v[54:57], v23 offset:2304
	v_fma_f64 v[46:47], -v[1:2], v[50:51], v[46:47]
	s_waitcnt lgkmcnt(1)
	v_fma_f64 v[38:39], -v[21:22], v[38:39], v[68:69]
	v_fma_f64 v[64:65], -v[15:16], v[64:65], v[58:59]
	;; [unrolled: 1-line block ×4, first 2 shown]
	ds_read_b128 v[34:37], v23 offset:2720
	ds_read_b128 v[50:53], v23 offset:2576
	;; [unrolled: 1-line block ×3, first 2 shown]
	v_fma_f64 v[66:67], -v[62:63], v[40:41], v[38:39]
	s_waitcnt lgkmcnt(2)
	v_fma_f64 v[34:35], -v[1:2], v[34:35], v[48:49]
	ds_read_b128 v[38:41], v23 offset:2448
	s_waitcnt lgkmcnt(1)
	v_fma_f64 v[58:59], -v[9:10], v[58:59], v[42:43]
	ds_read2_b64 v[42:45], v25 offset0:104 offset1:124
	v_fma_f64 v[50:51], -v[5:6], v[50:51], v[46:47]
	ds_read_b128 v[46:49], v23 offset:2880
	v_fma_f64 v[54:55], -v[17:18], v[54:55], v[64:65]
	v_fma_f64 v[64:65], -v[3:4], v[36:37], v[34:35]
	ds_read_b128 v[34:37], v23 offset:2736
	s_waitcnt lgkmcnt(1)
	v_fma_f64 v[42:43], -v[1:2], v[46:47], v[42:43]
	v_fma_f64 v[58:59], -v[11:12], v[60:61], v[58:59]
	;; [unrolled: 1-line block ×4, first 2 shown]
	ds_read_b128 v[50:53], v23 offset:3040
	ds_read2_b64 v[54:57], v32 offset0:124 offset1:166
	s_waitcnt lgkmcnt(2)
	v_fma_f64 v[34:35], -v[5:6], v[34:35], v[64:65]
	v_add_u32_e64 v32, s8, 0
	v_fma_f64 v[64:65], -v[3:4], v[48:49], v[42:43]
	v_fma_f64 v[38:39], -v[13:14], v[38:39], v[58:59]
	s_waitcnt lgkmcnt(0)
	v_mul_f64 v[30:31], v[54:55], v[30:31]
	ds_read_b128 v[46:49], v23 offset:2592
	v_fma_f64 v[50:51], -v[1:2], v[50:51], v[44:45]
	ds_read_b128 v[42:45], v23 offset:2320
	v_fma_f64 v[58:59], -v[7:8], v[36:37], v[34:35]
	ds_read_b128 v[34:37], v23 offset:2896
	s_mov_b32 s8, 20
	v_fma_f64 v[54:55], -v[15:16], v[40:41], v[38:39]
	ds_read_b128 v[38:41], v23 offset:2752
	v_fma_f64 v[26:27], -v[30:31], v[26:27], v[66:67]
	s_waitcnt lgkmcnt(1)
	v_fma_f64 v[34:35], -v[5:6], v[34:35], v[64:65]
	s_waitcnt lgkmcnt(0)
	v_fma_f64 v[38:39], -v[9:10], v[38:39], v[58:59]
	v_fma_f64 v[58:59], -v[7:8], v[36:37], v[34:35]
	ds_read_b128 v[34:37], v23 offset:2464
	v_fma_f64 v[46:47], -v[9:10], v[46:47], v[60:61]
	v_fma_f64 v[60:61], -v[3:4], v[52:53], v[50:51]
	ds_read_b128 v[50:53], v23 offset:2608
	s_waitcnt lgkmcnt(1)
	v_fma_f64 v[34:35], -v[17:18], v[34:35], v[54:55]
	v_mul_f64 v[54:55], v[28:29], v[26:27]
	ds_read_b128 v[26:29], v23 offset:2768
	v_fma_f64 v[64:65], -v[11:12], v[48:49], v[46:47]
	ds_read_b128 v[46:49], v23 offset:3056
	s_waitcnt lgkmcnt(0)
	v_fma_f64 v[46:47], -v[5:6], v[46:47], v[60:61]
	v_fma_f64 v[60:61], -v[11:12], v[40:41], v[38:39]
	ds_read_b128 v[38:41], v23 offset:2336
	v_fma_f64 v[42:43], -v[21:22], v[42:43], v[68:69]
	v_fma_f64 v[50:51], -v[13:14], v[50:51], v[64:65]
	;; [unrolled: 1-line block ×5, first 2 shown]
	ds_read_b128 v[42:45], v23 offset:2912
	v_fma_f64 v[64:65], -v[15:16], v[52:53], v[50:51]
	s_waitcnt lgkmcnt(0)
	v_fma_f64 v[42:43], -v[9:10], v[42:43], v[58:59]
	v_fma_f64 v[58:59], -v[7:8], v[48:49], v[46:47]
	ds_read_b128 v[46:49], v23 offset:2624
	ds_read_b128 v[50:53], v23 offset:3072
	;; [unrolled: 1-line block ×3, first 2 shown]
	v_fma_f64 v[38:39], -v[30:31], v[38:39], v[66:67]
	s_waitcnt lgkmcnt(2)
	v_fma_f64 v[46:47], -v[17:18], v[46:47], v[64:65]
	v_fma_f64 v[68:69], -v[11:12], v[44:45], v[42:43]
	s_waitcnt lgkmcnt(1)
	v_fma_f64 v[50:51], -v[9:10], v[50:51], v[58:59]
	ds_read_b128 v[42:45], v23 offset:2928
	v_fma_f64 v[58:59], -v[15:16], v[28:29], v[26:27]
	ds_read_b128 v[26:29], v23 offset:2640
	s_waitcnt lgkmcnt(2)
	v_fma_f64 v[34:35], -v[21:22], v[34:35], v[60:61]
	v_fma_f64 v[64:65], -v[19:20], v[48:49], v[46:47]
	ds_read_b128 v[46:49], v23 offset:3088
	s_waitcnt lgkmcnt(2)
	v_fma_f64 v[42:43], -v[13:14], v[42:43], v[68:69]
	v_fma_f64 v[60:61], -v[11:12], v[52:53], v[50:51]
	ds_read_b128 v[50:53], v23 offset:2784
	v_fma_f64 v[66:67], -v[54:55], v[40:41], v[38:39]
	ds_read_b128 v[38:41], v23 offset:2944
	;; [unrolled: 2-line block ×3, first 2 shown]
	s_waitcnt lgkmcnt(2)
	v_fma_f64 v[50:51], -v[17:18], v[50:51], v[58:59]
	v_fma_f64 v[58:59], -v[15:16], v[44:45], v[42:43]
	;; [unrolled: 1-line block ×4, first 2 shown]
	ds_read_b128 v[42:45], v23 offset:2800
	v_mul_f64 v[56:57], v[56:57], v[66:67]
	s_waitcnt lgkmcnt(1)
	v_fma_f64 v[34:35], -v[30:31], v[34:35], v[68:69]
	v_fma_f64 v[50:51], -v[19:20], v[52:53], v[50:51]
	;; [unrolled: 1-line block ×5, first 2 shown]
	ds_read_b128 v[26:29], v23 offset:3104
	ds_read_b128 v[46:49], v23 offset:2656
	v_fma_f64 v[60:61], -v[54:55], v[36:37], v[34:35]
	ds_read_b128 v[34:37], v23 offset:2960
	s_waitcnt lgkmcnt(3)
	v_fma_f64 v[42:43], -v[21:22], v[42:43], v[50:51]
	v_fma_f64 v[50:51], -v[19:20], v[40:41], v[38:39]
	s_waitcnt lgkmcnt(2)
	v_fma_f64 v[26:27], -v[17:18], v[26:27], v[52:53]
	s_waitcnt lgkmcnt(1)
	v_fma_f64 v[46:47], -v[30:31], v[46:47], v[58:59]
	ds_read_b128 v[38:41], v23 offset:2512
	v_fma_f64 v[52:53], -v[62:63], v[44:45], v[42:43]
	s_waitcnt lgkmcnt(1)
	v_fma_f64 v[34:35], -v[21:22], v[34:35], v[50:51]
	v_fma_f64 v[58:59], -v[19:20], v[28:29], v[26:27]
	ds_read_b128 v[42:45], v23 offset:2816
	s_waitcnt lgkmcnt(1)
	v_fma_f64 v[38:39], -v[56:57], v[38:39], v[60:61]
	v_fma_f64 v[60:61], -v[54:55], v[48:49], v[46:47]
	ds_read_b128 v[26:29], v23 offset:3120
	ds_read_b128 v[46:49], v23 offset:2672
	s_waitcnt lgkmcnt(2)
	v_fma_f64 v[42:43], -v[30:31], v[42:43], v[52:53]
	v_fma_f64 v[64:65], -v[62:63], v[36:37], v[34:35]
	s_waitcnt lgkmcnt(1)
	v_fma_f64 v[26:27], -v[21:22], v[26:27], v[58:59]
	ds_read_b128 v[50:53], v23 offset:2976
	ds_read_b128 v[34:37], v23 offset:2832
	v_mul_f64 v[58:59], v[40:41], v[38:39]
	s_waitcnt lgkmcnt(2)
	v_fma_f64 v[38:39], -v[56:57], v[46:47], v[60:61]
	v_fma_f64 v[40:41], -v[54:55], v[44:45], v[42:43]
	s_waitcnt lgkmcnt(1)
	v_fma_f64 v[42:43], -v[30:31], v[50:51], v[64:65]
	v_fma_f64 v[44:45], -v[62:63], v[28:29], v[26:27]
	ds_read_b128 v[26:29], v23 offset:3136
	v_fma_f64 v[46:47], -v[58:59], v[48:49], v[38:39]
	s_waitcnt lgkmcnt(1)
	v_fma_f64 v[34:35], -v[56:57], v[34:35], v[40:41]
	v_fma_f64 v[48:49], -v[54:55], v[52:53], v[42:43]
	s_waitcnt lgkmcnt(0)
	v_fma_f64 v[26:27], -v[30:31], v[26:27], v[44:45]
	ds_read2_b64 v[38:41], v32 offset0:80 offset1:122
	ds_read_b128 v[42:45], v23 offset:2992
	s_waitcnt lgkmcnt(1)
	v_mul_f64 v[38:39], v[38:39], v[46:47]
	v_fma_f64 v[46:47], -v[58:59], v[36:37], v[34:35]
	s_waitcnt lgkmcnt(0)
	v_fma_f64 v[42:43], -v[56:57], v[42:43], v[48:49]
	v_fma_f64 v[48:49], -v[54:55], v[28:29], v[26:27]
	ds_read_b128 v[26:29], v23 offset:2848
	ds_read_b128 v[34:37], v23 offset:3152
	s_waitcnt lgkmcnt(1)
	v_fma_f64 v[26:27], -v[38:39], v[26:27], v[46:47]
	v_fma_f64 v[46:47], -v[58:59], v[44:45], v[42:43]
	s_waitcnt lgkmcnt(0)
	v_fma_f64 v[34:35], -v[56:57], v[34:35], v[48:49]
	ds_read_b128 v[42:45], v23 offset:3008
	v_mul_f64 v[48:49], v[28:29], v[26:27]
	ds_read_b128 v[26:29], v23 offset:3168
	s_waitcnt lgkmcnt(1)
	v_fma_f64 v[42:43], -v[38:39], v[42:43], v[46:47]
	v_fma_f64 v[34:35], -v[58:59], v[36:37], v[34:35]
	;; [unrolled: 1-line block ×3, first 2 shown]
	s_waitcnt lgkmcnt(0)
	v_fma_f64 v[26:27], -v[38:39], v[26:27], v[34:35]
	v_mul_f64 v[34:35], v[40:41], v[36:37]
	v_fma_f64 v[36:37], -v[48:49], v[28:29], v[26:27]
	ds_read_b128 v[26:29], v23 offset:3184
	ds_write2_b64 v33, v[1:2], v[3:4] offset1:20
	ds_write2_b64 v33, v[5:6], v[7:8] offset0:40 offset1:60
	s_waitcnt lgkmcnt(2)
	v_fma_f64 v[26:27], -v[34:35], v[26:27], v[36:37]
	v_mul_f64 v[1:2], v[28:29], v[26:27]
	ds_write2_b64 v33, v[9:10], v[11:12] offset0:80 offset1:100
	ds_write2_b64 v33, v[13:14], v[15:16] offset0:120 offset1:140
	;; [unrolled: 1-line block ×8, first 2 shown]
.LBB87_12:
	s_cmp_lt_i32 s8, s22
	s_cbranch_scc0 .LBB87_23
; %bb.13:
	s_add_i32 s11, s8, 15
	s_cmp_ge_u32 s11, s22
	s_cbranch_scc1 .LBB87_18
; %bb.14:
	s_mul_i32 s11, s8, 0xa0
	v_add_u32_e32 v34, s11, v33
	ds_read2_b64 v[29:32], v34 offset1:20
	ds_read2_b64 v[21:24], v34 offset0:40 offset1:60
	ds_read2_b64 v[17:20], v34 offset0:80 offset1:100
	;; [unrolled: 1-line block ×5, first 2 shown]
	v_add_u32_e32 v1, 0x400, v34
	ds_read2_b64 v[5:8], v1 offset0:112 offset1:132
	v_add_u32_e32 v1, 0x800, v34
	ds_read2_b64 v[1:4], v1 offset0:24 offset1:44
	s_andn2_b64 vcc, exec, s[4:5]
	s_cbranch_vccnz .LBB87_17
; %bb.15:
	v_mov_b32_e32 v35, 0xc80
	v_lshl_add_u32 v35, v0, 3, v35
	s_mov_b32 s4, s8
	s_mov_b32 s5, s11
.LBB87_16:                              ; =>This Inner Loop Header: Depth=1
	v_mov_b32_e32 v100, s5
	ds_read2_b64 v[36:39], v35 offset1:20
	ds_read_b128 v[40:43], v100
	ds_read_b128 v[44:47], v100 offset:160
	ds_read_b128 v[48:51], v100 offset:320
	;; [unrolled: 1-line block ×15, first 2 shown]
	s_add_i32 s5, s5, 16
	s_add_i32 s4, s4, -2
	s_cmp_lg_u32 s4, 0
	s_waitcnt lgkmcnt(14)
	v_fma_f64 v[29:30], -v[36:37], v[40:41], v[29:30]
	v_fma_f64 v[31:32], -v[36:37], v[44:45], v[31:32]
	s_waitcnt lgkmcnt(13)
	v_fma_f64 v[21:22], -v[36:37], v[48:49], v[21:22]
	s_waitcnt lgkmcnt(12)
	;; [unrolled: 2-line block ×14, first 2 shown]
	v_fma_f64 v[3:4], -v[36:37], v[100:101], v[3:4]
	v_fma_f64 v[29:30], -v[38:39], v[42:43], v[29:30]
	;; [unrolled: 1-line block ×17, first 2 shown]
	v_add_u32_e32 v35, 0x140, v35
	s_cbranch_scc1 .LBB87_16
.LBB87_17:
	s_lshl_b32 s16, s8, 3
	s_add_i32 s4, s16, s11
	v_mov_b32_e32 v35, s4
	ds_read2_b64 v[36:39], v35 offset1:42
	s_add_i32 s4, s11, 0xa0
	s_add_i32 s14, s16, s4
	;; [unrolled: 1-line block ×4, first 2 shown]
	s_waitcnt lgkmcnt(0)
	v_mul_f64 v[29:30], v[36:37], v[29:30]
	v_mov_b32_e32 v36, s14
	ds_read_b128 v[40:43], v36
	v_mov_b32_e32 v36, s15
	ds_read_b128 v[44:47], v36
	s_add_i32 s12, s11, 0x1e0
	s_add_i32 s20, s16, s12
	v_mov_b32_e32 v36, s20
	s_waitcnt lgkmcnt(1)
	v_fma_f64 v[31:32], -v[29:30], v[40:41], v[31:32]
	s_waitcnt lgkmcnt(0)
	v_fma_f64 v[21:22], -v[29:30], v[44:45], v[21:22]
	s_add_i32 s13, s11, 0x280
	s_add_i32 s21, s16, s13
	v_mov_b32_e32 v44, s21
	s_add_i32 s14, s11, 0x320
	s_add_i32 s20, s16, s14
	v_mov_b32_e32 v52, s20
	v_mul_f64 v[31:32], v[42:43], v[31:32]
	ds_read_b128 v[40:43], v36
	ds_read_b128 v[48:51], v36 offset:16
	s_add_i32 s15, s11, 0x3c0
	s_add_i32 s23, s16, s15
	v_mov_b32_e32 v68, s23
	s_waitcnt lgkmcnt(1)
	v_fma_f64 v[36:37], -v[29:30], v[40:41], v[23:24]
	s_add_i32 s17, s11, 0x460
	v_fma_f64 v[40:41], -v[31:32], v[46:47], v[21:22]
	ds_read_b128 v[21:24], v44
	ds_read_b128 v[44:47], v44 offset:16
	s_add_i32 s21, s16, s17
	v_mov_b32_e32 v69, s21
	s_add_i32 s18, s11, 0x500
	s_waitcnt lgkmcnt(1)
	v_fma_f64 v[17:18], -v[29:30], v[21:22], v[17:18]
	v_fma_f64 v[21:22], -v[31:32], v[42:43], v[36:37]
	v_mul_f64 v[60:61], v[38:39], v[40:41]
	ds_read_b128 v[36:39], v52
	ds_read_b128 v[40:43], v52 offset:16
	ds_read_b128 v[52:55], v52 offset:32
	ds_read_b128 v[56:59], v68
	s_add_i32 s24, s16, s18
	v_mov_b32_e32 v70, s24
	s_add_i32 s19, s11, 0x5a0
	s_waitcnt lgkmcnt(3)
	v_fma_f64 v[36:37], -v[29:30], v[36:37], v[19:20]
	v_fma_f64 v[62:63], -v[31:32], v[23:24], v[17:18]
	;; [unrolled: 1-line block ×3, first 2 shown]
	s_waitcnt lgkmcnt(0)
	v_fma_f64 v[13:14], -v[29:30], v[56:57], v[13:14]
	ds_read2_b64 v[17:20], v35 offset0:84 offset1:126
	ds_read_b128 v[21:24], v69
	s_add_i32 s20, s16, s19
	s_add_i32 s23, s11, 0x780
	;; [unrolled: 1-line block ×3, first 2 shown]
	v_fma_f64 v[64:65], -v[31:32], v[38:39], v[36:37]
	v_fma_f64 v[44:45], -v[60:61], v[44:45], v[62:63]
	v_mul_f64 v[62:63], v[50:51], v[48:49]
	v_fma_f64 v[66:67], -v[31:32], v[58:59], v[13:14]
	s_waitcnt lgkmcnt(0)
	v_fma_f64 v[21:22], -v[29:30], v[21:22], v[15:16]
	ds_read_b128 v[36:39], v69 offset:16
	ds_read_b128 v[13:16], v68 offset:16
	;; [unrolled: 1-line block ×3, first 2 shown]
	ds_read_b128 v[56:59], v70
	v_mov_b32_e32 v68, s20
	v_fma_f64 v[40:41], -v[60:61], v[40:41], v[64:65]
	s_add_i32 s20, s11, 0x640
	v_fma_f64 v[64:65], -v[62:63], v[46:47], v[44:45]
	s_waitcnt lgkmcnt(2)
	v_fma_f64 v[13:14], -v[60:61], v[13:14], v[66:67]
	v_fma_f64 v[66:67], -v[31:32], v[23:24], v[21:22]
	s_waitcnt lgkmcnt(0)
	v_fma_f64 v[25:26], -v[29:30], v[56:57], v[25:26]
	ds_read_b128 v[44:47], v70 offset:16
	ds_read_b128 v[21:24], v68
	v_fma_f64 v[40:41], -v[62:63], v[42:43], v[40:41]
	s_add_i32 s21, s16, s20
	v_mul_f64 v[56:57], v[17:18], v[64:65]
	v_fma_f64 v[17:18], -v[62:63], v[15:16], v[13:14]
	v_fma_f64 v[36:37], -v[60:61], v[36:37], v[66:67]
	;; [unrolled: 1-line block ×3, first 2 shown]
	s_waitcnt lgkmcnt(0)
	v_fma_f64 v[21:22], -v[29:30], v[21:22], v[27:28]
	v_mov_b32_e32 v58, s21
	ds_read_b128 v[13:16], v68 offset:16
	ds_read_b128 v[25:28], v58
	v_fma_f64 v[40:41], -v[56:57], v[52:53], v[40:41]
	v_fma_f64 v[17:18], -v[56:57], v[48:49], v[17:18]
	s_add_i32 s21, s11, 0x6e0
	v_fma_f64 v[42:43], -v[60:61], v[44:45], v[42:43]
	s_waitcnt lgkmcnt(0)
	v_fma_f64 v[9:10], -v[29:30], v[25:26], v[9:10]
	v_fma_f64 v[25:26], -v[31:32], v[23:24], v[21:22]
	;; [unrolled: 1-line block ×3, first 2 shown]
	ds_read_b128 v[21:24], v69 offset:32
	ds_read_b128 v[36:39], v69 offset:48
	v_mul_f64 v[52:53], v[54:55], v[40:41]
	s_add_i32 s24, s16, s21
	v_mov_b32_e32 v64, s24
	v_fma_f64 v[54:55], -v[62:63], v[46:47], v[42:43]
	v_fma_f64 v[9:10], -v[31:32], v[27:28], v[9:10]
	v_fma_f64 v[13:14], -v[60:61], v[13:14], v[25:26]
	s_waitcnt lgkmcnt(1)
	v_fma_f64 v[21:22], -v[56:57], v[21:22], v[44:45]
	v_mov_b32_e32 v65, s25
	v_fma_f64 v[17:18], -v[52:53], v[50:51], v[17:18]
	ds_read_b128 v[25:28], v58 offset:16
	ds_read_b128 v[40:43], v70 offset:32
	;; [unrolled: 1-line block ×4, first 2 shown]
	s_add_i32 s24, s11, 0x820
	s_add_i32 s25, s16, s24
	s_waitcnt lgkmcnt(3)
	v_fma_f64 v[9:10], -v[60:61], v[25:26], v[9:10]
	s_waitcnt lgkmcnt(2)
	v_fma_f64 v[25:26], -v[56:57], v[40:41], v[54:55]
	v_fma_f64 v[21:22], -v[52:53], v[23:24], v[21:22]
	;; [unrolled: 1-line block ×3, first 2 shown]
	v_mul_f64 v[54:55], v[19:20], v[17:18]
	ds_read_b128 v[13:16], v68 offset:32
	ds_read_b128 v[17:20], v68 offset:48
	v_mov_b32_e32 v66, s25
	s_add_i32 s25, s11, 0x8c0
	v_fma_f64 v[9:10], -v[62:63], v[27:28], v[9:10]
	v_fma_f64 v[25:26], -v[52:53], v[42:43], v[25:26]
	s_add_i32 s26, s16, s25
	s_waitcnt lgkmcnt(1)
	v_fma_f64 v[13:14], -v[56:57], v[13:14], v[23:24]
	v_fma_f64 v[27:28], -v[54:55], v[36:37], v[21:22]
	ds_read_b128 v[21:24], v64
	v_mov_b32_e32 v67, s26
	s_addk_i32 s11, 0x960
	v_fma_f64 v[36:37], -v[56:57], v[48:49], v[9:10]
	v_fma_f64 v[40:41], -v[54:55], v[44:45], v[25:26]
	s_add_i32 s16, s16, s11
	s_add_i32 s8, s8, 16
	v_mul_f64 v[44:45], v[38:39], v[27:28]
	v_fma_f64 v[38:39], -v[52:53], v[15:16], v[13:14]
	ds_read_b128 v[13:16], v64 offset:16
	s_waitcnt lgkmcnt(1)
	v_fma_f64 v[21:22], -v[29:30], v[21:22], v[11:12]
	ds_read2_b64 v[9:12], v35 offset0:168 offset1:210
	ds_read_b128 v[25:28], v65
	v_fma_f64 v[48:49], -v[52:53], v[50:51], v[36:37]
	v_fma_f64 v[46:47], -v[44:45], v[46:47], v[40:41]
	;; [unrolled: 1-line block ×3, first 2 shown]
	ds_read_b128 v[36:39], v58 offset:48
	ds_read_b128 v[40:43], v58 offset:64
	v_fma_f64 v[50:51], -v[31:32], v[23:24], v[21:22]
	s_waitcnt lgkmcnt(2)
	v_fma_f64 v[5:6], -v[29:30], v[25:26], v[5:6]
	ds_read_b128 v[21:24], v65 offset:16
	s_waitcnt lgkmcnt(2)
	v_fma_f64 v[25:26], -v[54:55], v[36:37], v[48:49]
	v_mul_f64 v[46:47], v[9:10], v[46:47]
	v_fma_f64 v[9:10], -v[44:45], v[19:20], v[17:18]
	ds_read_b128 v[17:20], v68 offset:64
	v_mov_b32_e32 v68, s16
	v_fma_f64 v[13:14], -v[60:61], v[13:14], v[50:51]
	v_fma_f64 v[5:6], -v[31:32], v[27:28], v[5:6]
	;; [unrolled: 1-line block ×3, first 2 shown]
	s_waitcnt lgkmcnt(0)
	v_fma_f64 v[9:10], -v[46:47], v[17:18], v[9:10]
	v_fma_f64 v[17:18], -v[62:63], v[15:16], v[13:14]
	;; [unrolled: 1-line block ×3, first 2 shown]
	ds_read_b128 v[13:16], v64 offset:32
	ds_read_b128 v[25:28], v64 offset:48
	ds_read_b128 v[36:39], v66
	v_fma_f64 v[40:41], -v[46:47], v[40:41], v[48:49]
	v_mul_f64 v[48:49], v[19:20], v[9:10]
	s_waitcnt lgkmcnt(2)
	v_fma_f64 v[9:10], -v[56:57], v[13:14], v[17:18]
	s_waitcnt lgkmcnt(0)
	v_fma_f64 v[13:14], -v[29:30], v[36:37], v[7:8]
	v_fma_f64 v[36:37], -v[62:63], v[23:24], v[5:6]
	ds_read_b128 v[17:20], v66 offset:16
	ds_read_b128 v[5:8], v67
	ds_read_b128 v[21:24], v65 offset:32
	v_fma_f64 v[40:41], -v[48:49], v[42:43], v[40:41]
	v_fma_f64 v[9:10], -v[52:53], v[15:16], v[9:10]
	;; [unrolled: 1-line block ×3, first 2 shown]
	s_waitcnt lgkmcnt(1)
	v_fma_f64 v[1:2], -v[29:30], v[5:6], v[1:2]
	s_waitcnt lgkmcnt(0)
	v_fma_f64 v[21:22], -v[56:57], v[21:22], v[36:37]
	ds_read_b128 v[36:39], v68
	ds_read_b128 v[13:16], v65 offset:48
	v_mul_f64 v[40:41], v[11:12], v[40:41]
	v_fma_f64 v[9:10], -v[54:55], v[25:26], v[9:10]
	v_fma_f64 v[17:18], -v[60:61], v[17:18], v[50:51]
	v_fma_f64 v[25:26], -v[31:32], v[7:8], v[1:2]
	ds_read_b128 v[5:8], v68 offset:16
	s_waitcnt lgkmcnt(2)
	v_fma_f64 v[36:37], -v[29:30], v[36:37], v[3:4]
	ds_read_b128 v[1:4], v67 offset:16
	v_fma_f64 v[42:43], -v[52:53], v[23:24], v[21:22]
	ds_read_b128 v[21:24], v66 offset:32
	v_fma_f64 v[9:10], -v[44:45], v[27:28], v[9:10]
	v_fma_f64 v[50:51], -v[62:63], v[19:20], v[17:18]
	ds_read_b128 v[17:20], v67 offset:32
	s_waitcnt lgkmcnt(2)
	v_fma_f64 v[1:2], -v[60:61], v[1:2], v[25:26]
	v_fma_f64 v[58:59], -v[31:32], v[38:39], v[36:37]
	ds_read_b128 v[25:28], v64 offset:64
	ds_read_b128 v[36:39], v66 offset:48
	v_fma_f64 v[13:14], -v[54:55], v[13:14], v[42:43]
	s_waitcnt lgkmcnt(3)
	v_fma_f64 v[21:22], -v[56:57], v[21:22], v[50:51]
	s_waitcnt lgkmcnt(1)
	v_fma_f64 v[25:26], -v[46:47], v[25:26], v[9:10]
	v_fma_f64 v[42:43], -v[62:63], v[3:4], v[1:2]
	;; [unrolled: 1-line block ×3, first 2 shown]
	ds_read_b128 v[1:4], v64 offset:80
	ds_read_b128 v[9:12], v65 offset:64
	v_fma_f64 v[21:22], -v[52:53], v[23:24], v[21:22]
	v_fma_f64 v[23:24], -v[44:45], v[15:16], v[13:14]
	;; [unrolled: 1-line block ×4, first 2 shown]
	ds_read_b128 v[5:8], v65 offset:80
	ds_read_b128 v[13:16], v68 offset:32
	v_fma_f64 v[25:26], -v[48:49], v[27:28], v[25:26]
	ds_write_b64 v34, v[29:30]
	s_waitcnt lgkmcnt(5)
	v_fma_f64 v[27:28], -v[54:55], v[36:37], v[21:22]
	s_waitcnt lgkmcnt(3)
	v_fma_f64 v[9:10], -v[46:47], v[9:10], v[23:24]
	v_fma_f64 v[36:37], -v[52:53], v[19:20], v[17:18]
	s_waitcnt lgkmcnt(1)
	v_fma_f64 v[13:14], -v[56:57], v[13:14], v[42:43]
	ds_read_b128 v[21:24], v67 offset:48
	v_fma_f64 v[1:2], -v[40:41], v[1:2], v[25:26]
	ds_read_b128 v[17:20], v68 offset:48
	;; [unrolled: 2-line block ×3, first 2 shown]
	s_waitcnt lgkmcnt(2)
	v_fma_f64 v[21:22], -v[54:55], v[21:22], v[36:37]
	v_fma_f64 v[13:14], -v[52:53], v[15:16], v[13:14]
	ds_read_b128 v[36:39], v66 offset:64
	v_fma_f64 v[15:16], -v[48:49], v[11:12], v[9:10]
	ds_read_b128 v[9:12], v66 offset:80
	s_waitcnt lgkmcnt(1)
	v_fma_f64 v[36:37], -v[46:47], v[36:37], v[42:43]
	v_fma_f64 v[21:22], -v[44:45], v[23:24], v[21:22]
	v_mul_f64 v[42:43], v[3:4], v[1:2]
	v_fma_f64 v[1:2], -v[54:55], v[17:18], v[13:14]
	v_fma_f64 v[3:4], -v[40:41], v[5:6], v[15:16]
	;; [unrolled: 1-line block ×6, first 2 shown]
	ds_read_b128 v[1:4], v68 offset:64
	v_add_u32_e32 v7, 0x400, v35
	s_waitcnt lgkmcnt(1)
	v_fma_f64 v[9:10], -v[40:41], v[9:10], v[5:6]
	v_fma_f64 v[23:24], -v[48:49], v[27:28], v[13:14]
	ds_read2_b64 v[5:8], v7 offset0:124 offset1:166
	s_waitcnt lgkmcnt(1)
	v_fma_f64 v[1:2], -v[46:47], v[1:2], v[17:18]
	ds_read_b128 v[13:16], v68 offset:80
	ds_read_b128 v[17:20], v67 offset:80
	s_waitcnt lgkmcnt(2)
	v_mul_f64 v[5:6], v[5:6], v[21:22]
	v_fma_f64 v[25:26], -v[42:43], v[11:12], v[9:10]
	ds_read_b128 v[9:12], v67 offset:96
	s_waitcnt lgkmcnt(1)
	v_fma_f64 v[17:18], -v[40:41], v[17:18], v[23:24]
	v_fma_f64 v[1:2], -v[48:49], v[3:4], v[1:2]
	ds_read_b128 v[21:24], v66 offset:96
	s_waitcnt lgkmcnt(0)
	v_fma_f64 v[3:4], -v[5:6], v[21:22], v[25:26]
	v_fma_f64 v[17:18], -v[42:43], v[19:20], v[17:18]
	v_fma_f64 v[1:2], -v[40:41], v[13:14], v[1:2]
	v_mul_f64 v[13:14], v[23:24], v[3:4]
	v_fma_f64 v[9:10], -v[5:6], v[9:10], v[17:18]
	v_fma_f64 v[15:16], -v[42:43], v[15:16], v[1:2]
	ds_read_b128 v[1:4], v68 offset:96
	v_add_u32_e32 v17, s4, v33
	ds_write_b64 v17, v[31:32]
	v_fma_f64 v[17:18], -v[13:14], v[11:12], v[9:10]
	ds_read_b128 v[9:12], v68 offset:112
	s_waitcnt lgkmcnt(2)
	v_fma_f64 v[1:2], -v[5:6], v[1:2], v[15:16]
	v_add_u32_e32 v15, s5, v33
	ds_write_b64 v15, v[60:61]
	v_add_u32_e32 v15, s12, v33
	ds_write_b64 v15, v[62:63]
	v_add_u32_e32 v15, s13, v33
	v_mul_f64 v[7:8], v[7:8], v[17:18]
	ds_write_b64 v15, v[56:57]
	v_fma_f64 v[1:2], -v[13:14], v[3:4], v[1:2]
	v_add_u32_e32 v3, s14, v33
	ds_write_b64 v3, v[52:53]
	v_add_u32_e32 v3, s15, v33
	ds_write_b64 v3, v[54:55]
	;; [unrolled: 2-line block ×3, first 2 shown]
	v_add_u32_e32 v3, s18, v33
	s_waitcnt lgkmcnt(6)
	v_fma_f64 v[1:2], -v[7:8], v[9:10], v[1:2]
	ds_write_b64 v3, v[46:47]
	v_add_u32_e32 v3, s19, v33
	ds_write_b64 v3, v[48:49]
	v_add_u32_e32 v3, s20, v33
	;; [unrolled: 2-line block ×3, first 2 shown]
	ds_write_b64 v3, v[42:43]
	v_mul_f64 v[1:2], v[11:12], v[1:2]
	v_add_u32_e32 v3, s23, v33
	ds_write_b64 v3, v[5:6]
	v_add_u32_e32 v3, s24, v33
	ds_write_b64 v3, v[13:14]
	;; [unrolled: 2-line block ×4, first 2 shown]
.LBB87_18:
	s_cmp_ge_i32 s8, s22
	s_cbranch_scc1 .LBB87_23
; %bb.19:
	v_mov_b32_e32 v1, 0xc80
	s_mul_i32 s4, s8, 0xa0
	v_lshl_add_u32 v3, v0, 3, v1
	s_branch .LBB87_21
.LBB87_20:                              ;   in Loop: Header=BB87_21 Depth=1
	s_mul_i32 s5, s8, 0xa8
	v_mov_b32_e32 v5, s5
	ds_read_b64 v[5:6], v5
	s_add_i32 s8, s8, 1
	s_addk_i32 s4, 0xa0
	s_cmp_ge_i32 s8, s22
	s_waitcnt lgkmcnt(0)
	v_mul_f64 v[1:2], v[5:6], v[1:2]
	ds_write_b64 v4, v[1:2]
	s_cbranch_scc1 .LBB87_23
.LBB87_21:                              ; =>This Loop Header: Depth=1
                                        ;     Child Loop BB87_22 Depth 2
	s_mul_i32 s5, s8, 0xa0
	v_add_u32_e32 v4, s5, v33
	ds_read_b64 v[1:2], v4
	s_cmp_eq_u32 s8, 0
	v_mov_b32_e32 v5, v3
	s_mov_b32 s5, s8
	s_mov_b32 s11, s4
	s_cbranch_scc1 .LBB87_20
.LBB87_22:                              ;   Parent Loop BB87_21 Depth=1
                                        ; =>  This Inner Loop Header: Depth=2
	v_mov_b32_e32 v8, s11
	ds_read_b64 v[6:7], v5
	ds_read_b64 v[8:9], v8
	s_add_i32 s11, s11, 8
	s_add_i32 s5, s5, -1
	s_cmp_lg_u32 s5, 0
	v_add_u32_e32 v5, 0xa0, v5
	s_waitcnt lgkmcnt(0)
	v_fma_f64 v[1:2], -v[6:7], v[8:9], v[1:2]
	s_cbranch_scc1 .LBB87_22
	s_branch .LBB87_20
.LBB87_23:
	s_mov_b64 s[4:5], 0
.LBB87_24:
	s_and_b64 vcc, exec, s[4:5]
	s_cbranch_vccz .LBB87_46
; %bb.25:
	s_add_i32 s4, s22, -1
	s_cmp_gt_i32 s10, 19
	s_mov_b32 s5, s4
	s_cbranch_scc0 .LBB87_27
; %bb.26:
	v_add_u32_e32 v31, 0x800, v33
	v_mov_b32_e32 v32, 0
	ds_read2_b64 v[1:4], v31 offset0:104 offset1:124
	ds_read_b128 v[5:8], v32 offset:3184
	ds_read_b128 v[21:24], v32 offset:3168
	ds_read2_b64 v[25:28], v31 offset0:64 offset1:84
	s_movk_i32 s8, 0x800
	v_add_u32_e32 v34, 0x400, v33
	s_waitcnt lgkmcnt(2)
	v_mul_f64 v[29:30], v[7:8], v[3:4]
	v_add_u32_e64 v3, s8, 0
	s_movk_i32 s5, 0x400
	v_add_u32_e64 v75, s5, 0
	s_mov_b32 s5, -1
	v_fma_f64 v[1:2], -v[29:30], v[5:6], v[1:2]
	ds_read2_b64 v[13:16], v3 offset0:80 offset1:122
	ds_read2_b64 v[17:20], v33 offset0:200 offset1:220
	;; [unrolled: 1-line block ×4, first 2 shown]
	s_waitcnt lgkmcnt(4)
	v_fma_f64 v[23:24], -v[29:30], v[23:24], v[27:28]
	v_fma_f64 v[63:64], -v[29:30], v[21:22], v[25:26]
	s_waitcnt lgkmcnt(3)
	v_mul_f64 v[15:16], v[15:16], v[1:2]
	ds_read2_b64 v[1:4], v33 offset0:80 offset1:100
	ds_read2_b64 v[35:38], v33 offset0:40 offset1:60
	ds_read_b128 v[39:42], v32 offset:3008
	ds_read2_b64 v[43:46], v33 offset1:20
	ds_read2_b64 v[47:50], v31 offset0:24 offset1:44
	ds_read2_b64 v[51:54], v34 offset0:112 offset1:132
	s_waitcnt lgkmcnt(3)
	v_fma_f64 v[41:42], -v[15:16], v[41:42], v[23:24]
	ds_read_b128 v[21:24], v32 offset:3152
	ds_read_b128 v[25:28], v32 offset:2992
	;; [unrolled: 1-line block ×3, first 2 shown]
	v_fma_f64 v[63:64], -v[15:16], v[39:40], v[63:64]
	ds_read_b128 v[59:62], v32 offset:3136
	s_waitcnt lgkmcnt(3)
	v_fma_f64 v[65:66], -v[29:30], v[23:24], v[49:50]
	v_fma_f64 v[67:68], -v[29:30], v[21:22], v[47:48]
	ds_read_b128 v[21:24], v32 offset:3120
	ds_read_b128 v[47:50], v32 offset:2816
	s_waitcnt lgkmcnt(3)
	v_mul_f64 v[57:58], v[57:58], v[41:42]
	ds_read_b128 v[39:42], v32 offset:2832
	s_waitcnt lgkmcnt(3)
	v_fma_f64 v[61:62], -v[29:30], v[61:62], v[53:54]
	v_fma_f64 v[59:60], -v[29:30], v[59:60], v[51:52]
	;; [unrolled: 1-line block ×3, first 2 shown]
	ds_read_b128 v[51:54], v32 offset:2880
	s_waitcnt lgkmcnt(3)
	v_fma_f64 v[65:66], -v[29:30], v[21:22], v[17:18]
	v_fma_f64 v[67:68], -v[15:16], v[25:26], v[67:68]
	;; [unrolled: 1-line block ×4, first 2 shown]
	ds_read_b128 v[17:20], v32 offset:2672
	ds_read_b128 v[21:24], v32 offset:3104
	s_waitcnt lgkmcnt(3)
	v_fma_f64 v[41:42], -v[57:58], v[41:42], v[27:28]
	ds_read_b128 v[25:28], v32 offset:3088
	s_waitcnt lgkmcnt(1)
	v_fma_f64 v[69:70], -v[29:30], v[21:22], v[9:10]
	v_mul_f64 v[55:56], v[13:14], v[55:56]
	v_fma_f64 v[13:14], -v[29:30], v[23:24], v[11:12]
	ds_read_b128 v[9:12], v32 offset:2656
	ds_read_b128 v[21:24], v32 offset:2976
	v_fma_f64 v[39:40], -v[57:58], v[39:40], v[67:68]
	s_waitcnt lgkmcnt(2)
	v_fma_f64 v[27:28], -v[29:30], v[27:28], v[7:8]
	v_fma_f64 v[67:68], -v[29:30], v[25:26], v[5:6]
	s_waitcnt lgkmcnt(0)
	v_fma_f64 v[61:62], -v[15:16], v[23:24], v[61:62]
	v_fma_f64 v[41:42], -v[55:56], v[19:20], v[41:42]
	ds_read_b128 v[5:8], v32 offset:2512
	ds_read_b128 v[23:26], v32 offset:3072
	v_fma_f64 v[59:60], -v[15:16], v[21:22], v[59:60]
	v_fma_f64 v[17:18], -v[55:56], v[17:18], v[39:40]
	ds_read_b128 v[19:22], v32 offset:2496
	s_waitcnt lgkmcnt(1)
	v_fma_f64 v[73:74], -v[29:30], v[25:26], v[3:4]
	v_fma_f64 v[49:50], -v[57:58], v[49:50], v[61:62]
	v_mul_f64 v[71:72], v[7:8], v[41:42]
	v_fma_f64 v[61:62], -v[29:30], v[23:24], v[1:2]
	ds_read_b128 v[1:4], v32 offset:2960
	ds_read_b128 v[23:26], v32 offset:2176
	v_fma_f64 v[47:48], -v[57:58], v[47:48], v[59:60]
	ds_read_b128 v[39:42], v32 offset:2800
	s_waitcnt lgkmcnt(2)
	v_fma_f64 v[59:60], -v[15:16], v[3:4], v[63:64]
	v_fma_f64 v[49:50], -v[55:56], v[11:12], v[49:50]
	;; [unrolled: 1-line block ×3, first 2 shown]
	ds_read_b128 v[5:8], v32 offset:2944
	v_fma_f64 v[63:64], -v[15:16], v[1:2], v[65:66]
	ds_read2_b64 v[1:4], v75 offset0:124 offset1:166
	v_fma_f64 v[47:48], -v[55:56], v[9:10], v[47:48]
	ds_read_b128 v[9:12], v32 offset:2336
	s_waitcnt lgkmcnt(2)
	v_fma_f64 v[7:8], -v[15:16], v[7:8], v[13:14]
	v_fma_f64 v[65:66], -v[15:16], v[5:6], v[69:70]
	;; [unrolled: 1-line block ×3, first 2 shown]
	s_waitcnt lgkmcnt(1)
	v_mul_f64 v[49:50], v[3:4], v[17:18]
	ds_read_b128 v[3:6], v32 offset:2928
	v_fma_f64 v[21:22], -v[57:58], v[41:42], v[59:60]
	v_fma_f64 v[59:60], -v[57:58], v[39:40], v[63:64]
	ds_read_b128 v[39:42], v32 offset:2640
	v_fma_f64 v[47:48], -v[71:72], v[19:20], v[47:48]
	ds_read_b128 v[17:20], v32 offset:2784
	s_waitcnt lgkmcnt(2)
	v_fma_f64 v[63:64], -v[15:16], v[5:6], v[27:28]
	v_fma_f64 v[67:68], -v[15:16], v[3:4], v[67:68]
	ds_read_b128 v[3:6], v32 offset:2320
	v_fma_f64 v[27:28], -v[49:50], v[11:12], v[13:14]
	s_waitcnt lgkmcnt(2)
	v_fma_f64 v[21:22], -v[55:56], v[41:42], v[21:22]
	ds_read_b128 v[11:14], v32 offset:2480
	v_fma_f64 v[39:40], -v[55:56], v[39:40], v[59:60]
	s_waitcnt lgkmcnt(2)
	v_fma_f64 v[41:42], -v[57:58], v[19:20], v[7:8]
	v_fma_f64 v[47:48], -v[49:50], v[9:10], v[47:48]
	ds_read_b128 v[7:10], v32 offset:2624
	v_mul_f64 v[59:60], v[25:26], v[27:28]
	v_fma_f64 v[27:28], -v[57:58], v[17:18], v[65:66]
	ds_read_b128 v[17:20], v32 offset:2464
	s_waitcnt lgkmcnt(2)
	v_fma_f64 v[25:26], -v[71:72], v[13:14], v[21:22]
	v_fma_f64 v[39:40], -v[71:72], v[11:12], v[39:40]
	s_waitcnt lgkmcnt(1)
	v_fma_f64 v[9:10], -v[55:56], v[9:10], v[41:42]
	ds_read_b128 v[11:14], v32 offset:2240
	v_fma_f64 v[41:42], -v[59:60], v[23:24], v[47:48]
	v_fma_f64 v[65:66], -v[55:56], v[7:8], v[27:28]
	ds_read_b128 v[21:24], v32 offset:2304
	v_fma_f64 v[47:48], -v[49:50], v[5:6], v[25:26]
	ds_read_b128 v[5:8], v32 offset:2160
	ds_read_b128 v[25:28], v32 offset:2768
	v_fma_f64 v[39:40], -v[49:50], v[3:4], v[39:40]
	s_waitcnt lgkmcnt(4)
	v_fma_f64 v[69:70], -v[71:72], v[19:20], v[9:10]
	v_mul_f64 v[41:42], v[1:2], v[41:42]
	ds_read_b128 v[1:4], v32 offset:2144
	v_fma_f64 v[65:66], -v[71:72], v[17:18], v[65:66]
	s_waitcnt lgkmcnt(2)
	v_fma_f64 v[47:48], -v[59:60], v[7:8], v[47:48]
	ds_read_b128 v[7:10], v32 offset:2000
	ds_read_b128 v[17:20], v32 offset:2608
	s_waitcnt lgkmcnt(3)
	v_fma_f64 v[27:28], -v[57:58], v[27:28], v[63:64]
	v_fma_f64 v[63:64], -v[57:58], v[25:26], v[67:68]
	;; [unrolled: 1-line block ×4, first 2 shown]
	ds_read_b128 v[23:26], v32 offset:1840
	s_waitcnt lgkmcnt(2)
	v_fma_f64 v[9:10], -v[41:42], v[9:10], v[47:48]
	v_fma_f64 v[21:22], -v[49:50], v[21:22], v[65:66]
	s_waitcnt lgkmcnt(1)
	v_fma_f64 v[27:28], -v[55:56], v[19:20], v[27:28]
	v_fma_f64 v[39:40], -v[55:56], v[17:18], v[63:64]
	ds_read_b128 v[17:20], v32 offset:2448
	v_fma_f64 v[47:48], -v[59:60], v[3:4], v[67:68]
	v_fma_f64 v[63:64], -v[41:42], v[7:8], v[5:6]
	s_waitcnt lgkmcnt(1)
	v_mul_f64 v[65:66], v[25:26], v[9:10]
	ds_read_b128 v[3:6], v32 offset:1984
	ds_read_b128 v[7:10], v32 offset:1824
	v_fma_f64 v[1:2], -v[59:60], v[1:2], v[21:22]
	s_waitcnt lgkmcnt(2)
	v_fma_f64 v[67:68], -v[71:72], v[19:20], v[27:28]
	v_fma_f64 v[39:40], -v[71:72], v[17:18], v[39:40]
	ds_read_b128 v[17:20], v32 offset:2288
	s_waitcnt lgkmcnt(2)
	v_fma_f64 v[5:6], -v[41:42], v[5:6], v[47:48]
	v_fma_f64 v[47:48], -v[65:66], v[23:24], v[63:64]
	ds_read2_b64 v[21:24], v32 offset0:168 offset1:210
	ds_read_b128 v[25:28], v32 offset:3056
	s_waitcnt lgkmcnt(2)
	v_fma_f64 v[63:64], -v[49:50], v[19:20], v[67:68]
	v_fma_f64 v[39:40], -v[49:50], v[17:18], v[39:40]
	ds_read_b128 v[17:20], v32 offset:3040
	v_fma_f64 v[67:68], -v[41:42], v[3:4], v[1:2]
	ds_read_b128 v[1:4], v32 offset:2128
	s_waitcnt lgkmcnt(3)
	v_mul_f64 v[47:48], v[23:24], v[47:48]
	s_waitcnt lgkmcnt(2)
	v_fma_f64 v[69:70], -v[29:30], v[25:26], v[35:36]
	s_waitcnt lgkmcnt(1)
	v_fma_f64 v[45:46], -v[29:30], v[19:20], v[45:46]
	v_fma_f64 v[43:44], -v[29:30], v[17:18], v[43:44]
	ds_read_b128 v[17:20], v32 offset:2912
	ds_read_b128 v[23:26], v32 offset:1664
	v_fma_f64 v[5:6], -v[65:66], v[9:10], v[5:6]
	v_fma_f64 v[27:28], -v[29:30], v[27:28], v[37:38]
	s_waitcnt lgkmcnt(2)
	v_fma_f64 v[9:10], -v[59:60], v[3:4], v[63:64]
	v_fma_f64 v[35:36], -v[59:60], v[1:2], v[39:40]
	s_waitcnt lgkmcnt(1)
	v_fma_f64 v[37:38], -v[15:16], v[19:20], v[73:74]
	v_fma_f64 v[39:40], -v[15:16], v[17:18], v[61:62]
	ds_read_b128 v[1:4], v32 offset:1968
	ds_read_b128 v[17:20], v32 offset:2752
	v_fma_f64 v[61:62], -v[65:66], v[7:8], v[67:68]
	s_waitcnt lgkmcnt(2)
	v_fma_f64 v[25:26], -v[47:48], v[25:26], v[5:6]
	v_fma_f64 v[45:46], -v[15:16], v[53:54], v[45:46]
	s_waitcnt lgkmcnt(1)
	v_fma_f64 v[9:10], -v[41:42], v[3:4], v[9:10]
	;; [unrolled: 3-line block ×3, first 2 shown]
	v_fma_f64 v[39:40], -v[57:58], v[17:18], v[39:40]
	ds_read_b128 v[1:4], v32 offset:1808
	ds_read_b128 v[5:8], v32 offset:1504
	;; [unrolled: 1-line block ×3, first 2 shown]
	v_fma_f64 v[23:24], -v[47:48], v[23:24], v[61:62]
	v_fma_f64 v[43:44], -v[15:16], v[51:52], v[43:44]
	s_waitcnt lgkmcnt(1)
	v_mul_f64 v[61:62], v[7:8], v[25:26]
	v_fma_f64 v[25:26], -v[65:66], v[3:4], v[9:10]
	v_fma_f64 v[35:36], -v[65:66], v[1:2], v[35:36]
	ds_read_b128 v[1:4], v32 offset:1648
	s_waitcnt lgkmcnt(1)
	v_fma_f64 v[37:38], -v[55:56], v[19:20], v[37:38]
	v_fma_f64 v[39:40], -v[55:56], v[17:18], v[39:40]
	ds_read_b128 v[7:10], v32 offset:2432
	ds_read_b128 v[17:20], v32 offset:2112
	v_fma_f64 v[63:64], -v[61:62], v[5:6], v[23:24]
	s_waitcnt lgkmcnt(2)
	v_fma_f64 v[67:68], -v[47:48], v[3:4], v[25:26]
	v_fma_f64 v[73:74], -v[47:48], v[1:2], v[35:36]
	ds_read_b128 v[1:4], v32 offset:1488
	s_waitcnt lgkmcnt(2)
	v_fma_f64 v[9:10], -v[71:72], v[9:10], v[37:38]
	v_fma_f64 v[39:40], -v[71:72], v[7:8], v[39:40]
	ds_read_b128 v[5:8], v32 offset:1952
	ds_read_b128 v[23:26], v32 offset:2272
	;; [unrolled: 1-line block ×3, first 2 shown]
	v_mul_f64 v[63:64], v[21:22], v[63:64]
	s_waitcnt lgkmcnt(3)
	v_fma_f64 v[67:68], -v[61:62], v[3:4], v[67:68]
	v_fma_f64 v[73:74], -v[61:62], v[1:2], v[73:74]
	ds_read_b128 v[1:4], v32 offset:1328
	s_waitcnt lgkmcnt(2)
	v_fma_f64 v[9:10], -v[49:50], v[25:26], v[9:10]
	v_fma_f64 v[39:40], -v[49:50], v[23:24], v[39:40]
	s_waitcnt lgkmcnt(1)
	v_fma_f64 v[37:38], -v[15:16], v[37:38], v[27:28]
	ds_read_b128 v[21:24], v32 offset:1792
	ds_read_b128 v[25:28], v32 offset:2736
	v_fma_f64 v[35:36], -v[15:16], v[35:36], v[69:70]
	v_fma_f64 v[9:10], -v[59:60], v[19:20], v[9:10]
	;; [unrolled: 1-line block ×3, first 2 shown]
	ds_read_b128 v[17:20], v32 offset:1168
	s_waitcnt lgkmcnt(3)
	v_fma_f64 v[67:68], -v[63:64], v[3:4], v[67:68]
	s_waitcnt lgkmcnt(1)
	v_fma_f64 v[37:38], -v[57:58], v[27:28], v[37:38]
	v_fma_f64 v[35:36], -v[57:58], v[25:26], v[35:36]
	;; [unrolled: 1-line block ×3, first 2 shown]
	ds_read_b128 v[1:4], v32 offset:2576
	ds_read_b128 v[25:28], v32 offset:1472
	v_fma_f64 v[9:10], -v[41:42], v[7:8], v[9:10]
	s_waitcnt lgkmcnt(2)
	v_mul_f64 v[67:68], v[19:20], v[67:68]
	v_fma_f64 v[19:20], -v[41:42], v[5:6], v[39:40]
	s_waitcnt lgkmcnt(1)
	v_fma_f64 v[39:40], -v[55:56], v[3:4], v[37:38]
	v_fma_f64 v[53:54], -v[55:56], v[1:2], v[35:36]
	ds_read_b128 v[1:4], v32 offset:2416
	ds_read_b128 v[5:8], v32 offset:2720
	;; [unrolled: 1-line block ×3, first 2 shown]
	v_fma_f64 v[9:10], -v[65:66], v[23:24], v[9:10]
	v_fma_f64 v[51:52], -v[67:68], v[17:18], v[69:70]
	s_waitcnt lgkmcnt(1)
	v_fma_f64 v[43:44], -v[57:58], v[5:6], v[43:44]
	v_fma_f64 v[17:18], -v[71:72], v[3:4], v[39:40]
	;; [unrolled: 1-line block ×4, first 2 shown]
	ds_read_b128 v[1:4], v32 offset:2560
	ds_read_b128 v[5:8], v32 offset:1632
	v_fma_f64 v[53:54], -v[65:66], v[21:22], v[19:20]
	s_waitcnt lgkmcnt(2)
	v_fma_f64 v[69:70], -v[49:50], v[37:38], v[17:18]
	s_waitcnt lgkmcnt(1)
	v_fma_f64 v[3:4], -v[55:56], v[3:4], v[39:40]
	v_fma_f64 v[39:40], -v[49:50], v[35:36], v[45:46]
	ds_read_b128 v[17:20], v32 offset:2096
	ds_read_b128 v[21:24], v32 offset:2400
	;; [unrolled: 1-line block ×3, first 2 shown]
	s_waitcnt lgkmcnt(3)
	v_fma_f64 v[45:46], -v[47:48], v[7:8], v[9:10]
	v_fma_f64 v[43:44], -v[55:56], v[1:2], v[43:44]
	;; [unrolled: 1-line block ×3, first 2 shown]
	s_waitcnt lgkmcnt(2)
	v_fma_f64 v[19:20], -v[59:60], v[19:20], v[69:70]
	s_waitcnt lgkmcnt(1)
	v_fma_f64 v[23:24], -v[71:72], v[23:24], v[3:4]
	ds_read_b128 v[1:4], v32 offset:1936
	ds_read_b128 v[7:10], v32 offset:1152
	v_fma_f64 v[39:40], -v[59:60], v[17:18], v[39:40]
	v_fma_f64 v[27:28], -v[61:62], v[27:28], v[45:46]
	;; [unrolled: 1-line block ×3, first 2 shown]
	s_waitcnt lgkmcnt(1)
	v_fma_f64 v[45:46], -v[41:42], v[3:4], v[19:20]
	v_fma_f64 v[13:14], -v[49:50], v[13:14], v[23:24]
	ds_read_b128 v[3:6], v32 offset:2080
	ds_read_b128 v[17:20], v32 offset:1776
	v_fma_f64 v[1:2], -v[41:42], v[1:2], v[39:40]
	ds_read_b128 v[21:24], v32 offset:1616
	v_fma_f64 v[39:40], -v[49:50], v[11:12], v[43:44]
	v_fma_f64 v[37:38], -v[63:64], v[37:38], v[27:28]
	s_waitcnt lgkmcnt(1)
	v_fma_f64 v[43:44], -v[65:66], v[19:20], v[45:46]
	v_fma_f64 v[5:6], -v[59:60], v[5:6], v[13:14]
	;; [unrolled: 1-line block ×3, first 2 shown]
	ds_read_b128 v[25:28], v32 offset:1920
	v_fma_f64 v[53:54], -v[65:66], v[17:18], v[1:2]
	ds_read_b128 v[17:20], v32 offset:1760
	v_fma_f64 v[39:40], -v[59:60], v[3:4], v[39:40]
	ds_read_b128 v[1:4], v32 offset:1456
	s_waitcnt lgkmcnt(3)
	v_fma_f64 v[23:24], -v[47:48], v[23:24], v[43:44]
	s_waitcnt lgkmcnt(2)
	v_fma_f64 v[27:28], -v[41:42], v[27:28], v[5:6]
	ds_read2_b64 v[11:14], v32 offset0:84 offset1:126
	v_fma_f64 v[9:10], -v[67:68], v[9:10], v[37:38]
	v_fma_f64 v[43:44], -v[63:64], v[35:36], v[45:46]
	;; [unrolled: 1-line block ×4, first 2 shown]
	s_waitcnt lgkmcnt(0)
	v_mul_f64 v[13:14], v[13:14], v[51:52]
	v_fma_f64 v[23:24], -v[61:62], v[3:4], v[23:24]
	v_fma_f64 v[27:28], -v[65:66], v[19:20], v[27:28]
	ds_read_b128 v[35:38], v32 offset:992
	ds_read_b128 v[3:6], v32 offset:1296
	;; [unrolled: 1-line block ×3, first 2 shown]
	v_fma_f64 v[43:44], -v[67:68], v[7:8], v[43:44]
	v_fma_f64 v[1:2], -v[61:62], v[1:2], v[45:46]
	;; [unrolled: 1-line block ×3, first 2 shown]
	s_waitcnt lgkmcnt(1)
	v_fma_f64 v[5:6], -v[63:64], v[5:6], v[23:24]
	ds_read_b128 v[23:26], v32 offset:1136
	v_fma_f64 v[51:52], -v[13:14], v[37:38], v[9:10]
	s_waitcnt lgkmcnt(1)
	v_fma_f64 v[21:22], -v[47:48], v[21:22], v[27:28]
	ds_read_b128 v[7:10], v32 offset:832
	ds_read_b128 v[37:40], v32 offset:1440
	v_fma_f64 v[35:36], -v[13:14], v[35:36], v[43:44]
	v_fma_f64 v[17:18], -v[47:48], v[19:20], v[17:18]
	s_waitcnt lgkmcnt(2)
	v_fma_f64 v[5:6], -v[67:68], v[25:26], v[5:6]
	ds_read_b128 v[25:28], v32 offset:976
	s_waitcnt lgkmcnt(2)
	v_mul_f64 v[43:44], v[9:10], v[51:52]
	v_fma_f64 v[9:10], -v[63:64], v[3:4], v[1:2]
	ds_read_b128 v[1:4], v32 offset:1280
	s_waitcnt lgkmcnt(2)
	v_fma_f64 v[21:22], -v[61:62], v[39:40], v[21:22]
	s_waitcnt lgkmcnt(1)
	v_fma_f64 v[27:28], -v[13:14], v[27:28], v[5:6]
	v_fma_f64 v[35:36], -v[43:44], v[7:8], v[35:36]
	;; [unrolled: 1-line block ×3, first 2 shown]
	ds_read_b128 v[5:8], v32 offset:816
	s_waitcnt lgkmcnt(1)
	v_fma_f64 v[3:4], -v[63:64], v[3:4], v[21:22]
	v_fma_f64 v[21:22], -v[61:62], v[37:38], v[17:18]
	ds_read_b128 v[17:20], v32 offset:1120
	v_mul_f64 v[23:24], v[11:12], v[35:36]
	s_waitcnt lgkmcnt(1)
	v_fma_f64 v[11:12], -v[43:44], v[7:8], v[27:28]
	v_fma_f64 v[25:26], -v[13:14], v[25:26], v[9:10]
	s_waitcnt lgkmcnt(0)
	v_fma_f64 v[19:20], -v[67:68], v[19:20], v[3:4]
	v_fma_f64 v[21:22], -v[63:64], v[1:2], v[21:22]
	ds_read_b128 v[1:4], v32 offset:656
	ds_read_b128 v[7:10], v32 offset:960
	s_waitcnt lgkmcnt(1)
	v_fma_f64 v[27:28], -v[23:24], v[3:4], v[11:12]
	v_fma_f64 v[25:26], -v[43:44], v[5:6], v[25:26]
	s_waitcnt lgkmcnt(0)
	v_fma_f64 v[19:20], -v[13:14], v[9:10], v[19:20]
	v_fma_f64 v[17:18], -v[67:68], v[17:18], v[21:22]
	ds_read_b128 v[3:6], v32 offset:496
	ds_read_b128 v[9:12], v32 offset:800
	s_waitcnt lgkmcnt(1)
	v_mul_f64 v[21:22], v[5:6], v[27:28]
	v_fma_f64 v[1:2], -v[23:24], v[1:2], v[25:26]
	s_waitcnt lgkmcnt(0)
	v_fma_f64 v[11:12], -v[43:44], v[11:12], v[19:20]
	v_fma_f64 v[17:18], -v[13:14], v[7:8], v[17:18]
	ds_read_b128 v[5:8], v32 offset:640
	v_fma_f64 v[19:20], -v[21:22], v[3:4], v[1:2]
	s_waitcnt lgkmcnt(0)
	v_fma_f64 v[11:12], -v[23:24], v[7:8], v[11:12]
	v_fma_f64 v[17:18], -v[43:44], v[9:10], v[17:18]
	ds_read2_b64 v[1:4], v32 offset1:42
	ds_read_b128 v[7:10], v32 offset:480
	s_waitcnt lgkmcnt(1)
	v_mul_f64 v[19:20], v[3:4], v[19:20]
	s_waitcnt lgkmcnt(0)
	v_fma_f64 v[9:10], -v[21:22], v[9:10], v[11:12]
	v_fma_f64 v[11:12], -v[23:24], v[5:6], v[17:18]
	ds_read_b128 v[3:6], v32 offset:320
	s_waitcnt lgkmcnt(0)
	v_fma_f64 v[9:10], -v[19:20], v[5:6], v[9:10]
	v_fma_f64 v[11:12], -v[21:22], v[7:8], v[11:12]
	ds_read_b128 v[5:8], v32 offset:160
	ds_write2_b64 v31, v[15:16], v[29:30] offset0:104 offset1:124
	ds_write2_b64 v31, v[55:56], v[57:58] offset0:64 offset1:84
	s_waitcnt lgkmcnt(2)
	v_mul_f64 v[7:8], v[7:8], v[9:10]
	v_fma_f64 v[3:4], -v[19:20], v[3:4], v[11:12]
	v_fma_f64 v[3:4], -v[7:8], v[5:6], v[3:4]
	v_mul_f64 v[1:2], v[1:2], v[3:4]
	ds_write2_b64 v31, v[49:50], v[71:72] offset0:24 offset1:44
	ds_write2_b64 v34, v[41:42], v[59:60] offset0:112 offset1:132
	;; [unrolled: 1-line block ×7, first 2 shown]
	ds_write2_b64 v33, v[1:2], v[7:8] offset1:20
.LBB87_27:
	s_cmp_gt_i32 s5, -1
	s_cbranch_scc0 .LBB87_46
; %bb.28:
	s_cmp_lt_u32 s5, 15
	s_cbranch_scc1 .LBB87_33
; %bb.29:
	s_mul_i32 s8, s5, 0xa0
	v_add_u32_e32 v34, s8, v33
	v_add_u32_e32 v1, 0xffffff60, v34
	v_add_u32_e32 v2, 0xfffffec0, v34
	v_add_u32_e32 v3, 0xfffffe20, v34
	ds_read_b64 v[5:6], v34
	ds_read_b64 v[31:32], v1
	ds_read_b64 v[9:10], v2
	ds_read_b64 v[11:12], v3
	v_add_u32_e32 v1, 0xfffffd80, v34
	v_add_u32_e32 v2, 0xfffffce0, v34
	v_add_u32_e32 v3, 0xfffffc40, v34
	v_add_u32_e32 v4, 0xfffffba0, v34
	ds_read_b64 v[29:30], v1
	ds_read_b64 v[13:14], v2
	ds_read_b64 v[17:18], v3
	ds_read_b64 v[21:22], v4
	v_add_u32_e32 v1, 0xfffffb00, v34
	v_add_u32_e32 v2, 0xfffffa60, v34
	v_add_u32_e32 v3, 0xfffff9c0, v34
	v_add_u32_e32 v4, 0xfffff920, v34
	ds_read_b64 v[23:24], v1
	ds_read_b64 v[27:28], v2
	ds_read_b64 v[25:26], v3
	ds_read_b64 v[19:20], v4
	v_add_u32_e32 v1, 0xfffff880, v34
	v_add_u32_e32 v2, 0xfffff7e0, v34
	v_add_u32_e32 v3, 0xfffff740, v34
	v_add_u32_e32 v35, 0xfffff6a0, v34
	ds_read_b64 v[15:16], v1
	ds_read_b64 v[7:8], v2
	ds_read_b64 v[3:4], v3
	ds_read_b64 v[1:2], v35
	s_cmp_le_i32 s4, s5
	s_cbranch_scc1 .LBB87_32
; %bb.30:
	s_mul_i32 s10, s22, 0xa0
	s_lshl_b32 s11, s5, 3
	v_lshl_add_u32 v35, v0, 3, s10
	s_add_i32 s10, s10, s11
	v_add_u32_e32 v35, 0xbe0, v35
	s_addk_i32 s10, 0xfee8
	s_mov_b32 s11, s4
.LBB87_31:                              ; =>This Inner Loop Header: Depth=1
	v_mov_b32_e32 v64, s10
	ds_read_b64 v[68:69], v35
	ds_read2_b64 v[36:39], v64 offset0:14 offset1:15
	ds_read2_b64 v[40:43], v64 offset0:12 offset1:13
	;; [unrolled: 1-line block ×7, first 2 shown]
	ds_read2_b64 v[64:67], v64 offset1:1
	s_add_i32 s11, s11, -1
	s_addk_i32 s10, 0xff60
	s_cmp_gt_i32 s11, s5
	s_waitcnt lgkmcnt(7)
	v_fma_f64 v[5:6], -v[68:69], v[38:39], v[5:6]
	v_fma_f64 v[31:32], -v[68:69], v[36:37], v[31:32]
	s_waitcnt lgkmcnt(6)
	v_fma_f64 v[9:10], -v[68:69], v[42:43], v[9:10]
	v_fma_f64 v[11:12], -v[68:69], v[40:41], v[11:12]
	;; [unrolled: 3-line block ×8, first 2 shown]
	v_add_u32_e32 v35, 0xffffff60, v35
	s_cbranch_scc1 .LBB87_31
.LBB87_32:
	s_lshl_b32 s14, s5, 3
	s_add_i32 s10, s14, -8
	s_add_i32 s11, s10, s8
	v_mov_b32_e32 v35, s11
	ds_read2_b64 v[35:38], v35 offset1:1
	s_addk_i32 s11, 0xff60
	v_mov_b32_e32 v39, s11
	ds_read_b64 v[43:44], v39
	s_sub_i32 s15, s14, 24
	s_waitcnt lgkmcnt(1)
	v_mul_f64 v[5:6], v[37:38], v[5:6]
	s_add_i32 s18, s15, s8
	s_add_i32 s10, s8, 0xffffff60
	s_add_i32 s19, s15, s10
	v_mov_b32_e32 v39, s19
	s_add_i32 s11, s8, 0xfffffec0
	s_sub_i32 s16, s14, 40
	s_add_i32 s15, s15, s11
	v_fma_f64 v[31:32], -v[5:6], v[35:36], v[31:32]
	v_mov_b32_e32 v35, s18
	ds_read2_b64 v[35:38], v35 offset1:1
	ds_read2_b64 v[39:42], v39 offset1:1
	s_add_i32 s19, s16, s8
	s_add_i32 s20, s16, s10
	v_mov_b32_e32 v45, s20
	s_waitcnt lgkmcnt(1)
	v_fma_f64 v[37:38], -v[5:6], v[37:38], v[9:10]
	v_mul_f64 v[9:10], v[43:44], v[31:32]
	v_fma_f64 v[11:12], -v[5:6], v[35:36], v[11:12]
	v_mov_b32_e32 v43, s15
	v_mov_b32_e32 v44, s19
	s_add_i32 s15, s18, 0xfffffe20
	v_mov_b32_e32 v49, s15
	s_add_i32 s15, s16, s11
	s_add_i32 s12, s8, 0xfffffe20
	s_waitcnt lgkmcnt(0)
	v_fma_f64 v[31:32], -v[9:10], v[41:42], v[37:38]
	ds_read2_b64 v[35:38], v44 offset1:1
	ds_read2_b64 v[41:44], v43 offset1:1
	;; [unrolled: 1-line block ×3, first 2 shown]
	ds_read_b64 v[49:50], v49
	s_sub_i32 s17, s14, 56
	s_add_i32 s18, s16, s12
	s_waitcnt lgkmcnt(3)
	v_fma_f64 v[29:30], -v[5:6], v[37:38], v[29:30]
	v_fma_f64 v[37:38], -v[9:10], v[39:40], v[11:12]
	v_fma_f64 v[13:14], -v[5:6], v[35:36], v[13:14]
	s_waitcnt lgkmcnt(2)
	v_mul_f64 v[11:12], v[43:44], v[31:32]
	s_add_i32 s20, s17, s8
	v_mov_b32_e32 v35, s18
	v_mov_b32_e32 v43, s20
	s_add_i32 s21, s17, s10
	s_waitcnt lgkmcnt(1)
	v_fma_f64 v[39:40], -v[9:10], v[47:48], v[29:30]
	v_mov_b32_e32 v29, s15
	ds_read2_b64 v[29:32], v29 offset1:1
	v_fma_f64 v[41:42], -v[11:12], v[41:42], v[37:38]
	ds_read2_b64 v[35:38], v35 offset1:1
	v_fma_f64 v[47:48], -v[9:10], v[45:46], v[13:14]
	s_add_i32 s13, s8, 0xfffffd80
	s_add_i32 s16, s16, s13
	s_waitcnt lgkmcnt(1)
	v_fma_f64 v[31:32], -v[11:12], v[31:32], v[39:40]
	s_add_i32 s15, s17, s11
	v_mov_b32_e32 v51, s15
	v_mul_f64 v[13:14], v[49:50], v[41:42]
	ds_read2_b64 v[39:42], v43 offset1:1
	v_mov_b32_e32 v43, s21
	ds_read2_b64 v[43:46], v43 offset1:1
	v_mov_b32_e32 v49, s16
	s_add_i32 s16, s19, 0xfffffce0
	s_waitcnt lgkmcnt(1)
	v_fma_f64 v[17:18], -v[5:6], v[41:42], v[17:18]
	v_fma_f64 v[41:42], -v[11:12], v[29:30], v[47:48]
	;; [unrolled: 1-line block ×3, first 2 shown]
	ds_read2_b64 v[29:32], v49 offset1:1
	s_add_i32 s15, s17, s12
	v_mov_b32_e32 v47, s16
	ds_read_b64 v[47:48], v47
	v_fma_f64 v[21:22], -v[5:6], v[39:40], v[21:22]
	s_waitcnt lgkmcnt(2)
	v_fma_f64 v[45:46], -v[9:10], v[45:46], v[17:18]
	v_fma_f64 v[49:50], -v[13:14], v[35:36], v[41:42]
	s_waitcnt lgkmcnt(1)
	v_mul_f64 v[17:18], v[31:32], v[37:38]
	ds_read2_b64 v[35:38], v51 offset1:1
	v_mov_b32_e32 v31, s15
	ds_read2_b64 v[39:42], v31 offset1:1
	s_add_i32 s16, s17, s13
	v_fma_f64 v[21:22], -v[9:10], v[43:44], v[21:22]
	s_waitcnt lgkmcnt(1)
	v_fma_f64 v[31:32], -v[11:12], v[37:38], v[45:46]
	s_add_i32 s15, s8, 0xfffffce0
	v_fma_f64 v[43:44], -v[17:18], v[29:30], v[49:50]
	v_mov_b32_e32 v29, s16
	s_add_i32 s16, s17, s15
	v_mov_b32_e32 v37, s16
	s_add_i32 s21, s14, 0xffffffb8
	v_fma_f64 v[45:46], -v[11:12], v[35:36], v[21:22]
	s_waitcnt lgkmcnt(0)
	v_fma_f64 v[41:42], -v[13:14], v[41:42], v[31:32]
	ds_read2_b64 v[29:32], v29 offset1:1
	ds_read2_b64 v[35:38], v37 offset1:1
	v_mul_f64 v[21:22], v[47:48], v[43:44]
	s_add_i32 s19, s21, s8
	s_add_i32 s16, s8, 0xfffffc40
	;; [unrolled: 1-line block ×3, first 2 shown]
	v_mov_b32_e32 v49, s17
	s_waitcnt lgkmcnt(1)
	v_fma_f64 v[31:32], -v[17:18], v[31:32], v[41:42]
	v_fma_f64 v[41:42], -v[13:14], v[39:40], v[45:46]
	s_add_i32 s17, s21, s10
	s_add_i32 s18, s21, s16
	s_add_i32 s25, s14, 0xffffffa8
	s_add_i32 s24, s25, s8
	ds_write_b64 v34, v[5:6]
	v_add_u32_e32 v34, s10, v33
	s_waitcnt lgkmcnt(1)
	v_fma_f64 v[43:44], -v[21:22], v[37:38], v[31:32]
	v_mov_b32_e32 v31, s19
	ds_read2_b64 v[37:40], v31 offset1:1
	v_fma_f64 v[45:46], -v[17:18], v[29:30], v[41:42]
	v_mov_b32_e32 v29, s17
	ds_read2_b64 v[29:32], v29 offset1:1
	s_add_i32 s17, s20, 0xfffffba0
	s_waitcnt lgkmcnt(1)
	v_fma_f64 v[47:48], -v[5:6], v[39:40], v[23:24]
	ds_read2_b64 v[39:42], v49 offset1:1
	v_mov_b32_e32 v23, s17
	ds_read_b64 v[49:50], v23
	s_add_i32 s17, s21, s11
	v_fma_f64 v[45:46], -v[21:22], v[35:36], v[45:46]
	v_mov_b32_e32 v35, s17
	s_waitcnt lgkmcnt(1)
	v_mul_f64 v[23:24], v[41:42], v[43:44]
	v_fma_f64 v[31:32], -v[9:10], v[31:32], v[47:48]
	ds_read2_b64 v[41:44], v35 offset1:1
	v_fma_f64 v[27:28], -v[5:6], v[37:38], v[27:28]
	s_add_i32 s17, s21, s12
	v_mov_b32_e32 v35, s17
	ds_read2_b64 v[35:38], v35 offset1:1
	s_add_i32 s17, s21, s13
	s_addk_i32 s19, 0xfa60
	s_waitcnt lgkmcnt(1)
	v_fma_f64 v[31:32], -v[11:12], v[43:44], v[31:32]
	v_fma_f64 v[43:44], -v[23:24], v[39:40], v[45:46]
	;; [unrolled: 1-line block ×3, first 2 shown]
	v_mov_b32_e32 v29, s17
	s_add_i32 s17, s21, s15
	ds_write_b64 v34, v[9:10]
	s_add_i32 s5, s5, -16
	s_waitcnt lgkmcnt(1)
	v_fma_f64 v[45:46], -v[13:14], v[37:38], v[31:32]
	ds_read2_b64 v[29:32], v29 offset1:1
	v_mov_b32_e32 v37, s17
	v_fma_f64 v[27:28], -v[11:12], v[41:42], v[27:28]
	ds_read2_b64 v[37:40], v37 offset1:1
	s_add_i32 s17, s8, 0xfffffba0
	s_waitcnt lgkmcnt(1)
	v_fma_f64 v[31:32], -v[17:18], v[31:32], v[45:46]
	v_fma_f64 v[35:36], -v[13:14], v[35:36], v[27:28]
	v_mul_f64 v[27:28], v[49:50], v[43:44]
	s_waitcnt lgkmcnt(0)
	v_fma_f64 v[43:44], -v[21:22], v[39:40], v[31:32]
	v_mov_b32_e32 v31, s18
	ds_read2_b64 v[39:42], v31 offset1:1
	v_fma_f64 v[35:36], -v[17:18], v[29:30], v[35:36]
	s_add_i32 s18, s21, s17
	v_mov_b32_e32 v29, s18
	s_add_i32 s18, s25, s10
	ds_read2_b64 v[29:32], v29 offset1:1
	s_waitcnt lgkmcnt(1)
	v_fma_f64 v[45:46], -v[23:24], v[41:42], v[43:44]
	v_mov_b32_e32 v41, s24
	ds_read2_b64 v[41:44], v41 offset1:1
	v_fma_f64 v[47:48], -v[21:22], v[37:38], v[35:36]
	v_mov_b32_e32 v35, s18
	ds_read2_b64 v[35:38], v35 offset1:1
	s_add_i32 s18, s8, 0xfffffb00
	s_waitcnt lgkmcnt(1)
	v_fma_f64 v[19:20], -v[5:6], v[41:42], v[19:20]
	v_fma_f64 v[25:26], -v[5:6], v[43:44], v[25:26]
	s_add_i32 s20, s21, s18
	v_mov_b32_e32 v43, s20
	s_add_i32 s20, s25, s11
	v_fma_f64 v[31:32], -v[27:28], v[31:32], v[45:46]
	ds_read2_b64 v[43:46], v43 offset1:1
	v_fma_f64 v[51:52], -v[23:24], v[39:40], v[47:48]
	s_waitcnt lgkmcnt(1)
	v_fma_f64 v[19:20], -v[9:10], v[35:36], v[19:20]
	v_fma_f64 v[25:26], -v[9:10], v[37:38], v[25:26]
	v_mov_b32_e32 v37, s20
	ds_read2_b64 v[37:40], v37 offset1:1
	s_add_i32 s20, s25, s12
	v_mov_b32_e32 v47, s20
	ds_read2_b64 v[47:50], v47 offset1:1
	s_waitcnt lgkmcnt(2)
	v_mul_f64 v[55:56], v[45:46], v[31:32]
	s_waitcnt lgkmcnt(1)
	v_fma_f64 v[19:20], -v[11:12], v[37:38], v[19:20]
	v_fma_f64 v[25:26], -v[11:12], v[39:40], v[25:26]
	v_mov_b32_e32 v39, s19
	ds_read_b64 v[53:54], v39
	v_fma_f64 v[45:46], -v[27:28], v[29:30], v[51:52]
	s_add_i32 s19, s25, s13
	v_mov_b32_e32 v29, s19
	ds_read2_b64 v[29:32], v29 offset1:1
	s_waitcnt lgkmcnt(2)
	v_fma_f64 v[19:20], -v[13:14], v[47:48], v[19:20]
	v_fma_f64 v[25:26], -v[13:14], v[49:50], v[25:26]
	s_add_i32 s19, s25, s15
	v_mov_b32_e32 v35, s19
	ds_read2_b64 v[39:42], v35 offset1:1
	s_add_i32 s21, s14, 0xffffff98
	s_add_i32 s19, s25, s16
	;; [unrolled: 1-line block ×3, first 2 shown]
	s_waitcnt lgkmcnt(1)
	v_fma_f64 v[19:20], -v[17:18], v[29:30], v[19:20]
	v_fma_f64 v[25:26], -v[17:18], v[31:32], v[25:26]
	;; [unrolled: 1-line block ×3, first 2 shown]
	v_mov_b32_e32 v35, s19
	v_mov_b32_e32 v29, s20
	ds_read2_b64 v[35:38], v35 offset1:1
	s_add_i32 s19, s25, s17
	s_addk_i32 s24, 0xf920
	s_waitcnt lgkmcnt(1)
	v_fma_f64 v[19:20], -v[21:22], v[39:40], v[19:20]
	v_fma_f64 v[25:26], -v[21:22], v[41:42], v[25:26]
	v_mul_f64 v[51:52], v[53:54], v[31:32]
	ds_read2_b64 v[29:32], v29 offset1:1
	v_mov_b32_e32 v41, s19
	s_add_i32 s19, s25, s18
	v_mov_b32_e32 v39, s19
	s_add_i32 s19, s21, s10
	s_waitcnt lgkmcnt(0)
	v_fma_f64 v[15:16], -v[5:6], v[31:32], v[15:16]
	v_fma_f64 v[19:20], -v[23:24], v[35:36], v[19:20]
	v_mov_b32_e32 v35, s19
	v_fma_f64 v[25:26], -v[23:24], v[37:38], v[25:26]
	ds_read2_b64 v[35:38], v35 offset1:1
	s_add_i32 s19, s8, 0xfffffa60
	ds_read2_b64 v[41:44], v41 offset1:1
	s_add_i32 s23, s25, s19
	v_mov_b32_e32 v31, s23
	ds_read2_b64 v[47:50], v31 offset1:1
	s_waitcnt lgkmcnt(2)
	v_fma_f64 v[15:16], -v[9:10], v[37:38], v[15:16]
	s_add_i32 s23, s21, s11
	v_mov_b32_e32 v31, s23
	s_waitcnt lgkmcnt(1)
	v_fma_f64 v[25:26], -v[27:28], v[43:44], v[25:26]
	ds_read2_b64 v[43:46], v39 offset1:1
	ds_read2_b64 v[37:40], v31 offset1:1
	v_fma_f64 v[7:8], -v[5:6], v[29:30], v[7:8]
	s_add_i32 s23, s21, s12
	v_mov_b32_e32 v29, s23
	ds_read2_b64 v[29:32], v29 offset1:1
	s_waitcnt lgkmcnt(1)
	v_fma_f64 v[15:16], -v[11:12], v[39:40], v[15:16]
	s_add_i32 s23, s8, 0xfffff9c0
	s_add_i32 s25, s25, s23
	v_fma_f64 v[25:26], -v[55:56], v[45:46], v[25:26]
	v_fma_f64 v[7:8], -v[9:10], v[35:36], v[7:8]
	v_mov_b32_e32 v45, s25
	s_add_i32 s25, s21, s13
	v_fma_f64 v[19:20], -v[27:28], v[41:42], v[19:20]
	s_waitcnt lgkmcnt(0)
	v_fma_f64 v[15:16], -v[13:14], v[31:32], v[15:16]
	v_mov_b32_e32 v31, s25
	ds_read2_b64 v[39:42], v31 offset1:1
	s_add_i32 s25, s21, s15
	v_fma_f64 v[7:8], -v[11:12], v[37:38], v[7:8]
	v_mov_b32_e32 v31, s25
	ds_read2_b64 v[35:38], v31 offset1:1
	v_fma_f64 v[19:20], -v[55:56], v[43:44], v[19:20]
	s_waitcnt lgkmcnt(1)
	v_fma_f64 v[15:16], -v[17:18], v[41:42], v[15:16]
	ds_read2_b64 v[41:44], v45 offset1:1
	v_mov_b32_e32 v31, s24
	s_add_i32 s24, s21, s16
	v_fma_f64 v[7:8], -v[13:14], v[29:30], v[7:8]
	v_mov_b32_e32 v29, s24
	v_fma_f64 v[25:26], -v[51:52], v[49:50], v[25:26]
	ds_read_b64 v[45:46], v31
	s_waitcnt lgkmcnt(2)
	v_fma_f64 v[15:16], -v[21:22], v[37:38], v[15:16]
	ds_read2_b64 v[29:32], v29 offset1:1
	s_add_i32 s24, s21, s17
	v_mov_b32_e32 v37, s24
	v_fma_f64 v[7:8], -v[17:18], v[39:40], v[7:8]
	ds_read2_b64 v[37:40], v37 offset1:1
	s_waitcnt lgkmcnt(3)
	v_mul_f64 v[25:26], v[43:44], v[25:26]
	v_fma_f64 v[19:20], -v[51:52], v[47:48], v[19:20]
	s_waitcnt lgkmcnt(1)
	v_fma_f64 v[15:16], -v[23:24], v[31:32], v[15:16]
	s_add_i32 s24, s21, s18
	v_mov_b32_e32 v31, s24
	s_add_i32 s24, s21, s19
	v_fma_f64 v[7:8], -v[21:22], v[35:36], v[7:8]
	s_add_i32 s25, s14, 0xffffff88
	s_add_i32 s14, s25, s10
	v_fma_f64 v[19:20], -v[25:26], v[41:42], v[19:20]
	s_waitcnt lgkmcnt(0)
	v_fma_f64 v[15:16], -v[27:28], v[39:40], v[15:16]
	ds_read2_b64 v[39:42], v31 offset1:1
	s_add_i32 s26, s21, s23
	s_addk_i32 s20, 0xf7e0
	v_fma_f64 v[7:8], -v[23:24], v[29:30], v[7:8]
	v_mov_b32_e32 v29, s24
	s_add_i32 s24, s25, s8
	v_mov_b32_e32 v35, s24
	ds_read2_b64 v[29:32], v29 offset1:1
	s_waitcnt lgkmcnt(1)
	v_fma_f64 v[15:16], -v[55:56], v[41:42], v[15:16]
	ds_read2_b64 v[41:44], v35 offset1:1
	v_mov_b32_e32 v35, s14
	v_fma_f64 v[7:8], -v[27:28], v[37:38], v[7:8]
	ds_read2_b64 v[35:38], v35 offset1:1
	v_mul_f64 v[19:20], v[45:46], v[19:20]
	s_waitcnt lgkmcnt(1)
	v_fma_f64 v[3:4], -v[5:6], v[43:44], v[3:4]
	v_fma_f64 v[43:44], -v[5:6], v[41:42], v[1:2]
	;; [unrolled: 1-line block ×3, first 2 shown]
	v_mov_b32_e32 v45, s26
	s_add_i32 s26, s25, s11
	v_fma_f64 v[7:8], -v[55:56], v[39:40], v[7:8]
	s_add_i32 s14, s8, 0xfffff920
	s_waitcnt lgkmcnt(0)
	v_fma_f64 v[31:32], -v[9:10], v[37:38], v[3:4]
	v_mov_b32_e32 v3, s26
	ds_read2_b64 v[37:40], v3 offset1:1
	v_fma_f64 v[35:36], -v[9:10], v[35:36], v[43:44]
	s_add_i32 s26, s25, s12
	v_mov_b32_e32 v1, s26
	ds_read2_b64 v[1:4], v1 offset1:1
	s_add_i32 s26, s21, s14
	s_waitcnt lgkmcnt(1)
	v_fma_f64 v[31:32], -v[11:12], v[39:40], v[31:32]
	ds_read2_b64 v[39:42], v45 offset1:1
	v_mov_b32_e32 v45, s26
	s_add_i32 s26, s25, s13
	v_fma_f64 v[7:8], -v[51:52], v[29:30], v[7:8]
	v_mov_b32_e32 v29, s26
	s_add_i32 s26, s25, s15
	s_waitcnt lgkmcnt(0)
	v_fma_f64 v[15:16], -v[25:26], v[41:42], v[15:16]
	v_fma_f64 v[41:42], -v[11:12], v[37:38], v[35:36]
	v_mov_b32_e32 v35, s26
	ds_read2_b64 v[35:38], v35 offset1:1
	v_fma_f64 v[3:4], -v[13:14], v[3:4], v[31:32]
	ds_read2_b64 v[43:46], v45 offset1:1
	ds_read2_b64 v[29:32], v29 offset1:1
	s_add_i32 s26, s8, 0xfffff880
	s_add_i32 s21, s21, s26
	v_fma_f64 v[7:8], -v[25:26], v[39:40], v[7:8]
	s_waitcnt lgkmcnt(1)
	v_fma_f64 v[15:16], -v[19:20], v[45:46], v[15:16]
	v_mov_b32_e32 v45, s21
	s_waitcnt lgkmcnt(0)
	v_fma_f64 v[3:4], -v[17:18], v[31:32], v[3:4]
	v_fma_f64 v[31:32], -v[13:14], v[1:2], v[41:42]
	s_add_i32 s21, s25, s16
	v_mov_b32_e32 v1, s21
	s_add_i32 s21, s25, s17
	v_fma_f64 v[7:8], -v[19:20], v[43:44], v[7:8]
	s_add_i32 s10, s25, s26
	v_fma_f64 v[37:38], -v[21:22], v[37:38], v[3:4]
	v_fma_f64 v[41:42], -v[17:18], v[29:30], v[31:32]
	ds_read2_b64 v[1:4], v1 offset1:1
	v_mov_b32_e32 v29, s21
	ds_read2_b64 v[29:32], v29 offset1:1
	s_waitcnt lgkmcnt(1)
	v_fma_f64 v[3:4], -v[23:24], v[3:4], v[37:38]
	v_fma_f64 v[35:36], -v[21:22], v[35:36], v[41:42]
	ds_read2_b64 v[37:40], v45 offset1:1
	v_mov_b32_e32 v45, s20
	s_add_i32 s20, s25, s18
	ds_read_b64 v[45:46], v45
	s_waitcnt lgkmcnt(1)
	v_mul_f64 v[15:16], v[39:40], v[15:16]
	v_fma_f64 v[31:32], -v[27:28], v[31:32], v[3:4]
	v_fma_f64 v[35:36], -v[23:24], v[1:2], v[35:36]
	v_mov_b32_e32 v3, s20
	ds_read2_b64 v[39:42], v3 offset1:1
	s_add_i32 s20, s25, s19
	v_mov_b32_e32 v1, s20
	ds_read2_b64 v[1:4], v1 offset1:1
	s_add_i32 s20, s25, s23
	s_waitcnt lgkmcnt(1)
	v_fma_f64 v[31:32], -v[55:56], v[41:42], v[31:32]
	v_fma_f64 v[35:36], -v[27:28], v[29:30], v[35:36]
	v_mov_b32_e32 v29, s20
	s_add_i32 s20, s25, s14
	v_fma_f64 v[7:8], -v[15:16], v[37:38], v[7:8]
	v_fma_f64 v[39:40], -v[55:56], v[39:40], v[35:36]
	v_mov_b32_e32 v35, s20
	ds_read2_b64 v[35:38], v35 offset1:1
	s_waitcnt lgkmcnt(1)
	v_fma_f64 v[3:4], -v[51:52], v[3:4], v[31:32]
	ds_read2_b64 v[29:32], v29 offset1:1
	s_waitcnt lgkmcnt(0)
	v_fma_f64 v[3:4], -v[25:26], v[31:32], v[3:4]
	v_fma_f64 v[31:32], -v[51:52], v[1:2], v[39:40]
	v_mov_b32_e32 v1, s10
	s_add_i32 s10, s8, 0xfffff7e0
	s_add_i32 s20, s25, s10
	v_mov_b32_e32 v5, s20
	v_mul_f64 v[39:40], v[45:46], v[7:8]
	ds_read2_b64 v[5:8], v5 offset1:1
	v_fma_f64 v[37:38], -v[19:20], v[37:38], v[3:4]
	v_fma_f64 v[29:30], -v[25:26], v[29:30], v[31:32]
	ds_read2_b64 v[1:4], v1 offset1:1
	s_addk_i32 s8, 0xf740
	v_add_u32_e32 v31, s11, v33
	s_add_i32 s11, s25, s8
	ds_write_b64 v31, v[11:12]
	v_add_u32_e32 v11, s12, v33
	s_waitcnt lgkmcnt(1)
	v_fma_f64 v[3:4], -v[15:16], v[3:4], v[37:38]
	v_fma_f64 v[9:10], -v[19:20], v[35:36], v[29:30]
	ds_write_b64 v11, v[13:14]
	v_add_u32_e32 v11, s13, v33
	ds_write_b64 v11, v[17:18]
	v_fma_f64 v[7:8], -v[39:40], v[7:8], v[3:4]
	v_fma_f64 v[9:10], -v[15:16], v[1:2], v[9:10]
	v_mov_b32_e32 v1, s11
	ds_read2_b64 v[1:4], v1 offset1:1
	s_add_i32 s11, s24, 0xfffff6a0
	v_mov_b32_e32 v11, s11
	ds_read_b64 v[11:12], v11
	s_waitcnt lgkmcnt(1)
	v_mul_f64 v[3:4], v[3:4], v[7:8]
	v_fma_f64 v[5:6], -v[39:40], v[5:6], v[9:10]
	v_add_u32_e32 v7, s15, v33
	ds_write_b64 v7, v[21:22]
	v_add_u32_e32 v7, s16, v33
	ds_write_b64 v7, v[23:24]
	v_add_u32_e32 v7, s17, v33
	ds_write_b64 v7, v[27:28]
	v_add_u32_e32 v7, s18, v33
	v_fma_f64 v[1:2], -v[3:4], v[1:2], v[5:6]
	v_add_u32_e32 v5, s19, v33
	ds_write_b64 v5, v[51:52]
	v_add_u32_e32 v5, s23, v33
	ds_write_b64 v5, v[25:26]
	;; [unrolled: 2-line block ×3, first 2 shown]
	v_add_u32_e32 v5, s26, v33
	s_waitcnt lgkmcnt(6)
	v_mul_f64 v[1:2], v[11:12], v[1:2]
	ds_write_b64 v7, v[55:56]
	ds_write_b64 v5, v[15:16]
	v_add_u32_e32 v5, s10, v33
	ds_write_b64 v5, v[39:40]
	v_add_u32_e32 v5, s8, v33
	;; [unrolled: 2-line block ×3, first 2 shown]
	ds_write_b64 v3, v[1:2]
.LBB87_33:
	s_cmp_lt_i32 s5, 0
	s_cbranch_scc1 .LBB87_46
; %bb.34:
	s_bitcmp1_b32 s5, 0
	s_cselect_b64 s[10:11], -1, 0
	s_and_b64 vcc, exec, s[10:11]
	s_mov_b32 s8, s5
	s_cbranch_vccnz .LBB87_39
; %bb.35:
	s_mul_i32 s8, s5, 0xa0
	v_add_u32_e32 v3, s8, v33
	ds_read_b64 v[1:2], v3
	s_cmp_le_i32 s4, s5
	s_cbranch_scc1 .LBB87_38
; %bb.36:
	s_mul_i32 s10, s22, 0xa0
	s_lshl_b32 s8, s5, 3
	s_add_i32 s8, s10, s8
	v_lshl_add_u32 v4, v0, 3, s10
	s_addk_i32 s8, 0xff60
	v_add_u32_e32 v4, 0xbe0, v4
	s_mov_b32 s10, s4
.LBB87_37:                              ; =>This Inner Loop Header: Depth=1
	v_mov_b32_e32 v7, s8
	ds_read_b64 v[5:6], v4
	ds_read_b64 v[7:8], v7
	s_add_i32 s10, s10, -1
	s_addk_i32 s8, 0xff60
	s_cmp_gt_i32 s10, s5
	v_add_u32_e32 v4, 0xffffff60, v4
	s_waitcnt lgkmcnt(0)
	v_fma_f64 v[1:2], -v[5:6], v[7:8], v[1:2]
	s_cbranch_scc1 .LBB87_37
.LBB87_38:
	s_mul_i32 s8, s5, 0xa8
	v_mov_b32_e32 v4, s8
	ds_read_b64 v[4:5], v4
	s_add_i32 s8, s5, -1
	s_waitcnt lgkmcnt(0)
	v_mul_f64 v[1:2], v[4:5], v[1:2]
	ds_write_b64 v3, v[1:2]
.LBB87_39:
	s_cmp_eq_u32 s5, 0
	s_cbranch_scc1 .LBB87_46
; %bb.40:
	s_mul_i32 s10, s22, 0xa0
	s_lshl_b32 s5, s8, 3
	s_add_i32 s11, s10, s5
	v_lshl_add_u32 v1, v0, 3, s10
	s_add_i32 s5, s11, 0xffffff60
	v_add_u32_e32 v5, 0xbe0, v1
	s_add_i32 s10, s11, 0xffffff58
	s_branch .LBB87_42
.LBB87_41:                              ;   in Loop: Header=BB87_42 Depth=1
	s_addk_i32 s11, 0xff58
	v_mov_b32_e32 v1, s11
	ds_read_b64 v[1:2], v1
	s_add_i32 s11, s8, -2
	s_add_i32 s5, s5, -16
	;; [unrolled: 1-line block ×3, first 2 shown]
	s_cmp_lt_i32 s8, 2
	s_waitcnt lgkmcnt(0)
	v_mul_f64 v[1:2], v[1:2], v[3:4]
	s_mov_b32 s8, s11
	ds_write_b64 v7, v[1:2]
	s_cbranch_scc1 .LBB87_46
.LBB87_42:                              ; =>This Loop Header: Depth=1
                                        ;     Child Loop BB87_43 Depth 2
                                        ;     Child Loop BB87_45 Depth 2
	s_mul_i32 s12, s8, 0xa0
	v_add_u32_e32 v6, s12, v33
	ds_read_b64 v[1:2], v6
	s_cmp_le_i32 s4, s8
	v_mov_b32_e32 v3, v5
	s_mov_b32 s11, s5
	s_mov_b32 s13, s4
	s_cbranch_scc1 .LBB87_44
.LBB87_43:                              ;   Parent Loop BB87_42 Depth=1
                                        ; =>  This Inner Loop Header: Depth=2
	v_mov_b32_e32 v4, s11
	ds_read_b64 v[7:8], v3
	ds_read_b64 v[9:10], v4
	s_add_i32 s13, s13, -1
	s_addk_i32 s11, 0xff60
	s_cmp_gt_i32 s13, s8
	v_add_u32_e32 v3, 0xffffff60, v3
	s_waitcnt lgkmcnt(0)
	v_fma_f64 v[1:2], -v[7:8], v[9:10], v[1:2]
	s_cbranch_scc1 .LBB87_43
.LBB87_44:                              ;   in Loop: Header=BB87_42 Depth=1
	s_mul_i32 s11, s8, 0xa8
	v_mov_b32_e32 v3, s11
	ds_read_b64 v[8:9], v3
	s_addk_i32 s12, 0xff60
	v_add_u32_e32 v7, s12, v33
	ds_read_b64 v[3:4], v7
	s_mov_b32 s12, s10
	s_waitcnt lgkmcnt(1)
	v_mul_f64 v[8:9], v[8:9], v[1:2]
	v_mov_b32_e32 v1, v5
	s_cmp_le_i32 s22, s8
	s_mov_b32 s13, s22
	ds_write_b64 v6, v[8:9]
	s_cbranch_scc1 .LBB87_41
.LBB87_45:                              ;   Parent Loop BB87_42 Depth=1
                                        ; =>  This Inner Loop Header: Depth=2
	v_mov_b32_e32 v2, s12
	ds_read_b64 v[8:9], v1
	ds_read_b64 v[10:11], v2
	s_add_i32 s13, s13, -1
	s_addk_i32 s12, 0xff60
	s_cmp_gt_i32 s13, s8
	v_add_u32_e32 v1, 0xffffff60, v1
	s_waitcnt lgkmcnt(0)
	v_fma_f64 v[3:4], -v[8:9], v[10:11], v[3:4]
	s_cbranch_scc1 .LBB87_45
	s_branch .LBB87_41
.LBB87_46:
	s_waitcnt lgkmcnt(0)
	; wave barrier
	s_and_saveexec_b64 s[4:5], s[0:1]
	s_cbranch_execz .LBB87_50
; %bb.47:
	s_andn2_b64 vcc, exec, s[2:3]
	s_cbranch_vccnz .LBB87_50
; %bb.48:
	v_mad_i64_i32 v[1:2], s[0:1], s9, v0, 0
	v_mov_b32_e32 v3, s7
	v_lshlrev_b64 v[1:2], 3, v[1:2]
	v_add_co_u32_e32 v1, vcc, s6, v1
	v_addc_co_u32_e32 v2, vcc, v3, v2, vcc
	v_mov_b32_e32 v3, 0xc80
	v_lshl_add_u32 v0, v0, 3, v3
.LBB87_49:                              ; =>This Inner Loop Header: Depth=1
	ds_read_b64 v[3:4], v0
	s_add_i32 s22, s22, -1
	v_add_u32_e32 v0, 0xa0, v0
	s_cmp_lg_u32 s22, 0
	s_waitcnt lgkmcnt(0)
	global_store_dwordx2 v[1:2], v[3:4], off
	v_add_co_u32_e32 v1, vcc, 8, v1
	v_addc_co_u32_e32 v2, vcc, 0, v2, vcc
	s_cbranch_scc1 .LBB87_49
.LBB87_50:
	s_endpgm
	.section	.rodata,"a",@progbits
	.p2align	6, 0x0
	.amdhsa_kernel _ZL38rocblas_trsm_small_left_device_sharedBILi20ELi20ELb0EddPKdPdEv13rocblas_fill_18rocblas_operation_17rocblas_diagonal_iiT3_T4_lilT5_lili
		.amdhsa_group_segment_fixed_size 6400
		.amdhsa_private_segment_fixed_size 0
		.amdhsa_kernarg_size 360
		.amdhsa_user_sgpr_count 6
		.amdhsa_user_sgpr_private_segment_buffer 1
		.amdhsa_user_sgpr_dispatch_ptr 0
		.amdhsa_user_sgpr_queue_ptr 0
		.amdhsa_user_sgpr_kernarg_segment_ptr 1
		.amdhsa_user_sgpr_dispatch_id 0
		.amdhsa_user_sgpr_flat_scratch_init 0
		.amdhsa_user_sgpr_private_segment_size 0
		.amdhsa_uses_dynamic_stack 0
		.amdhsa_system_sgpr_private_segment_wavefront_offset 0
		.amdhsa_system_sgpr_workgroup_id_x 1
		.amdhsa_system_sgpr_workgroup_id_y 0
		.amdhsa_system_sgpr_workgroup_id_z 1
		.amdhsa_system_sgpr_workgroup_info 0
		.amdhsa_system_vgpr_workitem_id 0
		.amdhsa_next_free_vgpr 104
		.amdhsa_next_free_sgpr 98
		.amdhsa_reserve_vcc 1
		.amdhsa_reserve_flat_scratch 0
		.amdhsa_float_round_mode_32 0
		.amdhsa_float_round_mode_16_64 0
		.amdhsa_float_denorm_mode_32 3
		.amdhsa_float_denorm_mode_16_64 3
		.amdhsa_dx10_clamp 1
		.amdhsa_ieee_mode 1
		.amdhsa_fp16_overflow 0
		.amdhsa_exception_fp_ieee_invalid_op 0
		.amdhsa_exception_fp_denorm_src 0
		.amdhsa_exception_fp_ieee_div_zero 0
		.amdhsa_exception_fp_ieee_overflow 0
		.amdhsa_exception_fp_ieee_underflow 0
		.amdhsa_exception_fp_ieee_inexact 0
		.amdhsa_exception_int_div_zero 0
	.end_amdhsa_kernel
	.section	.text._ZL38rocblas_trsm_small_left_device_sharedBILi20ELi20ELb0EddPKdPdEv13rocblas_fill_18rocblas_operation_17rocblas_diagonal_iiT3_T4_lilT5_lili,"axG",@progbits,_ZL38rocblas_trsm_small_left_device_sharedBILi20ELi20ELb0EddPKdPdEv13rocblas_fill_18rocblas_operation_17rocblas_diagonal_iiT3_T4_lilT5_lili,comdat
.Lfunc_end87:
	.size	_ZL38rocblas_trsm_small_left_device_sharedBILi20ELi20ELb0EddPKdPdEv13rocblas_fill_18rocblas_operation_17rocblas_diagonal_iiT3_T4_lilT5_lili, .Lfunc_end87-_ZL38rocblas_trsm_small_left_device_sharedBILi20ELi20ELb0EddPKdPdEv13rocblas_fill_18rocblas_operation_17rocblas_diagonal_iiT3_T4_lilT5_lili
                                        ; -- End function
	.set _ZL38rocblas_trsm_small_left_device_sharedBILi20ELi20ELb0EddPKdPdEv13rocblas_fill_18rocblas_operation_17rocblas_diagonal_iiT3_T4_lilT5_lili.num_vgpr, 104
	.set _ZL38rocblas_trsm_small_left_device_sharedBILi20ELi20ELb0EddPKdPdEv13rocblas_fill_18rocblas_operation_17rocblas_diagonal_iiT3_T4_lilT5_lili.num_agpr, 0
	.set _ZL38rocblas_trsm_small_left_device_sharedBILi20ELi20ELb0EddPKdPdEv13rocblas_fill_18rocblas_operation_17rocblas_diagonal_iiT3_T4_lilT5_lili.numbered_sgpr, 27
	.set _ZL38rocblas_trsm_small_left_device_sharedBILi20ELi20ELb0EddPKdPdEv13rocblas_fill_18rocblas_operation_17rocblas_diagonal_iiT3_T4_lilT5_lili.num_named_barrier, 0
	.set _ZL38rocblas_trsm_small_left_device_sharedBILi20ELi20ELb0EddPKdPdEv13rocblas_fill_18rocblas_operation_17rocblas_diagonal_iiT3_T4_lilT5_lili.private_seg_size, 0
	.set _ZL38rocblas_trsm_small_left_device_sharedBILi20ELi20ELb0EddPKdPdEv13rocblas_fill_18rocblas_operation_17rocblas_diagonal_iiT3_T4_lilT5_lili.uses_vcc, 1
	.set _ZL38rocblas_trsm_small_left_device_sharedBILi20ELi20ELb0EddPKdPdEv13rocblas_fill_18rocblas_operation_17rocblas_diagonal_iiT3_T4_lilT5_lili.uses_flat_scratch, 0
	.set _ZL38rocblas_trsm_small_left_device_sharedBILi20ELi20ELb0EddPKdPdEv13rocblas_fill_18rocblas_operation_17rocblas_diagonal_iiT3_T4_lilT5_lili.has_dyn_sized_stack, 0
	.set _ZL38rocblas_trsm_small_left_device_sharedBILi20ELi20ELb0EddPKdPdEv13rocblas_fill_18rocblas_operation_17rocblas_diagonal_iiT3_T4_lilT5_lili.has_recursion, 0
	.set _ZL38rocblas_trsm_small_left_device_sharedBILi20ELi20ELb0EddPKdPdEv13rocblas_fill_18rocblas_operation_17rocblas_diagonal_iiT3_T4_lilT5_lili.has_indirect_call, 0
	.section	.AMDGPU.csdata,"",@progbits
; Kernel info:
; codeLenInByte = 13840
; TotalNumSgprs: 31
; NumVgprs: 104
; ScratchSize: 0
; MemoryBound: 0
; FloatMode: 240
; IeeeMode: 1
; LDSByteSize: 6400 bytes/workgroup (compile time only)
; SGPRBlocks: 12
; VGPRBlocks: 25
; NumSGPRsForWavesPerEU: 102
; NumVGPRsForWavesPerEU: 104
; Occupancy: 2
; WaveLimiterHint : 0
; COMPUTE_PGM_RSRC2:SCRATCH_EN: 0
; COMPUTE_PGM_RSRC2:USER_SGPR: 6
; COMPUTE_PGM_RSRC2:TRAP_HANDLER: 0
; COMPUTE_PGM_RSRC2:TGID_X_EN: 1
; COMPUTE_PGM_RSRC2:TGID_Y_EN: 0
; COMPUTE_PGM_RSRC2:TGID_Z_EN: 1
; COMPUTE_PGM_RSRC2:TIDIG_COMP_CNT: 0
	.section	.text._ZL30rocblas_trsm_small_left_deviceILi20ELi20ELb0EddPKdPdEv13rocblas_fill_18rocblas_operation_17rocblas_diagonal_iiT3_T4_lilT5_lili,"axG",@progbits,_ZL30rocblas_trsm_small_left_deviceILi20ELi20ELb0EddPKdPdEv13rocblas_fill_18rocblas_operation_17rocblas_diagonal_iiT3_T4_lilT5_lili,comdat
	.globl	_ZL30rocblas_trsm_small_left_deviceILi20ELi20ELb0EddPKdPdEv13rocblas_fill_18rocblas_operation_17rocblas_diagonal_iiT3_T4_lilT5_lili ; -- Begin function _ZL30rocblas_trsm_small_left_deviceILi20ELi20ELb0EddPKdPdEv13rocblas_fill_18rocblas_operation_17rocblas_diagonal_iiT3_T4_lilT5_lili
	.p2align	8
	.type	_ZL30rocblas_trsm_small_left_deviceILi20ELi20ELb0EddPKdPdEv13rocblas_fill_18rocblas_operation_17rocblas_diagonal_iiT3_T4_lilT5_lili,@function
_ZL30rocblas_trsm_small_left_deviceILi20ELi20ELb0EddPKdPdEv13rocblas_fill_18rocblas_operation_17rocblas_diagonal_iiT3_T4_lilT5_lili: ; @_ZL30rocblas_trsm_small_left_deviceILi20ELi20ELb0EddPKdPdEv13rocblas_fill_18rocblas_operation_17rocblas_diagonal_iiT3_T4_lilT5_lili
; %bb.0:
	s_load_dwordx4 s[8:11], s[4:5], 0x4
	s_load_dwordx4 s[0:3], s[4:5], 0x18
	s_load_dwordx2 s[20:21], s[4:5], 0x28
	s_load_dwordx4 s[12:15], s[4:5], 0x38
	s_load_dwordx2 s[16:17], s[4:5], 0x48
	s_waitcnt lgkmcnt(0)
	s_min_i32 s22, s10, 20
	v_cmp_gt_i32_e32 vcc, s22, v0
	s_and_saveexec_b64 s[18:19], vcc
	s_cbranch_execz .LBB88_6
; %bb.1:
	s_load_dword s24, s[4:5], 0x30
	s_mul_i32 s13, s13, s7
	s_mul_hi_u32 s23, s12, s7
	s_mul_i32 s12, s12, s7
	s_add_i32 s13, s23, s13
	s_waitcnt lgkmcnt(0)
	s_ashr_i32 s25, s24, 31
	s_lshl_b64 s[12:13], s[12:13], 3
	s_add_u32 s12, s2, s12
	s_addc_u32 s13, s3, s13
	s_lshl_b64 s[2:3], s[20:21], 3
	s_add_u32 s2, s12, s2
	s_addc_u32 s3, s13, s3
	v_lshlrev_b32_e32 v3, 3, v0
	v_mov_b32_e32 v2, s3
	v_add_co_u32_e32 v1, vcc, s2, v3
	s_lshl_b64 s[2:3], s[24:25], 3
	v_addc_co_u32_e32 v2, vcc, 0, v2, vcc
	v_mov_b32_e32 v4, s3
	v_mov_b32_e32 v5, v3
	s_mov_b32 s3, s22
.LBB88_2:                               ; =>This Inner Loop Header: Depth=1
	global_load_dwordx2 v[6:7], v[1:2], off
	v_add_co_u32_e32 v1, vcc, s2, v1
	s_add_i32 s3, s3, -1
	v_addc_co_u32_e32 v2, vcc, v2, v4, vcc
	s_cmp_eq_u32 s3, 0
	s_waitcnt vmcnt(0)
	ds_write_b64 v5, v[6:7]
	v_add_u32_e32 v5, 0xa0, v5
	s_cbranch_scc0 .LBB88_2
; %bb.3:
	v_mul_u32_u24_e32 v4, 0xa0, v0
	v_mov_b32_e32 v1, 0
	s_cmpk_lg_i32 s9, 0x84
	v_mov_b32_e32 v2, 0x3ff00000
	v_add_u32_e32 v3, v3, v4
	s_cbranch_scc0 .LBB88_5
; %bb.4:
	ds_read_b64 v[1:2], v3
	s_waitcnt lgkmcnt(0)
	v_div_scale_f64 v[4:5], s[2:3], v[1:2], v[1:2], 1.0
	v_div_scale_f64 v[10:11], vcc, 1.0, v[1:2], 1.0
	v_rcp_f64_e32 v[6:7], v[4:5]
	v_fma_f64 v[8:9], -v[4:5], v[6:7], 1.0
	v_fma_f64 v[6:7], v[6:7], v[8:9], v[6:7]
	v_fma_f64 v[8:9], -v[4:5], v[6:7], 1.0
	v_fma_f64 v[6:7], v[6:7], v[8:9], v[6:7]
	v_mul_f64 v[8:9], v[10:11], v[6:7]
	v_fma_f64 v[4:5], -v[4:5], v[8:9], v[10:11]
	v_div_fmas_f64 v[4:5], v[4:5], v[6:7], v[8:9]
	v_div_fixup_f64 v[1:2], v[4:5], v[1:2], 1.0
.LBB88_5:
	ds_write_b64 v3, v[1:2]
.LBB88_6:
	s_or_b64 exec, exec, s[18:19]
	s_load_dword s2, s[4:5], 0x68
	s_mul_i32 s3, s6, 0xffffffec
	s_add_i32 s3, s11, s3
	s_waitcnt lgkmcnt(0)
	; wave barrier
	s_add_i32 s2, s2, -1
	s_cmp_ge_u32 s6, s2
	s_cselect_b32 s2, s3, 20
	v_cmp_gt_i32_e32 vcc, s2, v0
	s_and_saveexec_b64 s[2:3], vcc
	s_cbranch_execz .LBB88_47
; %bb.7:
	s_load_dwordx2 s[2:3], s[4:5], 0x58
	s_load_dword s9, s[4:5], 0x50
	s_waitcnt lgkmcnt(0)
	s_mul_i32 s3, s3, s7
	s_mul_hi_u32 s4, s2, s7
	s_add_i32 s3, s4, s3
	v_mad_u64_u32 v[0:1], s[4:5], s6, 20, v[0:1]
	s_mul_i32 s2, s2, s7
	s_lshl_b64 s[2:3], s[2:3], 3
	v_mad_i64_i32 v[0:1], s[4:5], s9, v0, 0
	s_add_u32 s6, s14, s2
	s_addc_u32 s7, s15, s3
	s_lshl_b64 s[4:5], s[16:17], 3
	s_add_u32 s6, s6, s4
	v_lshlrev_b64 v[42:43], 3, v[0:1]
	s_addc_u32 s7, s7, s5
	v_mov_b32_e32 v0, s7
	v_add_co_u32_e32 v40, vcc, s6, v42
	v_addc_co_u32_e32 v41, vcc, v0, v43, vcc
	s_cmpk_eq_i32 s8, 0x6f
	s_mov_b64 s[6:7], -1
	s_cbranch_scc1 .LBB88_25
; %bb.8:
	s_cmp_lt_i32 s10, 20
	s_cselect_b64 s[6:7], -1, 0
	s_cmp_gt_i32 s10, 19
	s_mov_b32 s8, 0
	s_cbranch_scc0 .LBB88_10
; %bb.9:
	global_load_dwordx4 v[0:3], v[40:41], off offset:48
	global_load_dwordx4 v[4:7], v[40:41], off offset:32
	;; [unrolled: 1-line block ×3, first 2 shown]
	global_load_dwordx4 v[12:15], v[40:41], off
	v_mov_b32_e32 v44, 0
	global_load_dwordx4 v[36:39], v[40:41], off offset:112
	global_load_dwordx4 v[28:31], v[40:41], off offset:96
	;; [unrolled: 1-line block ×6, first 2 shown]
	ds_read2_b64 v[49:52], v44 offset1:42
	ds_read_b128 v[53:56], v44 offset:160
	s_movk_i32 s8, 0x400
	s_waitcnt vmcnt(6)
	v_mul_f64 v[12:13], s[0:1], v[12:13]
	s_waitcnt lgkmcnt(1)
	v_mul_f64 v[24:25], v[49:50], v[12:13]
	s_waitcnt lgkmcnt(0)
	v_mul_f64 v[12:13], v[24:25], v[53:54]
	v_fma_f64 v[12:13], s[0:1], v[14:15], -v[12:13]
	v_mul_f64 v[26:27], v[55:56], v[12:13]
	ds_read_b128 v[12:15], v44 offset:320
	s_waitcnt lgkmcnt(0)
	v_mul_f64 v[12:13], v[24:25], v[12:13]
	global_store_dwordx4 v[40:41], v[24:27], off
	v_fma_f64 v[8:9], s[0:1], v[8:9], -v[12:13]
	v_fma_f64 v[8:9], -v[26:27], v[14:15], v[8:9]
	ds_read_b128 v[12:15], v44 offset:480
	v_mul_f64 v[8:9], v[51:52], v[8:9]
	ds_read_b128 v[49:52], v44 offset:800
	s_waitcnt lgkmcnt(1)
	v_mul_f64 v[12:13], v[24:25], v[12:13]
	v_fma_f64 v[10:11], s[0:1], v[10:11], -v[12:13]
	v_fma_f64 v[14:15], -v[26:27], v[14:15], v[10:11]
	ds_read_b128 v[10:13], v44 offset:496
	s_waitcnt lgkmcnt(0)
	v_fma_f64 v[10:11], -v[8:9], v[10:11], v[14:15]
	v_mul_f64 v[10:11], v[12:13], v[10:11]
	ds_read_b128 v[12:15], v44 offset:640
	s_waitcnt lgkmcnt(0)
	v_mul_f64 v[12:13], v[24:25], v[12:13]
	global_store_dwordx4 v[40:41], v[8:11], off offset:16
	v_fma_f64 v[4:5], s[0:1], v[4:5], -v[12:13]
	v_fma_f64 v[4:5], -v[26:27], v[14:15], v[4:5]
	ds_read_b128 v[12:15], v44 offset:656
	s_waitcnt lgkmcnt(0)
	v_fma_f64 v[4:5], -v[8:9], v[12:13], v[4:5]
	v_fma_f64 v[4:5], -v[10:11], v[14:15], v[4:5]
	ds_read2_b64 v[12:15], v44 offset0:84 offset1:126
	s_waitcnt lgkmcnt(0)
	v_mul_f64 v[4:5], v[12:13], v[4:5]
	v_mul_f64 v[12:13], v[24:25], v[49:50]
	v_fma_f64 v[6:7], s[0:1], v[6:7], -v[12:13]
	v_fma_f64 v[6:7], -v[26:27], v[51:52], v[6:7]
	ds_read_b128 v[49:52], v44 offset:816
	s_waitcnt lgkmcnt(0)
	v_fma_f64 v[6:7], -v[8:9], v[49:50], v[6:7]
	v_fma_f64 v[6:7], -v[10:11], v[51:52], v[6:7]
	ds_read_b128 v[49:52], v44 offset:832
	s_waitcnt lgkmcnt(0)
	v_fma_f64 v[6:7], -v[4:5], v[49:50], v[6:7]
	v_mul_f64 v[6:7], v[51:52], v[6:7]
	global_store_dwordx4 v[40:41], v[4:7], off offset:32
	ds_read_b128 v[49:52], v44 offset:960
	ds_read_b128 v[53:56], v44 offset:976
	;; [unrolled: 1-line block ×3, first 2 shown]
	s_waitcnt lgkmcnt(2)
	v_mul_f64 v[12:13], v[24:25], v[49:50]
	v_fma_f64 v[0:1], s[0:1], v[0:1], -v[12:13]
	v_fma_f64 v[0:1], -v[26:27], v[51:52], v[0:1]
	ds_read2_b64 v[49:52], v44 offset0:168 offset1:210
	s_waitcnt lgkmcnt(2)
	v_fma_f64 v[0:1], -v[8:9], v[53:54], v[0:1]
	v_fma_f64 v[0:1], -v[10:11], v[55:56], v[0:1]
	ds_read_b128 v[53:56], v44 offset:1440
	s_waitcnt lgkmcnt(2)
	v_fma_f64 v[0:1], -v[4:5], v[57:58], v[0:1]
	v_fma_f64 v[0:1], -v[6:7], v[59:60], v[0:1]
	v_mul_f64 v[0:1], v[14:15], v[0:1]
	ds_read_b128 v[12:15], v44 offset:1120
	s_waitcnt lgkmcnt(0)
	v_mul_f64 v[12:13], v[24:25], v[12:13]
	v_fma_f64 v[2:3], s[0:1], v[2:3], -v[12:13]
	v_fma_f64 v[2:3], -v[26:27], v[14:15], v[2:3]
	ds_read_b128 v[12:15], v44 offset:1136
	s_waitcnt lgkmcnt(0)
	v_fma_f64 v[2:3], -v[8:9], v[12:13], v[2:3]
	v_fma_f64 v[2:3], -v[10:11], v[14:15], v[2:3]
	ds_read_b128 v[12:15], v44 offset:1152
	s_waitcnt lgkmcnt(0)
	v_fma_f64 v[2:3], -v[4:5], v[12:13], v[2:3]
	v_fma_f64 v[2:3], -v[6:7], v[14:15], v[2:3]
	ds_read_b128 v[12:15], v44 offset:1168
	s_waitcnt lgkmcnt(0)
	v_fma_f64 v[2:3], -v[0:1], v[12:13], v[2:3]
	v_mul_f64 v[2:3], v[14:15], v[2:3]
	ds_read_b128 v[12:15], v44 offset:1280
	s_waitcnt lgkmcnt(0)
	v_mul_f64 v[12:13], v[24:25], v[12:13]
	global_store_dwordx4 v[40:41], v[0:3], off offset:48
	s_waitcnt vmcnt(6)
	v_fma_f64 v[12:13], s[0:1], v[45:46], -v[12:13]
	v_fma_f64 v[45:46], -v[26:27], v[14:15], v[12:13]
	ds_read_b128 v[12:15], v44 offset:1296
	s_waitcnt lgkmcnt(0)
	v_fma_f64 v[12:13], -v[8:9], v[12:13], v[45:46]
	v_fma_f64 v[45:46], -v[10:11], v[14:15], v[12:13]
	ds_read_b128 v[12:15], v44 offset:1312
	s_waitcnt lgkmcnt(0)
	v_fma_f64 v[12:13], -v[4:5], v[12:13], v[45:46]
	;; [unrolled: 4-line block ×3, first 2 shown]
	v_fma_f64 v[12:13], -v[2:3], v[14:15], v[12:13]
	v_mul_f64 v[14:15], v[24:25], v[53:54]
	v_mul_f64 v[12:13], v[49:50], v[12:13]
	v_fma_f64 v[14:15], s[0:1], v[47:48], -v[14:15]
	ds_read_b128 v[45:48], v44 offset:1456
	v_fma_f64 v[14:15], -v[26:27], v[55:56], v[14:15]
	s_waitcnt lgkmcnt(0)
	v_fma_f64 v[14:15], -v[8:9], v[45:46], v[14:15]
	v_fma_f64 v[14:15], -v[10:11], v[47:48], v[14:15]
	ds_read_b128 v[45:48], v44 offset:1472
	s_waitcnt lgkmcnt(0)
	v_fma_f64 v[14:15], -v[4:5], v[45:46], v[14:15]
	v_fma_f64 v[14:15], -v[6:7], v[47:48], v[14:15]
	ds_read_b128 v[45:48], v44 offset:1488
	;; [unrolled: 4-line block ×3, first 2 shown]
	s_waitcnt lgkmcnt(0)
	v_fma_f64 v[14:15], -v[12:13], v[45:46], v[14:15]
	v_mul_f64 v[14:15], v[47:48], v[14:15]
	global_store_dwordx4 v[40:41], v[12:15], off offset:64
	ds_read_b128 v[45:48], v44 offset:1600
	ds_read_b128 v[53:56], v44 offset:1616
	;; [unrolled: 1-line block ×4, first 2 shown]
	s_waitcnt lgkmcnt(3)
	v_mul_f64 v[45:46], v[24:25], v[45:46]
	v_fma_f64 v[16:17], s[0:1], v[16:17], -v[45:46]
	v_fma_f64 v[16:17], -v[26:27], v[47:48], v[16:17]
	ds_read_b128 v[45:48], v44 offset:1664
	s_waitcnt lgkmcnt(3)
	v_fma_f64 v[16:17], -v[8:9], v[53:54], v[16:17]
	v_fma_f64 v[16:17], -v[10:11], v[55:56], v[16:17]
	s_waitcnt lgkmcnt(2)
	v_fma_f64 v[16:17], -v[4:5], v[57:58], v[16:17]
	v_fma_f64 v[16:17], -v[6:7], v[59:60], v[16:17]
	;; [unrolled: 3-line block ×4, first 2 shown]
	ds_read_b128 v[45:48], v44 offset:1760
	s_waitcnt lgkmcnt(0)
	v_mul_f64 v[45:46], v[24:25], v[45:46]
	v_mul_f64 v[16:17], v[51:52], v[16:17]
	v_fma_f64 v[18:19], s[0:1], v[18:19], -v[45:46]
	v_fma_f64 v[18:19], -v[26:27], v[47:48], v[18:19]
	ds_read_b128 v[45:48], v44 offset:1776
	s_waitcnt lgkmcnt(0)
	v_fma_f64 v[18:19], -v[8:9], v[45:46], v[18:19]
	v_fma_f64 v[18:19], -v[10:11], v[47:48], v[18:19]
	ds_read_b128 v[45:48], v44 offset:1792
	s_waitcnt lgkmcnt(0)
	v_fma_f64 v[18:19], -v[4:5], v[45:46], v[18:19]
	v_fma_f64 v[18:19], -v[6:7], v[47:48], v[18:19]
	ds_read_b128 v[45:48], v44 offset:1808
	s_waitcnt lgkmcnt(0)
	v_fma_f64 v[18:19], -v[0:1], v[45:46], v[18:19]
	v_fma_f64 v[18:19], -v[2:3], v[47:48], v[18:19]
	ds_read_b128 v[45:48], v44 offset:1824
	s_waitcnt lgkmcnt(0)
	v_fma_f64 v[18:19], -v[12:13], v[45:46], v[18:19]
	v_fma_f64 v[18:19], -v[14:15], v[47:48], v[18:19]
	ds_read_b128 v[45:48], v44 offset:1840
	s_waitcnt lgkmcnt(0)
	v_fma_f64 v[18:19], -v[16:17], v[45:46], v[18:19]
	v_mul_f64 v[18:19], v[47:48], v[18:19]
	global_store_dwordx4 v[40:41], v[16:19], off offset:80
	ds_read_b128 v[45:48], v44 offset:1920
	ds_read_b128 v[49:52], v44 offset:1936
	;; [unrolled: 1-line block ×4, first 2 shown]
	s_waitcnt lgkmcnt(3)
	v_mul_f64 v[45:46], v[24:25], v[45:46]
	v_fma_f64 v[28:29], s[0:1], v[28:29], -v[45:46]
	v_fma_f64 v[28:29], -v[26:27], v[47:48], v[28:29]
	ds_read_b128 v[45:48], v44 offset:1984
	s_waitcnt lgkmcnt(3)
	v_fma_f64 v[28:29], -v[8:9], v[49:50], v[28:29]
	v_fma_f64 v[28:29], -v[10:11], v[51:52], v[28:29]
	ds_read_b128 v[49:52], v44 offset:2080
	s_waitcnt lgkmcnt(3)
	v_fma_f64 v[28:29], -v[4:5], v[53:54], v[28:29]
	v_fma_f64 v[28:29], -v[6:7], v[55:56], v[28:29]
	s_waitcnt lgkmcnt(2)
	v_fma_f64 v[28:29], -v[0:1], v[57:58], v[28:29]
	v_fma_f64 v[28:29], -v[2:3], v[59:60], v[28:29]
	;; [unrolled: 3-line block ×3, first 2 shown]
	ds_read_b128 v[45:48], v44 offset:2000
	s_waitcnt lgkmcnt(0)
	v_fma_f64 v[28:29], -v[16:17], v[45:46], v[28:29]
	v_add_u32_e64 v45, s8, 0
	s_movk_i32 s8, 0x800
	v_fma_f64 v[28:29], -v[18:19], v[47:48], v[28:29]
	ds_read2_b64 v[45:48], v45 offset0:124 offset1:166
	s_waitcnt lgkmcnt(0)
	v_mul_f64 v[28:29], v[45:46], v[28:29]
	v_mul_f64 v[45:46], v[24:25], v[49:50]
	v_fma_f64 v[30:31], s[0:1], v[30:31], -v[45:46]
	v_fma_f64 v[30:31], -v[26:27], v[51:52], v[30:31]
	ds_read_b128 v[49:52], v44 offset:2096
	s_waitcnt lgkmcnt(0)
	v_fma_f64 v[30:31], -v[8:9], v[49:50], v[30:31]
	v_fma_f64 v[30:31], -v[10:11], v[51:52], v[30:31]
	ds_read_b128 v[49:52], v44 offset:2112
	s_waitcnt lgkmcnt(0)
	v_fma_f64 v[30:31], -v[4:5], v[49:50], v[30:31]
	;; [unrolled: 4-line block ×6, first 2 shown]
	v_mul_f64 v[30:31], v[51:52], v[30:31]
	global_store_dwordx4 v[40:41], v[28:31], off offset:96
	ds_read_b128 v[49:52], v44 offset:2240
	ds_read_b128 v[53:56], v44 offset:2256
	;; [unrolled: 1-line block ×4, first 2 shown]
	s_waitcnt lgkmcnt(3)
	v_mul_f64 v[45:46], v[24:25], v[49:50]
	v_fma_f64 v[36:37], s[0:1], v[36:37], -v[45:46]
	v_fma_f64 v[36:37], -v[26:27], v[51:52], v[36:37]
	ds_read_b128 v[49:52], v44 offset:2304
	s_waitcnt lgkmcnt(3)
	v_fma_f64 v[36:37], -v[8:9], v[53:54], v[36:37]
	v_fma_f64 v[36:37], -v[10:11], v[55:56], v[36:37]
	s_waitcnt lgkmcnt(2)
	v_fma_f64 v[36:37], -v[4:5], v[57:58], v[36:37]
	v_fma_f64 v[36:37], -v[6:7], v[59:60], v[36:37]
	;; [unrolled: 3-line block ×4, first 2 shown]
	ds_read_b128 v[49:52], v44 offset:2320
	s_waitcnt lgkmcnt(0)
	v_fma_f64 v[36:37], -v[16:17], v[49:50], v[36:37]
	v_fma_f64 v[36:37], -v[18:19], v[51:52], v[36:37]
	ds_read_b128 v[49:52], v44 offset:2336
	s_waitcnt lgkmcnt(0)
	v_fma_f64 v[36:37], -v[28:29], v[49:50], v[36:37]
	v_fma_f64 v[36:37], -v[30:31], v[51:52], v[36:37]
	v_mul_f64 v[36:37], v[47:48], v[36:37]
	ds_read_b128 v[45:48], v44 offset:2400
	s_waitcnt lgkmcnt(0)
	v_mul_f64 v[45:46], v[24:25], v[45:46]
	v_fma_f64 v[38:39], s[0:1], v[38:39], -v[45:46]
	v_fma_f64 v[38:39], -v[26:27], v[47:48], v[38:39]
	ds_read_b128 v[45:48], v44 offset:2416
	s_waitcnt lgkmcnt(0)
	v_fma_f64 v[38:39], -v[8:9], v[45:46], v[38:39]
	v_fma_f64 v[38:39], -v[10:11], v[47:48], v[38:39]
	ds_read_b128 v[45:48], v44 offset:2432
	s_waitcnt lgkmcnt(0)
	v_fma_f64 v[38:39], -v[4:5], v[45:46], v[38:39]
	;; [unrolled: 4-line block ×7, first 2 shown]
	v_mul_f64 v[38:39], v[47:48], v[38:39]
	global_store_dwordx4 v[40:41], v[36:39], off offset:112
	ds_read_b128 v[45:48], v44 offset:2560
	ds_read_b128 v[49:52], v44 offset:2576
	ds_read_b128 v[53:56], v44 offset:2592
	ds_read_b128 v[57:60], v44 offset:2608
	s_waitcnt lgkmcnt(3)
	v_mul_f64 v[45:46], v[24:25], v[45:46]
	s_waitcnt vmcnt(8)
	v_fma_f64 v[32:33], s[0:1], v[32:33], -v[45:46]
	v_fma_f64 v[32:33], -v[26:27], v[47:48], v[32:33]
	ds_read_b128 v[45:48], v44 offset:2624
	s_waitcnt lgkmcnt(3)
	v_fma_f64 v[32:33], -v[8:9], v[49:50], v[32:33]
	v_fma_f64 v[32:33], -v[10:11], v[51:52], v[32:33]
	ds_read_b128 v[49:52], v44 offset:2720
	s_waitcnt lgkmcnt(3)
	v_fma_f64 v[32:33], -v[4:5], v[53:54], v[32:33]
	v_fma_f64 v[32:33], -v[6:7], v[55:56], v[32:33]
	s_waitcnt lgkmcnt(2)
	v_fma_f64 v[32:33], -v[0:1], v[57:58], v[32:33]
	v_fma_f64 v[32:33], -v[2:3], v[59:60], v[32:33]
	s_waitcnt lgkmcnt(1)
	v_fma_f64 v[32:33], -v[12:13], v[45:46], v[32:33]
	v_fma_f64 v[32:33], -v[14:15], v[47:48], v[32:33]
	ds_read_b128 v[45:48], v44 offset:2640
	s_waitcnt lgkmcnt(0)
	v_fma_f64 v[32:33], -v[16:17], v[45:46], v[32:33]
	v_fma_f64 v[32:33], -v[18:19], v[47:48], v[32:33]
	ds_read_b128 v[45:48], v44 offset:2656
	s_waitcnt lgkmcnt(0)
	v_fma_f64 v[32:33], -v[28:29], v[45:46], v[32:33]
	v_fma_f64 v[32:33], -v[30:31], v[47:48], v[32:33]
	ds_read_b128 v[45:48], v44 offset:2672
	s_waitcnt lgkmcnt(0)
	v_fma_f64 v[32:33], -v[36:37], v[45:46], v[32:33]
	v_add_u32_e64 v45, s8, 0
	s_mov_b32 s8, 20
	v_fma_f64 v[32:33], -v[38:39], v[47:48], v[32:33]
	ds_read2_b64 v[45:48], v45 offset0:80 offset1:122
	s_waitcnt lgkmcnt(0)
	v_mul_f64 v[32:33], v[45:46], v[32:33]
	v_mul_f64 v[45:46], v[24:25], v[49:50]
	v_fma_f64 v[34:35], s[0:1], v[34:35], -v[45:46]
	v_fma_f64 v[34:35], -v[26:27], v[51:52], v[34:35]
	ds_read_b128 v[49:52], v44 offset:2736
	s_waitcnt lgkmcnt(0)
	v_fma_f64 v[34:35], -v[8:9], v[49:50], v[34:35]
	v_fma_f64 v[34:35], -v[10:11], v[51:52], v[34:35]
	ds_read_b128 v[49:52], v44 offset:2752
	s_waitcnt lgkmcnt(0)
	v_fma_f64 v[34:35], -v[4:5], v[49:50], v[34:35]
	;; [unrolled: 4-line block ×8, first 2 shown]
	v_mul_f64 v[34:35], v[51:52], v[34:35]
	global_store_dwordx4 v[40:41], v[32:35], off offset:128
	ds_read_b128 v[49:52], v44 offset:2880
	ds_read_b128 v[53:56], v44 offset:2896
	ds_read_b128 v[57:60], v44 offset:2912
	ds_read_b128 v[61:64], v44 offset:2928
	s_waitcnt lgkmcnt(3)
	v_mul_f64 v[45:46], v[24:25], v[49:50]
	v_fma_f64 v[20:21], s[0:1], v[20:21], -v[45:46]
	v_fma_f64 v[20:21], -v[26:27], v[51:52], v[20:21]
	ds_read_b128 v[49:52], v44 offset:2944
	s_waitcnt lgkmcnt(3)
	v_fma_f64 v[20:21], -v[8:9], v[53:54], v[20:21]
	v_fma_f64 v[20:21], -v[10:11], v[55:56], v[20:21]
	s_waitcnt lgkmcnt(2)
	v_fma_f64 v[20:21], -v[4:5], v[57:58], v[20:21]
	v_fma_f64 v[20:21], -v[6:7], v[59:60], v[20:21]
	;; [unrolled: 3-line block ×4, first 2 shown]
	ds_read_b128 v[49:52], v44 offset:2960
	s_waitcnt lgkmcnt(0)
	v_fma_f64 v[20:21], -v[16:17], v[49:50], v[20:21]
	v_fma_f64 v[20:21], -v[18:19], v[51:52], v[20:21]
	ds_read_b128 v[49:52], v44 offset:2976
	s_waitcnt lgkmcnt(0)
	v_fma_f64 v[20:21], -v[28:29], v[49:50], v[20:21]
	v_fma_f64 v[20:21], -v[30:31], v[51:52], v[20:21]
	;; [unrolled: 4-line block ×4, first 2 shown]
	v_mul_f64 v[20:21], v[47:48], v[20:21]
	ds_read_b128 v[45:48], v44 offset:3040
	s_waitcnt lgkmcnt(0)
	v_mul_f64 v[24:25], v[24:25], v[45:46]
	v_fma_f64 v[22:23], s[0:1], v[22:23], -v[24:25]
	v_fma_f64 v[26:27], -v[26:27], v[47:48], v[22:23]
	ds_read_b128 v[22:25], v44 offset:3056
	s_waitcnt lgkmcnt(0)
	v_fma_f64 v[8:9], -v[8:9], v[22:23], v[26:27]
	v_fma_f64 v[22:23], -v[10:11], v[24:25], v[8:9]
	ds_read_b128 v[8:11], v44 offset:3072
	s_waitcnt lgkmcnt(0)
	v_fma_f64 v[4:5], -v[4:5], v[8:9], v[22:23]
	;; [unrolled: 4-line block ×9, first 2 shown]
	v_mul_f64 v[22:23], v[2:3], v[0:1]
	global_store_dwordx4 v[40:41], v[20:23], off offset:144
.LBB88_10:
	s_cmp_lt_i32 s8, s22
	s_cbranch_scc0 .LBB88_24
; %bb.11:
	s_add_i32 s9, s8, 15
	s_cmp_ge_u32 s9, s22
	s_cbranch_scc1 .LBB88_19
; %bb.12:
	s_lshl_b32 s9, s8, 3
	v_add_co_u32_e32 v32, vcc, s9, v40
	v_addc_co_u32_e32 v33, vcc, 0, v41, vcc
	global_load_dwordx4 v[0:3], v[32:33], off offset:48
	global_load_dwordx4 v[4:7], v[32:33], off offset:32
	;; [unrolled: 1-line block ×3, first 2 shown]
	global_load_dwordx4 v[12:15], v[32:33], off
	global_load_dwordx4 v[16:19], v[32:33], off offset:112
	global_load_dwordx4 v[20:23], v[32:33], off offset:96
	;; [unrolled: 1-line block ×4, first 2 shown]
	s_andn2_b64 vcc, exec, s[6:7]
	s_cbranch_vccnz .LBB88_14
; %bb.13:
	s_mul_i32 s11, s8, 0xa0
	s_mov_b64 s[6:7], 0
	s_branch .LBB88_15
.LBB88_14:
	s_mov_b64 s[6:7], -1
                                        ; implicit-def: $sgpr11
.LBB88_15:
	s_waitcnt vmcnt(4)
	v_mul_f64 v[50:51], s[0:1], v[12:13]
	v_mul_f64 v[48:49], s[0:1], v[14:15]
	;; [unrolled: 1-line block ×8, first 2 shown]
	s_waitcnt vmcnt(0)
	v_mul_f64 v[34:35], s[0:1], v[28:29]
	v_mul_f64 v[30:31], s[0:1], v[30:31]
	;; [unrolled: 1-line block ×8, first 2 shown]
	s_andn2_b64 vcc, exec, s[6:7]
	s_cbranch_vccnz .LBB88_18
; %bb.16:
	s_add_u32 s4, s14, s4
	s_addc_u32 s5, s15, s5
	s_add_u32 s2, s4, s2
	s_addc_u32 s3, s5, s3
	v_mov_b32_e32 v0, s3
	v_add_co_u32_e32 v1, vcc, s2, v42
	v_addc_co_u32_e32 v2, vcc, v0, v43, vcc
	s_mul_i32 s11, s8, 0xa0
	v_add_co_u32_e32 v0, vcc, 8, v1
	v_addc_co_u32_e32 v1, vcc, 0, v2, vcc
	s_mov_b32 s2, s8
	s_mov_b32 s3, s11
.LBB88_17:                              ; =>This Inner Loop Header: Depth=1
	global_load_dwordx4 v[16:19], v[0:1], off offset:-8
	v_mov_b32_e32 v26, s3
	ds_read_b128 v[20:23], v26
	ds_read_b128 v[52:55], v26 offset:160
	ds_read_b128 v[56:59], v26 offset:320
	s_add_i32 s3, s3, 16
	v_add_co_u32_e32 v0, vcc, 16, v0
	s_add_i32 s2, s2, -2
	s_cmp_lg_u32 s2, 0
	v_addc_co_u32_e32 v1, vcc, 0, v1, vcc
	s_waitcnt vmcnt(0) lgkmcnt(2)
	v_fma_f64 v[2:3], -v[16:17], v[20:21], v[50:51]
	v_fma_f64 v[50:51], -v[18:19], v[22:23], v[2:3]
	s_waitcnt lgkmcnt(1)
	v_fma_f64 v[2:3], -v[16:17], v[52:53], v[48:49]
	ds_read_b128 v[20:23], v26 offset:480
	v_fma_f64 v[48:49], -v[18:19], v[54:55], v[2:3]
	s_waitcnt lgkmcnt(1)
	v_fma_f64 v[2:3], -v[16:17], v[56:57], v[46:47]
	ds_read_b128 v[52:55], v26 offset:640
	;; [unrolled: 4-line block ×12, first 2 shown]
	s_waitcnt lgkmcnt(0)
	v_fma_f64 v[12:13], -v[16:17], v[56:57], v[12:13]
	v_fma_f64 v[14:15], -v[18:19], v[22:23], v[2:3]
	ds_read_b128 v[20:23], v26 offset:2400
	v_fma_f64 v[2:3], -v[16:17], v[52:53], v[10:11]
	s_waitcnt lgkmcnt(0)
	v_fma_f64 v[8:9], -v[16:17], v[20:21], v[8:9]
	v_fma_f64 v[12:13], -v[18:19], v[58:59], v[12:13]
	;; [unrolled: 1-line block ×4, first 2 shown]
	s_cbranch_scc1 .LBB88_17
.LBB88_18:
	s_add_i32 s2, s9, s11
	v_mov_b32_e32 v17, s2
	ds_read2_b64 v[18:21], v17 offset1:42
	s_or_b32 s2, s8, 1
	s_mulk_i32 s2, 0xa0
	s_add_i32 s2, s9, s2
	v_mov_b32_e32 v16, s2
	s_waitcnt lgkmcnt(0)
	v_mul_f64 v[0:1], v[18:19], v[50:51]
	ds_read_b128 v[50:53], v16
	ds_read_b128 v[54:57], v16 offset:160
	s_add_i32 s8, s8, 16
	s_waitcnt lgkmcnt(1)
	v_fma_f64 v[2:3], -v[0:1], v[50:51], v[48:49]
	s_waitcnt lgkmcnt(0)
	v_fma_f64 v[18:19], -v[0:1], v[54:55], v[46:47]
	v_mul_f64 v[2:3], v[52:53], v[2:3]
	ds_read_b128 v[46:49], v16 offset:320
	ds_read_b128 v[50:53], v16 offset:336
	s_waitcnt lgkmcnt(1)
	v_fma_f64 v[22:23], -v[0:1], v[46:47], v[44:45]
	v_fma_f64 v[18:19], -v[2:3], v[56:57], v[18:19]
	ds_read_b128 v[42:45], v16 offset:480
	ds_read_b128 v[54:57], v16 offset:496
	s_waitcnt lgkmcnt(1)
	v_fma_f64 v[26:27], -v[0:1], v[42:43], v[4:5]
	v_fma_f64 v[22:23], -v[2:3], v[48:49], v[22:23]
	v_mul_f64 v[4:5], v[20:21], v[18:19]
	ds_read_b128 v[18:21], v16 offset:640
	ds_read_b128 v[46:49], v16 offset:656
	;; [unrolled: 1-line block ×3, first 2 shown]
	s_waitcnt lgkmcnt(2)
	v_fma_f64 v[18:19], -v[0:1], v[18:19], v[38:39]
	v_fma_f64 v[26:27], -v[2:3], v[44:45], v[26:27]
	s_waitcnt lgkmcnt(0)
	v_fma_f64 v[38:39], -v[0:1], v[58:59], v[6:7]
	v_fma_f64 v[22:23], -v[4:5], v[50:51], v[22:23]
	;; [unrolled: 1-line block ×4, first 2 shown]
	ds_read_b128 v[18:21], v16 offset:960
	ds_read_b128 v[42:45], v16 offset:976
	v_mul_f64 v[6:7], v[52:53], v[22:23]
	v_fma_f64 v[22:23], -v[2:3], v[60:61], v[38:39]
	s_waitcnt lgkmcnt(1)
	v_fma_f64 v[18:19], -v[0:1], v[18:19], v[36:37]
	v_fma_f64 v[46:47], -v[4:5], v[46:47], v[50:51]
	v_fma_f64 v[26:27], -v[6:7], v[56:57], v[26:27]
	ds_read_b128 v[36:39], v16 offset:816
	ds_read2_b64 v[50:53], v17 offset0:84 offset1:126
	ds_read_b128 v[54:57], v16 offset:832
	v_fma_f64 v[58:59], -v[2:3], v[20:21], v[18:19]
	s_waitcnt lgkmcnt(2)
	v_fma_f64 v[36:37], -v[4:5], v[36:37], v[22:23]
	v_fma_f64 v[46:47], -v[6:7], v[48:49], v[46:47]
	ds_read_b128 v[20:23], v16 offset:672
	s_waitcnt lgkmcnt(2)
	v_mul_f64 v[18:19], v[50:51], v[26:27]
	v_fma_f64 v[26:27], -v[4:5], v[42:43], v[58:59]
	v_fma_f64 v[36:37], -v[6:7], v[38:39], v[36:37]
	s_waitcnt lgkmcnt(0)
	v_fma_f64 v[20:21], -v[18:19], v[20:21], v[46:47]
	v_fma_f64 v[26:27], -v[6:7], v[44:45], v[26:27]
	;; [unrolled: 1-line block ×3, first 2 shown]
	ds_read_b128 v[36:39], v16 offset:992
	ds_read_b128 v[42:45], v16 offset:1008
	v_mul_f64 v[20:21], v[22:23], v[20:21]
	s_waitcnt lgkmcnt(1)
	v_fma_f64 v[22:23], -v[18:19], v[36:37], v[26:27]
	v_fma_f64 v[26:27], -v[20:21], v[56:57], v[46:47]
	ds_read_b128 v[46:49], v16 offset:1120
	ds_read_b128 v[54:57], v16 offset:1136
	;; [unrolled: 1-line block ×5, first 2 shown]
	s_waitcnt lgkmcnt(4)
	v_fma_f64 v[46:47], -v[0:1], v[46:47], v[34:35]
	v_fma_f64 v[38:39], -v[20:21], v[38:39], v[22:23]
	s_waitcnt lgkmcnt(2)
	v_fma_f64 v[30:31], -v[0:1], v[58:59], v[30:31]
	ds_read_b128 v[34:37], v16 offset:1152
	s_waitcnt lgkmcnt(1)
	v_fma_f64 v[66:67], -v[0:1], v[66:67], v[28:29]
	v_mul_f64 v[22:23], v[52:53], v[26:27]
	ds_read_b128 v[50:53], v16 offset:1600
	ds_read_b128 v[70:73], v16 offset:1760
	v_fma_f64 v[78:79], -v[2:3], v[48:49], v[46:47]
	ds_read_b128 v[26:29], v16 offset:2080
	ds_read_b128 v[46:49], v16 offset:2240
	v_fma_f64 v[30:31], -v[2:3], v[60:61], v[30:31]
	s_waitcnt lgkmcnt(2)
	v_fma_f64 v[14:15], -v[0:1], v[70:71], v[14:15]
	v_fma_f64 v[50:51], -v[0:1], v[50:51], v[24:25]
	;; [unrolled: 1-line block ×3, first 2 shown]
	ds_read_b128 v[58:61], v16 offset:1616
	v_fma_f64 v[80:81], -v[2:3], v[68:69], v[66:67]
	ds_read_b128 v[66:69], v16 offset:1776
	s_waitcnt lgkmcnt(3)
	v_fma_f64 v[26:27], -v[0:1], v[26:27], v[12:13]
	v_fma_f64 v[72:73], -v[2:3], v[72:73], v[14:15]
	;; [unrolled: 1-line block ×3, first 2 shown]
	v_mul_f64 v[24:25], v[44:45], v[38:39]
	v_fma_f64 v[38:39], -v[4:5], v[54:55], v[78:79]
	ds_read_b128 v[42:45], v16 offset:1920
	ds_read_b128 v[74:77], v16 offset:1936
	v_fma_f64 v[70:71], -v[2:3], v[52:53], v[50:51]
	ds_read_b128 v[50:53], v16 offset:2016
	v_fma_f64 v[78:79], -v[2:3], v[28:29], v[26:27]
	s_waitcnt lgkmcnt(2)
	v_fma_f64 v[42:43], -v[0:1], v[42:43], v[10:11]
	ds_read_b128 v[10:13], v16 offset:1456
	v_fma_f64 v[64:65], -v[6:7], v[64:65], v[14:15]
	v_fma_f64 v[30:31], -v[6:7], v[56:57], v[38:39]
	v_fma_f64 v[38:39], -v[0:1], v[46:47], v[8:9]
	ds_read_b128 v[26:29], v16 offset:1312
	s_waitcnt lgkmcnt(1)
	v_fma_f64 v[80:81], -v[4:5], v[10:11], v[80:81]
	ds_read_b128 v[8:11], v16 offset:1168
	v_fma_f64 v[62:63], -v[2:3], v[44:45], v[42:43]
	v_fma_f64 v[58:59], -v[4:5], v[58:59], v[70:71]
	s_waitcnt lgkmcnt(1)
	v_fma_f64 v[26:27], -v[18:19], v[26:27], v[64:65]
	v_fma_f64 v[30:31], -v[18:19], v[34:35], v[30:31]
	ds_read_b128 v[42:45], v16 offset:1472
	v_fma_f64 v[64:65], -v[4:5], v[66:67], v[72:73]
	v_fma_f64 v[70:71], -v[6:7], v[12:13], v[80:81]
	ds_read_b128 v[12:15], v16 offset:1328
	v_fma_f64 v[62:63], -v[4:5], v[74:75], v[62:63]
	v_fma_f64 v[72:73], -v[6:7], v[60:61], v[58:59]
	;; [unrolled: 1-line block ×4, first 2 shown]
	ds_read_b128 v[34:37], v16 offset:2096
	ds_read_b128 v[26:29], v16 offset:1952
	s_waitcnt lgkmcnt(3)
	v_fma_f64 v[42:43], -v[18:19], v[42:43], v[70:71]
	ds_read_b128 v[54:57], v16 offset:2256
	ds_read_b128 v[58:61], v16 offset:2112
	s_waitcnt lgkmcnt(3)
	v_fma_f64 v[34:35], -v[4:5], v[34:35], v[78:79]
	v_fma_f64 v[12:13], -v[22:23], v[12:13], v[74:75]
	;; [unrolled: 1-line block ×4, first 2 shown]
	ds_read2_b64 v[46:49], v17 offset0:168 offset1:210
	v_fma_f64 v[30:31], -v[6:7], v[68:69], v[64:65]
	v_fma_f64 v[76:77], -v[6:7], v[76:77], v[62:63]
	ds_read_b128 v[62:65], v16 offset:1632
	ds_read_b128 v[66:69], v16 offset:1648
	v_fma_f64 v[78:79], -v[6:7], v[36:37], v[34:35]
	v_fma_f64 v[74:75], -v[24:25], v[14:15], v[12:13]
	;; [unrolled: 1-line block ×3, first 2 shown]
	s_waitcnt lgkmcnt(1)
	v_fma_f64 v[62:63], -v[18:19], v[62:63], v[72:73]
	v_fma_f64 v[72:73], -v[20:21], v[44:45], v[42:43]
	ds_read_b128 v[8:11], v16 offset:1792
	ds_read_b128 v[34:37], v16 offset:1808
	;; [unrolled: 1-line block ×4, first 2 shown]
	v_fma_f64 v[38:39], -v[4:5], v[54:55], v[38:39]
	s_waitcnt lgkmcnt(3)
	v_fma_f64 v[30:31], -v[18:19], v[8:9], v[30:31]
	v_mul_f64 v[8:9], v[46:47], v[70:71]
	v_fma_f64 v[46:47], -v[20:21], v[64:65], v[62:63]
	s_waitcnt lgkmcnt(1)
	v_fma_f64 v[70:71], -v[22:23], v[12:13], v[72:73]
	v_fma_f64 v[26:27], -v[18:19], v[26:27], v[76:77]
	;; [unrolled: 1-line block ×3, first 2 shown]
	ds_read_b128 v[62:65], v16 offset:1504
	v_fma_f64 v[38:39], -v[6:7], v[56:57], v[38:39]
	v_fma_f64 v[30:31], -v[20:21], v[10:11], v[30:31]
	s_waitcnt lgkmcnt(1)
	v_fma_f64 v[42:43], -v[8:9], v[42:43], v[74:75]
	v_fma_f64 v[46:47], -v[22:23], v[66:67], v[46:47]
	;; [unrolled: 1-line block ×3, first 2 shown]
	ds_read_b128 v[10:13], v16 offset:2272
	v_fma_f64 v[72:73], -v[20:21], v[28:29], v[26:27]
	v_fma_f64 v[66:67], -v[20:21], v[60:61], v[58:59]
	ds_read_b128 v[58:61], v16 offset:2128
	v_fma_f64 v[30:31], -v[22:23], v[34:35], v[30:31]
	s_waitcnt lgkmcnt(1)
	v_fma_f64 v[38:39], -v[18:19], v[10:11], v[38:39]
	v_fma_f64 v[46:47], -v[24:25], v[68:69], v[46:47]
	v_mul_f64 v[10:11], v[44:45], v[42:43]
	ds_read_b128 v[42:45], v16 offset:1664
	v_fma_f64 v[34:35], -v[8:9], v[62:63], v[14:15]
	ds_read_b128 v[54:57], v16 offset:1968
	ds_read_b128 v[26:29], v16 offset:2288
	v_fma_f64 v[30:31], -v[24:25], v[36:37], v[30:31]
	v_fma_f64 v[38:39], -v[20:21], v[12:13], v[38:39]
	ds_read_b128 v[12:15], v16 offset:1680
	s_waitcnt lgkmcnt(3)
	v_fma_f64 v[42:43], -v[8:9], v[42:43], v[46:47]
	s_waitcnt lgkmcnt(2)
	v_fma_f64 v[46:47], -v[22:23], v[54:55], v[72:73]
	v_fma_f64 v[54:55], -v[10:11], v[64:65], v[34:35]
	ds_read_b128 v[34:37], v16 offset:1824
	ds_read_b128 v[62:65], v16 offset:2144
	v_fma_f64 v[58:59], -v[22:23], v[58:59], v[66:67]
	v_add_u32_e32 v17, 0x400, v17
	s_waitcnt lgkmcnt(3)
	v_fma_f64 v[26:27], -v[22:23], v[26:27], v[38:39]
	s_waitcnt lgkmcnt(1)
	v_fma_f64 v[30:31], -v[8:9], v[34:35], v[30:31]
	v_fma_f64 v[66:67], -v[10:11], v[44:45], v[42:43]
	;; [unrolled: 1-line block ×3, first 2 shown]
	v_mul_f64 v[34:35], v[48:49], v[54:55]
	ds_read_b128 v[42:45], v16 offset:1840
	ds_read_b128 v[46:49], v16 offset:1984
	v_fma_f64 v[58:59], -v[24:25], v[60:61], v[58:59]
	ds_read_b128 v[54:57], v16 offset:2000
	v_fma_f64 v[30:31], -v[10:11], v[36:37], v[30:31]
	s_waitcnt lgkmcnt(1)
	v_fma_f64 v[38:39], -v[8:9], v[46:47], v[68:69]
	v_fma_f64 v[12:13], -v[34:35], v[12:13], v[66:67]
	;; [unrolled: 1-line block ×6, first 2 shown]
	v_mul_f64 v[36:37], v[14:15], v[12:13]
	ds_read_b128 v[12:15], v16 offset:2304
	ds_read_b128 v[26:29], v16 offset:2320
	v_fma_f64 v[62:63], -v[10:11], v[64:65], v[58:59]
	s_waitcnt lgkmcnt(1)
	v_fma_f64 v[12:13], -v[8:9], v[12:13], v[46:47]
	v_fma_f64 v[38:39], -v[34:35], v[54:55], v[38:39]
	;; [unrolled: 1-line block ×3, first 2 shown]
	ds_read_b128 v[42:45], v16 offset:2160
	ds_read2_b64 v[46:49], v17 offset0:124 offset1:166
	ds_read_b128 v[58:61], v16 offset:2176
	v_fma_f64 v[14:15], -v[10:11], v[14:15], v[12:13]
	s_waitcnt lgkmcnt(2)
	v_fma_f64 v[42:43], -v[34:35], v[42:43], v[62:63]
	v_fma_f64 v[38:39], -v[36:37], v[56:57], v[38:39]
	s_waitcnt lgkmcnt(1)
	v_mul_f64 v[12:13], v[46:47], v[30:31]
	v_fma_f64 v[14:15], -v[34:35], v[26:27], v[14:15]
	v_fma_f64 v[26:27], -v[36:37], v[44:45], v[42:43]
	;; [unrolled: 1-line block ×4, first 2 shown]
	s_waitcnt lgkmcnt(0)
	v_fma_f64 v[46:47], -v[12:13], v[58:59], v[26:27]
	ds_read_b128 v[26:29], v16 offset:2336
	ds_read_b128 v[42:45], v16 offset:2352
	v_mul_f64 v[14:15], v[52:53], v[30:31]
	s_waitcnt lgkmcnt(1)
	v_fma_f64 v[16:17], -v[12:13], v[26:27], v[38:39]
	v_fma_f64 v[26:27], -v[14:15], v[60:61], v[46:47]
	;; [unrolled: 1-line block ×3, first 2 shown]
	v_mul_f64 v[26:27], v[48:49], v[26:27]
	s_waitcnt lgkmcnt(0)
	v_fma_f64 v[16:17], -v[26:27], v[42:43], v[16:17]
	v_mul_f64 v[28:29], v[44:45], v[16:17]
	global_store_dwordx4 v[32:33], v[0:3], off
	global_store_dwordx4 v[32:33], v[4:7], off offset:16
	global_store_dwordx4 v[32:33], v[18:21], off offset:32
	;; [unrolled: 1-line block ×7, first 2 shown]
.LBB88_19:
	s_cmp_ge_i32 s8, s22
	s_cbranch_scc1 .LBB88_24
; %bb.20:
	s_mul_i32 s2, s8, 0xa0
	s_mov_b32 s9, 0
	s_branch .LBB88_22
.LBB88_21:                              ;   in Loop: Header=BB88_22 Depth=1
	s_mul_i32 s3, s8, 0xa8
	v_mov_b32_e32 v4, s3
	ds_read_b64 v[4:5], v4
	s_add_i32 s8, s8, 1
	s_addk_i32 s2, 0xa0
	s_cmp_ge_i32 s8, s22
	s_waitcnt lgkmcnt(0)
	v_mul_f64 v[2:3], v[4:5], v[2:3]
	global_store_dwordx2 v[0:1], v[2:3], off
	s_cbranch_scc1 .LBB88_24
.LBB88_22:                              ; =>This Loop Header: Depth=1
                                        ;     Child Loop BB88_23 Depth 2
	s_lshl_b64 s[4:5], s[8:9], 3
	v_mov_b32_e32 v1, s5
	v_add_co_u32_e32 v0, vcc, s4, v40
	v_addc_co_u32_e32 v1, vcc, v41, v1, vcc
	global_load_dwordx2 v[2:3], v[0:1], off
	v_mov_b32_e32 v4, v40
	s_cmp_eq_u32 s8, 0
	v_mov_b32_e32 v5, v41
	s_mov_b32 s3, s8
	s_mov_b32 s4, s2
	s_waitcnt vmcnt(0)
	v_mul_f64 v[2:3], s[0:1], v[2:3]
	s_cbranch_scc1 .LBB88_21
.LBB88_23:                              ;   Parent Loop BB88_22 Depth=1
                                        ; =>  This Inner Loop Header: Depth=2
	global_load_dwordx2 v[6:7], v[4:5], off
	v_mov_b32_e32 v8, s4
	ds_read_b64 v[8:9], v8
	s_add_i32 s4, s4, 8
	s_add_i32 s3, s3, -1
	v_add_co_u32_e32 v4, vcc, 8, v4
	s_cmp_lg_u32 s3, 0
	v_addc_co_u32_e32 v5, vcc, 0, v5, vcc
	s_waitcnt vmcnt(0) lgkmcnt(0)
	v_fma_f64 v[2:3], -v[6:7], v[8:9], v[2:3]
	s_cbranch_scc1 .LBB88_23
	s_branch .LBB88_21
.LBB88_24:
	s_mov_b64 s[6:7], 0
.LBB88_25:
	s_and_b64 vcc, exec, s[6:7]
	s_cbranch_vccz .LBB88_47
; %bb.26:
	s_add_i32 s20, s22, -1
	s_cmp_gt_i32 s10, 19
	s_mov_b32 s2, s20
	s_cbranch_scc0 .LBB88_28
; %bb.27:
	global_load_dwordx4 v[0:3], v[40:41], off offset:144
	global_load_dwordx4 v[4:7], v[40:41], off offset:128
	;; [unrolled: 1-line block ×9, first 2 shown]
	global_load_dwordx4 v[42:45], v[40:41], off
	v_mov_b32_e32 v8, 0
	ds_read_b128 v[46:49], v8 offset:3184
	ds_read_b128 v[50:53], v8 offset:3168
	s_movk_i32 s2, 0x800
	v_add_u32_e64 v39, s2, 0
	s_movk_i32 s3, 0x400
	s_mov_b32 s2, -1
	s_waitcnt vmcnt(9)
	v_mul_f64 v[2:3], s[0:1], v[2:3]
	s_waitcnt lgkmcnt(1)
	v_mul_f64 v[2:3], v[48:49], v[2:3]
	v_mul_f64 v[37:38], v[2:3], v[46:47]
	s_waitcnt lgkmcnt(0)
	v_mul_f64 v[70:71], v[2:3], v[52:53]
	v_mul_f64 v[72:73], v[2:3], v[50:51]
	ds_read_b128 v[46:49], v8 offset:3152
	ds_read_b128 v[50:53], v8 offset:3136
	;; [unrolled: 1-line block ×6, first 2 shown]
	s_waitcnt lgkmcnt(5)
	v_mul_f64 v[46:47], v[2:3], v[46:47]
	s_waitcnt lgkmcnt(4)
	v_mul_f64 v[50:51], v[2:3], v[50:51]
	;; [unrolled: 2-line block ×4, first 2 shown]
	v_fma_f64 v[0:1], s[0:1], v[0:1], -v[37:38]
	v_mul_f64 v[37:38], v[2:3], v[48:49]
	v_mul_f64 v[48:49], v[2:3], v[52:53]
	;; [unrolled: 1-line block ×4, first 2 shown]
	s_waitcnt lgkmcnt(1)
	v_mul_f64 v[62:63], v[2:3], v[62:63]
	s_waitcnt vmcnt(8)
	v_fma_f64 v[74:75], s[0:1], v[6:7], -v[70:71]
	v_fma_f64 v[76:77], s[0:1], v[4:5], -v[72:73]
	ds_read_b128 v[4:7], v8 offset:3056
	ds_read_b128 v[70:73], v8 offset:3040
	s_waitcnt vmcnt(7)
	v_fma_f64 v[60:61], s[0:1], v[11:12], -v[37:38]
	v_mul_f64 v[37:38], v[2:3], v[64:65]
	v_fma_f64 v[46:47], s[0:1], v[9:10], -v[46:47]
	s_waitcnt vmcnt(6)
	v_fma_f64 v[48:49], s[0:1], v[15:16], -v[48:49]
	v_fma_f64 v[50:51], s[0:1], v[13:14], -v[50:51]
	ds_read_b128 v[9:12], v8 offset:3008
	ds_read_b128 v[13:16], v8 offset:2992
	s_waitcnt vmcnt(5)
	v_fma_f64 v[52:53], s[0:1], v[19:20], -v[52:53]
	v_fma_f64 v[54:55], s[0:1], v[17:18], -v[54:55]
	s_waitcnt vmcnt(4)
	v_fma_f64 v[56:57], s[0:1], v[23:24], -v[56:57]
	v_fma_f64 v[58:59], s[0:1], v[21:22], -v[58:59]
	ds_read_b128 v[17:20], v8 offset:2976
	ds_read_b128 v[21:24], v8 offset:2960
	s_waitcnt lgkmcnt(6)
	v_mul_f64 v[64:65], v[2:3], v[68:69]
	s_waitcnt vmcnt(3)
	v_fma_f64 v[68:69], s[0:1], v[27:28], -v[37:38]
	v_fma_f64 v[62:63], s[0:1], v[25:26], -v[62:63]
	ds_read2_b64 v[25:28], v39 offset0:80 offset1:122
	s_waitcnt lgkmcnt(5)
	v_mul_f64 v[70:71], v[2:3], v[70:71]
	v_mul_f64 v[66:67], v[2:3], v[66:67]
	;; [unrolled: 1-line block ×4, first 2 shown]
	s_waitcnt lgkmcnt(0)
	v_mul_f64 v[0:1], v[27:28], v[0:1]
	v_mul_f64 v[72:73], v[2:3], v[72:73]
	s_waitcnt vmcnt(2)
	v_fma_f64 v[64:65], s[0:1], v[31:32], -v[64:65]
	s_waitcnt vmcnt(0)
	v_fma_f64 v[70:71], s[0:1], v[42:43], -v[70:71]
	v_fma_f64 v[66:67], s[0:1], v[29:30], -v[66:67]
	ds_read_b128 v[4:7], v8 offset:2944
	ds_read_b128 v[27:30], v8 offset:2928
	v_fma_f64 v[80:81], s[0:1], v[35:36], -v[37:38]
	v_fma_f64 v[42:43], -v[0:1], v[11:12], v[74:75]
	v_fma_f64 v[78:79], s[0:1], v[33:34], -v[78:79]
	ds_read_b128 v[31:34], v8 offset:2880
	ds_read_b128 v[35:38], v8 offset:2848
	v_fma_f64 v[72:73], s[0:1], v[44:45], -v[72:73]
	v_fma_f64 v[44:45], -v[0:1], v[9:10], v[76:77]
	v_fma_f64 v[50:51], -v[0:1], v[17:18], v[50:51]
	v_fma_f64 v[60:61], -v[0:1], v[15:16], v[60:61]
	v_fma_f64 v[52:53], -v[0:1], v[23:24], v[52:53]
	s_waitcnt lgkmcnt(0)
	v_mul_f64 v[17:18], v[37:38], v[42:43]
	v_fma_f64 v[74:75], -v[0:1], v[13:14], v[46:47]
	ds_read_b128 v[9:12], v8 offset:2912
	ds_read_b128 v[13:16], v8 offset:2896
	v_fma_f64 v[76:77], -v[0:1], v[19:20], v[48:49]
	v_fma_f64 v[54:55], -v[0:1], v[21:22], v[54:55]
	;; [unrolled: 1-line block ×4, first 2 shown]
	ds_read_b128 v[4:7], v8 offset:2832
	ds_read_b128 v[19:22], v8 offset:2816
	v_fma_f64 v[23:24], -v[17:18], v[35:36], v[44:45]
	s_waitcnt lgkmcnt(2)
	v_fma_f64 v[80:81], -v[0:1], v[15:16], v[80:81]
	v_fma_f64 v[68:69], -v[0:1], v[29:30], v[68:69]
	s_waitcnt lgkmcnt(1)
	v_fma_f64 v[60:61], -v[17:18], v[6:7], v[60:61]
	v_fma_f64 v[62:63], -v[0:1], v[27:28], v[62:63]
	ds_read_b128 v[27:30], v8 offset:2800
	ds_read_b128 v[35:38], v8 offset:2784
	v_fma_f64 v[64:65], -v[0:1], v[11:12], v[64:65]
	v_fma_f64 v[66:67], -v[0:1], v[9:10], v[66:67]
	v_mul_f64 v[15:16], v[25:26], v[23:24]
	ds_read_b128 v[9:12], v8 offset:2768
	ds_read_b128 v[42:45], v8 offset:2752
	;; [unrolled: 1-line block ×4, first 2 shown]
	v_fma_f64 v[72:73], -v[0:1], v[33:34], v[72:73]
	v_fma_f64 v[70:71], -v[0:1], v[31:32], v[70:71]
	;; [unrolled: 1-line block ×3, first 2 shown]
	ds_read_b128 v[4:7], v8 offset:2672
	ds_read_b128 v[31:34], v8 offset:2656
	s_waitcnt lgkmcnt(8)
	v_fma_f64 v[76:77], -v[17:18], v[21:22], v[76:77]
	v_fma_f64 v[50:51], -v[17:18], v[19:20], v[50:51]
	s_waitcnt lgkmcnt(7)
	v_fma_f64 v[52:53], -v[17:18], v[29:30], v[52:53]
	s_waitcnt lgkmcnt(1)
	v_fma_f64 v[6:7], -v[15:16], v[6:7], v[60:61]
	v_fma_f64 v[54:55], -v[17:18], v[27:28], v[54:55]
	ds_read_b128 v[19:22], v8 offset:2512
	ds_read_b128 v[27:30], v8 offset:2496
	v_fma_f64 v[4:5], -v[15:16], v[4:5], v[74:75]
	v_fma_f64 v[60:61], -v[17:18], v[11:12], v[68:69]
	s_waitcnt lgkmcnt(2)
	v_fma_f64 v[68:69], -v[15:16], v[33:34], v[76:77]
	v_fma_f64 v[13:14], -v[0:1], v[13:14], v[78:79]
	;; [unrolled: 1-line block ×3, first 2 shown]
	s_waitcnt lgkmcnt(1)
	v_mul_f64 v[6:7], v[21:22], v[6:7]
	v_add_u32_e64 v21, s3, 0
	v_fma_f64 v[58:59], -v[17:18], v[35:36], v[58:59]
	v_fma_f64 v[62:63], -v[17:18], v[9:10], v[62:63]
	ds_read_b128 v[9:12], v8 offset:2640
	ds_read_b128 v[35:38], v8 offset:2624
	v_fma_f64 v[64:65], -v[17:18], v[44:45], v[64:65]
	v_fma_f64 v[66:67], -v[17:18], v[42:43], v[66:67]
	ds_read2_b64 v[42:45], v21 offset0:124 offset1:166
	v_fma_f64 v[4:5], -v[6:7], v[19:20], v[4:5]
	v_fma_f64 v[76:77], -v[15:16], v[31:32], v[50:51]
	s_waitcnt lgkmcnt(3)
	v_fma_f64 v[68:69], -v[6:7], v[29:30], v[68:69]
	v_fma_f64 v[74:75], -v[17:18], v[25:26], v[80:81]
	;; [unrolled: 1-line block ×3, first 2 shown]
	ds_read_b128 v[19:22], v8 offset:2608
	ds_read_b128 v[23:26], v8 offset:2592
	;; [unrolled: 1-line block ×3, first 2 shown]
	s_waitcnt lgkmcnt(5)
	v_fma_f64 v[78:79], -v[15:16], v[11:12], v[52:53]
	s_waitcnt lgkmcnt(3)
	v_mul_f64 v[4:5], v[44:45], v[4:5]
	v_fma_f64 v[76:77], -v[6:7], v[27:28], v[76:77]
	v_fma_f64 v[72:73], -v[17:18], v[48:49], v[72:73]
	;; [unrolled: 1-line block ×3, first 2 shown]
	ds_read_b128 v[44:47], v8 offset:2576
	ds_read_b128 v[48:51], v8 offset:2560
	v_fma_f64 v[80:81], -v[15:16], v[35:36], v[58:59]
	ds_read_b128 v[27:30], v8 offset:2320
	s_waitcnt lgkmcnt(5)
	v_fma_f64 v[82:83], -v[15:16], v[21:22], v[60:61]
	s_waitcnt lgkmcnt(3)
	v_fma_f64 v[52:53], -v[4:5], v[33:34], v[68:69]
	v_fma_f64 v[68:69], -v[15:16], v[9:10], v[54:55]
	ds_read_b128 v[9:12], v8 offset:2176
	ds_read_b128 v[33:36], v8 offset:2240
	v_fma_f64 v[31:32], -v[4:5], v[31:32], v[76:77]
	v_fma_f64 v[76:77], -v[15:16], v[19:20], v[62:63]
	;; [unrolled: 1-line block ×4, first 2 shown]
	s_waitcnt lgkmcnt(1)
	v_mul_f64 v[11:12], v[11:12], v[52:53]
	ds_read_b128 v[19:22], v8 offset:2480
	ds_read_b128 v[23:26], v8 offset:2464
	v_fma_f64 v[37:38], -v[15:16], v[37:38], v[56:57]
	v_fma_f64 v[74:75], -v[15:16], v[46:47], v[74:75]
	;; [unrolled: 1-line block ×3, first 2 shown]
	s_waitcnt lgkmcnt(1)
	v_fma_f64 v[68:69], -v[6:7], v[19:20], v[68:69]
	ds_read_b128 v[44:47], v8 offset:2448
	ds_read_b128 v[52:55], v8 offset:2432
	v_fma_f64 v[72:73], -v[15:16], v[50:51], v[72:73]
	v_fma_f64 v[9:10], -v[11:12], v[9:10], v[31:32]
	;; [unrolled: 1-line block ×4, first 2 shown]
	ds_read_b128 v[19:22], v8 offset:2416
	ds_read_b128 v[48:51], v8 offset:2400
	;; [unrolled: 1-line block ×4, first 2 shown]
	s_waitcnt lgkmcnt(6)
	v_fma_f64 v[37:38], -v[6:7], v[25:26], v[37:38]
	v_fma_f64 v[78:79], -v[6:7], v[23:24], v[80:81]
	ds_read_b128 v[23:26], v8 offset:2160
	v_mul_f64 v[9:10], v[42:43], v[9:10]
	v_fma_f64 v[42:43], -v[4:5], v[29:30], v[31:32]
	s_waitcnt lgkmcnt(6)
	v_fma_f64 v[80:81], -v[6:7], v[46:47], v[82:83]
	ds_read_b128 v[29:32], v8 offset:2144
	v_fma_f64 v[46:47], -v[4:5], v[27:28], v[68:69]
	v_fma_f64 v[76:77], -v[6:7], v[44:45], v[76:77]
	s_waitcnt lgkmcnt(3)
	v_fma_f64 v[37:38], -v[4:5], v[58:59], v[37:38]
	v_fma_f64 v[64:65], -v[6:7], v[54:55], v[64:65]
	;; [unrolled: 1-line block ×3, first 2 shown]
	s_waitcnt lgkmcnt(1)
	v_fma_f64 v[68:69], -v[11:12], v[25:26], v[42:43]
	ds_read_b128 v[25:28], v8 offset:2000
	ds_read_b128 v[42:45], v8 offset:1984
	v_fma_f64 v[74:75], -v[6:7], v[21:22], v[74:75]
	v_fma_f64 v[23:24], -v[11:12], v[23:24], v[46:47]
	;; [unrolled: 1-line block ×3, first 2 shown]
	ds_read_b128 v[19:22], v8 offset:1840
	ds_read_b128 v[52:55], v8 offset:1824
	s_waitcnt lgkmcnt(4)
	v_fma_f64 v[31:32], -v[11:12], v[31:32], v[37:38]
	v_fma_f64 v[70:71], -v[6:7], v[48:49], v[70:71]
	s_waitcnt lgkmcnt(3)
	v_fma_f64 v[27:28], -v[9:10], v[27:28], v[68:69]
	v_fma_f64 v[68:69], -v[6:7], v[50:51], v[72:73]
	;; [unrolled: 1-line block ×4, first 2 shown]
	ds_read_b128 v[23:26], v8 offset:2272
	ds_read_b128 v[46:49], v8 offset:2256
	v_fma_f64 v[78:79], -v[4:5], v[62:63], v[80:81]
	s_waitcnt lgkmcnt(4)
	v_fma_f64 v[31:32], -v[9:10], v[44:45], v[31:32]
	v_fma_f64 v[76:77], -v[4:5], v[60:61], v[76:77]
	s_waitcnt lgkmcnt(3)
	v_mul_f64 v[21:22], v[21:22], v[27:28]
	s_waitcnt lgkmcnt(1)
	v_fma_f64 v[66:67], -v[4:5], v[23:24], v[66:67]
	v_fma_f64 v[37:38], -v[11:12], v[29:30], v[50:51]
	ds_read_b128 v[27:30], v8 offset:2128
	ds_read_b128 v[56:59], v8 offset:2112
	ds_read2_b64 v[60:63], v8 offset0:168 offset1:210
	s_waitcnt lgkmcnt(3)
	v_fma_f64 v[74:75], -v[4:5], v[48:49], v[74:75]
	v_fma_f64 v[13:14], -v[4:5], v[46:47], v[13:14]
	;; [unrolled: 1-line block ×7, first 2 shown]
	ds_read_b128 v[23:26], v8 offset:2096
	ds_read_b128 v[44:47], v8 offset:2080
	s_waitcnt lgkmcnt(4)
	v_fma_f64 v[78:79], -v[11:12], v[29:30], v[78:79]
	v_fma_f64 v[76:77], -v[11:12], v[27:28], v[76:77]
	;; [unrolled: 1-line block ×3, first 2 shown]
	s_waitcnt lgkmcnt(2)
	v_mul_f64 v[19:20], v[62:63], v[19:20]
	ds_read_b128 v[48:51], v8 offset:1968
	ds_read_b128 v[62:65], v8 offset:1952
	ds_read_b128 v[31:34], v8 offset:1664
	ds_read_b128 v[27:30], v8 offset:1648
	v_fma_f64 v[37:38], -v[21:22], v[52:53], v[37:38]
	v_fma_f64 v[56:57], -v[11:12], v[56:57], v[66:67]
	s_waitcnt lgkmcnt(3)
	v_fma_f64 v[66:67], -v[9:10], v[50:51], v[78:79]
	v_fma_f64 v[58:59], -v[11:12], v[58:59], v[72:73]
	s_waitcnt lgkmcnt(1)
	v_fma_f64 v[42:43], -v[19:20], v[33:34], v[42:43]
	ds_read_b128 v[33:36], v8 offset:1504
	ds_read_b128 v[52:55], v8 offset:1600
	v_fma_f64 v[72:73], -v[11:12], v[25:26], v[74:75]
	v_fma_f64 v[13:14], -v[11:12], v[23:24], v[13:14]
	;; [unrolled: 1-line block ×4, first 2 shown]
	ds_read_b128 v[48:51], v8 offset:1792
	v_fma_f64 v[68:69], -v[11:12], v[46:47], v[68:69]
	s_waitcnt lgkmcnt(2)
	v_mul_f64 v[25:26], v[35:36], v[42:43]
	ds_read_b128 v[35:38], v8 offset:1808
	v_fma_f64 v[74:75], -v[9:10], v[64:65], v[58:59]
	v_fma_f64 v[70:71], -v[11:12], v[44:45], v[70:71]
	;; [unrolled: 1-line block ×3, first 2 shown]
	s_waitcnt lgkmcnt(0)
	v_fma_f64 v[46:47], -v[21:22], v[37:38], v[66:67]
	v_fma_f64 v[76:77], -v[21:22], v[35:36], v[23:24]
	;; [unrolled: 1-line block ×3, first 2 shown]
	ds_read_b128 v[31:34], v8 offset:1936
	ds_read_b128 v[42:45], v8 offset:1920
	;; [unrolled: 1-line block ×4, first 2 shown]
	v_fma_f64 v[50:51], -v[21:22], v[50:51], v[74:75]
	v_fma_f64 v[74:75], -v[21:22], v[48:49], v[78:79]
	s_waitcnt lgkmcnt(3)
	v_fma_f64 v[72:73], -v[9:10], v[33:34], v[72:73]
	v_fma_f64 v[46:47], -v[19:20], v[29:30], v[46:47]
	;; [unrolled: 1-line block ×3, first 2 shown]
	v_mul_f64 v[23:24], v[60:61], v[66:67]
	ds_read_b128 v[60:63], v8 offset:1488
	ds_read_b128 v[64:67], v8 offset:1472
	;; [unrolled: 1-line block ×3, first 2 shown]
	v_fma_f64 v[13:14], -v[9:10], v[31:32], v[13:14]
	s_waitcnt lgkmcnt(5)
	v_fma_f64 v[68:69], -v[9:10], v[44:45], v[68:69]
	v_fma_f64 v[70:71], -v[9:10], v[42:43], v[70:71]
	s_waitcnt lgkmcnt(2)
	v_fma_f64 v[80:81], -v[25:26], v[62:63], v[46:47]
	ds_read_b128 v[31:34], v8 offset:1632
	ds_read_b128 v[46:49], v8 offset:1616
	v_fma_f64 v[76:77], -v[25:26], v[60:61], v[76:77]
	ds_read_b128 v[42:45], v8 offset:1168
	v_fma_f64 v[72:73], -v[21:22], v[37:38], v[72:73]
	s_waitcnt lgkmcnt(2)
	v_fma_f64 v[50:51], -v[19:20], v[33:34], v[50:51]
	v_fma_f64 v[74:75], -v[19:20], v[31:32], v[74:75]
	ds_read_b128 v[60:63], v8 offset:1312
	v_fma_f64 v[78:79], -v[23:24], v[29:30], v[80:81]
	ds_read_b128 v[29:32], v8 offset:1152
	v_fma_f64 v[27:28], -v[23:24], v[27:28], v[76:77]
	v_fma_f64 v[13:14], -v[21:22], v[35:36], v[13:14]
	s_waitcnt lgkmcnt(3)
	v_fma_f64 v[72:73], -v[19:20], v[48:49], v[72:73]
	v_fma_f64 v[50:51], -v[25:26], v[66:67], v[50:51]
	;; [unrolled: 1-line block ×3, first 2 shown]
	ds_read_b128 v[35:38], v8 offset:1456
	ds_read_b128 v[64:67], v8 offset:1440
	s_waitcnt lgkmcnt(4)
	v_mul_f64 v[33:34], v[44:45], v[78:79]
	v_fma_f64 v[76:77], -v[21:22], v[58:59], v[68:69]
	v_fma_f64 v[78:79], -v[21:22], v[56:57], v[70:71]
	;; [unrolled: 1-line block ×3, first 2 shown]
	s_waitcnt lgkmcnt(1)
	v_fma_f64 v[72:73], -v[25:26], v[37:38], v[72:73]
	v_fma_f64 v[50:51], -v[23:24], v[62:63], v[50:51]
	;; [unrolled: 1-line block ×4, first 2 shown]
	ds_read2_b64 v[42:45], v8 offset0:84 offset1:126
	ds_read_b128 v[46:49], v8 offset:1296
	ds_read_b128 v[56:59], v8 offset:1280
	;; [unrolled: 1-line block ×4, first 2 shown]
	v_fma_f64 v[13:14], -v[25:26], v[35:36], v[13:14]
	v_fma_f64 v[50:51], -v[33:34], v[31:32], v[50:51]
	ds_read_b128 v[35:38], v8 offset:992
	v_fma_f64 v[54:55], -v[19:20], v[54:55], v[76:77]
	s_waitcnt lgkmcnt(5)
	v_mul_f64 v[31:32], v[44:45], v[27:28]
	s_waitcnt lgkmcnt(4)
	v_fma_f64 v[72:73], -v[23:24], v[48:49], v[72:73]
	v_fma_f64 v[74:75], -v[33:34], v[29:30], v[74:75]
	ds_read_b128 v[27:30], v8 offset:976
	v_fma_f64 v[13:14], -v[23:24], v[46:47], v[13:14]
	v_fma_f64 v[52:53], -v[19:20], v[52:53], v[78:79]
	;; [unrolled: 1-line block ×3, first 2 shown]
	s_waitcnt lgkmcnt(1)
	v_fma_f64 v[37:38], -v[31:32], v[37:38], v[50:51]
	ds_read_b128 v[44:47], v8 offset:832
	ds_read_b128 v[48:51], v8 offset:960
	v_fma_f64 v[62:63], -v[33:34], v[62:63], v[72:73]
	v_fma_f64 v[35:36], -v[31:32], v[35:36], v[74:75]
	;; [unrolled: 1-line block ×5, first 2 shown]
	s_waitcnt lgkmcnt(1)
	v_mul_f64 v[37:38], v[46:47], v[37:38]
	v_fma_f64 v[29:30], -v[31:32], v[29:30], v[62:63]
	v_fma_f64 v[13:14], -v[31:32], v[27:28], v[13:14]
	;; [unrolled: 1-line block ×5, first 2 shown]
	ds_read_b128 v[44:47], v8 offset:816
	ds_read_b128 v[52:55], v8 offset:800
	s_waitcnt lgkmcnt(1)
	v_fma_f64 v[46:47], -v[37:38], v[46:47], v[29:30]
	ds_read_b128 v[27:30], v8 offset:656
	ds_read_b128 v[56:59], v8 offset:640
	v_fma_f64 v[64:65], -v[33:34], v[68:69], v[60:61]
	v_mul_f64 v[35:36], v[42:43], v[35:36]
	v_fma_f64 v[50:51], -v[31:32], v[50:51], v[62:63]
	v_fma_f64 v[13:14], -v[37:38], v[44:45], v[13:14]
	ds_read_b128 v[42:45], v8 offset:496
	ds_read_b128 v[60:63], v8 offset:480
	s_waitcnt lgkmcnt(3)
	v_fma_f64 v[29:30], -v[35:36], v[29:30], v[46:47]
	v_fma_f64 v[46:47], -v[31:32], v[48:49], v[64:65]
	;; [unrolled: 1-line block ×4, first 2 shown]
	s_waitcnt lgkmcnt(1)
	v_mul_f64 v[29:30], v[44:45], v[29:30]
	v_fma_f64 v[27:28], -v[37:38], v[52:53], v[46:47]
	v_fma_f64 v[46:47], -v[35:36], v[58:59], v[48:49]
	;; [unrolled: 1-line block ×3, first 2 shown]
	ds_read2_b64 v[42:45], v8 offset1:42
	v_fma_f64 v[52:53], -v[35:36], v[56:57], v[27:28]
	s_waitcnt lgkmcnt(1)
	v_fma_f64 v[54:55], -v[29:30], v[62:63], v[46:47]
	s_waitcnt lgkmcnt(0)
	v_mul_f64 v[27:28], v[44:45], v[13:14]
	ds_read_b128 v[44:47], v8 offset:320
	ds_read_b128 v[48:51], v8 offset:160
	v_fma_f64 v[13:14], -v[29:30], v[60:61], v[52:53]
	global_store_dwordx4 v[40:41], v[0:3], off offset:144
	global_store_dwordx4 v[40:41], v[15:18], off offset:128
	s_waitcnt lgkmcnt(1)
	v_fma_f64 v[46:47], -v[27:28], v[46:47], v[54:55]
	v_fma_f64 v[13:14], -v[27:28], v[44:45], v[13:14]
	s_waitcnt lgkmcnt(0)
	v_mul_f64 v[44:45], v[50:51], v[46:47]
	v_fma_f64 v[13:14], -v[44:45], v[48:49], v[13:14]
	v_mul_f64 v[42:43], v[42:43], v[13:14]
	global_store_dwordx4 v[40:41], v[4:7], off offset:112
	global_store_dwordx4 v[40:41], v[9:12], off offset:96
	;; [unrolled: 1-line block ×7, first 2 shown]
	global_store_dwordx4 v[40:41], v[42:45], off
.LBB88_28:
	s_cmp_gt_i32 s2, -1
	s_cbranch_scc0 .LBB88_47
; %bb.29:
	s_cmp_lt_u32 s2, 15
	s_cbranch_scc1 .LBB88_34
; %bb.30:
	s_mov_b32 s5, 0
	s_mov_b32 s3, s5
	s_lshl_b64 s[6:7], s[2:3], 3
	v_mov_b32_e32 v0, s7
	v_add_co_u32_e32 v4, vcc, s6, v40
	v_addc_co_u32_e32 v5, vcc, v41, v0, vcc
	global_load_dwordx4 v[0:3], v[4:5], off offset:-8
	global_load_dwordx4 v[6:9], v[4:5], off offset:-24
	;; [unrolled: 1-line block ×8, first 2 shown]
	s_cmp_le_i32 s20, s2
	s_waitcnt vmcnt(7)
	v_mul_f64 v[2:3], s[0:1], v[2:3]
	v_mul_f64 v[0:1], s[0:1], v[0:1]
	s_waitcnt vmcnt(6)
	v_mul_f64 v[32:33], s[0:1], v[8:9]
	v_mul_f64 v[42:43], s[0:1], v[6:7]
	;; [unrolled: 3-line block ×8, first 2 shown]
	s_cbranch_scc1 .LBB88_33
; %bb.31:
	s_mul_i32 s3, s22, 0xa0
	s_lshl_b32 s4, s2, 3
	s_add_i32 s3, s3, s4
	s_addk_i32 s3, 0xfee8
	s_mov_b32 s4, s20
.LBB88_32:                              ; =>This Inner Loop Header: Depth=1
	s_lshl_b64 s[6:7], s[4:5], 3
	v_mov_b32_e32 v27, s7
	v_add_co_u32_e32 v26, vcc, s6, v40
	v_addc_co_u32_e32 v27, vcc, v41, v27, vcc
	global_load_dwordx2 v[30:31], v[26:27], off
	v_mov_b32_e32 v34, s3
	ds_read2_b64 v[26:29], v34 offset0:14 offset1:15
	ds_read2_b64 v[44:47], v34 offset0:12 offset1:13
	;; [unrolled: 1-line block ×7, first 2 shown]
	ds_read2_b64 v[68:71], v34 offset1:1
	s_add_i32 s4, s4, -1
	s_addk_i32 s3, 0xff60
	s_cmp_gt_i32 s4, s2
	s_waitcnt vmcnt(0) lgkmcnt(7)
	v_fma_f64 v[2:3], -v[30:31], v[28:29], v[2:3]
	v_fma_f64 v[0:1], -v[30:31], v[26:27], v[0:1]
	s_waitcnt lgkmcnt(6)
	v_fma_f64 v[32:33], -v[30:31], v[46:47], v[32:33]
	v_fma_f64 v[42:43], -v[30:31], v[44:45], v[42:43]
	s_waitcnt lgkmcnt(5)
	;; [unrolled: 3-line block ×7, first 2 shown]
	v_fma_f64 v[8:9], -v[30:31], v[70:71], v[8:9]
	v_fma_f64 v[6:7], -v[30:31], v[68:69], v[6:7]
	s_cbranch_scc1 .LBB88_32
.LBB88_33:
	s_add_i32 s4, s2, -1
	s_lshl_b32 s6, s4, 3
	s_mul_i32 s3, s2, 0xa0
	s_add_i32 s5, s6, s3
	v_mov_b32_e32 v26, s5
	ds_read2_b64 v[44:47], v26 offset1:1
	s_add_i32 s5, s3, 0xffffff60
	s_add_i32 s6, s6, s5
	v_mov_b32_e32 v26, s6
	ds_read_b64 v[28:29], v26
	s_waitcnt lgkmcnt(1)
	v_mul_f64 v[26:27], v[46:47], v[2:3]
	s_add_i32 s6, s2, -3
	s_lshl_b32 s9, s6, 3
	s_add_i32 s7, s9, s3
	s_add_i32 s8, s2, -5
	v_mov_b32_e32 v2, s7
	s_lshl_b32 s7, s8, 3
	s_add_i32 s11, s7, s3
	v_fma_f64 v[30:31], -v[26:27], v[44:45], v[0:1]
	ds_read2_b64 v[46:49], v2 offset1:1
	v_mov_b32_e32 v0, s11
	ds_read2_b64 v[50:53], v0 offset1:1
	s_add_i32 s10, s9, s5
	s_add_i32 s12, s2, -7
	v_mov_b32_e32 v0, s10
	s_add_i32 s10, s7, s5
	s_lshl_b32 s13, s12, 3
	s_waitcnt lgkmcnt(1)
	v_fma_f64 v[34:35], -v[26:27], v[48:49], v[32:33]
	v_fma_f64 v[32:33], -v[26:27], v[46:47], v[42:43]
	v_mov_b32_e32 v42, s10
	s_add_i32 s10, s13, s3
	v_mul_f64 v[58:59], v[28:29], v[30:31]
	s_waitcnt lgkmcnt(0)
	v_fma_f64 v[54:55], -v[26:27], v[52:53], v[36:37]
	v_mov_b32_e32 v36, s10
	ds_read2_b64 v[42:45], v42 offset1:1
	v_fma_f64 v[56:57], -v[26:27], v[50:51], v[38:39]
	ds_read2_b64 v[36:39], v36 offset1:1
	s_add_i32 s10, s2, -9
	ds_read2_b64 v[0:3], v0 offset1:1
	s_lshl_b32 s11, s10, 3
	s_add_i32 s14, s11, s3
	v_mov_b32_e32 v28, s14
	s_add_i32 s14, s13, s5
	s_add_i32 s26, s3, 0xfffffec0
	v_mov_b32_e32 v46, s14
	s_add_i32 s14, s9, s26
	s_waitcnt lgkmcnt(1)
	v_fma_f64 v[38:39], -v[26:27], v[38:39], v[24:25]
	v_mov_b32_e32 v24, s14
	ds_read2_b64 v[50:53], v24 offset1:1
	s_waitcnt lgkmcnt(1)
	v_fma_f64 v[2:3], -v[58:59], v[2:3], v[34:35]
	v_fma_f64 v[24:25], -v[58:59], v[0:1], v[32:33]
	ds_read2_b64 v[28:31], v28 offset1:1
	s_add_i32 s24, s3, 0xfffffe20
	s_add_i32 s9, s9, s24
	v_mov_b32_e32 v0, s9
	s_add_i32 s9, s11, s5
	v_fma_f64 v[44:45], -v[58:59], v[44:45], v[54:55]
	s_waitcnt lgkmcnt(1)
	v_mul_f64 v[52:53], v[52:53], v[2:3]
	ds_read_b64 v[34:35], v0
	v_mov_b32_e32 v0, s9
	s_add_i32 s9, s7, s26
	v_fma_f64 v[36:37], -v[26:27], v[36:37], v[20:21]
	v_mov_b32_e32 v20, s9
	ds_read2_b64 v[0:3], v0 offset1:1
	s_waitcnt lgkmcnt(2)
	v_fma_f64 v[60:61], -v[26:27], v[30:31], v[22:23]
	v_fma_f64 v[24:25], -v[52:53], v[50:51], v[24:25]
	ds_read2_b64 v[20:23], v20 offset1:1
	v_fma_f64 v[42:43], -v[58:59], v[42:43], v[56:57]
	s_add_i32 s9, s7, s24
	v_mov_b32_e32 v30, s9
	ds_read2_b64 v[46:49], v46 offset1:1
	s_waitcnt lgkmcnt(1)
	v_fma_f64 v[44:45], -v[52:53], v[22:23], v[44:45]
	ds_read2_b64 v[30:33], v30 offset1:1
	v_mul_f64 v[50:51], v[34:35], v[24:25]
	s_add_i32 s16, s2, -11
	s_lshl_b32 s17, s16, 3
	s_add_i32 s9, s17, s3
	v_mov_b32_e32 v22, s9
	s_add_i32 s9, s17, s5
	ds_read2_b64 v[22:25], v22 offset1:1
	v_fma_f64 v[54:55], -v[26:27], v[28:29], v[18:19]
	v_mov_b32_e32 v56, s9
	v_fma_f64 v[28:29], -v[52:53], v[20:21], v[42:43]
	s_waitcnt lgkmcnt(1)
	v_fma_f64 v[42:43], -v[50:51], v[32:33], v[44:45]
	v_fma_f64 v[38:39], -v[58:59], v[48:49], v[38:39]
	s_add_i32 s9, s13, s26
	s_add_i32 s15, s3, 0xfffffd80
	v_mov_b32_e32 v32, s9
	s_add_i32 s9, s7, s15
	v_mov_b32_e32 v18, s9
	v_fma_f64 v[36:37], -v[58:59], v[46:47], v[36:37]
	ds_read2_b64 v[18:21], v18 offset1:1
	ds_read2_b64 v[32:35], v32 offset1:1
	v_fma_f64 v[44:45], -v[50:51], v[30:31], v[28:29]
	s_add_i32 s19, s3, 0xfffffce0
	s_add_i32 s9, s13, s24
	s_waitcnt lgkmcnt(1)
	v_mul_f64 v[42:43], v[20:21], v[42:43]
	s_waitcnt lgkmcnt(0)
	v_fma_f64 v[20:21], -v[52:53], v[34:35], v[38:39]
	s_add_i32 s7, s7, s19
	v_mov_b32_e32 v28, s9
	v_mov_b32_e32 v29, s7
	ds_read_b64 v[46:47], v29
	v_fma_f64 v[36:37], -v[52:53], v[32:33], v[36:37]
	ds_read2_b64 v[32:35], v56 offset1:1
	ds_read2_b64 v[28:31], v28 offset1:1
	s_add_i32 s7, s13, s15
	v_fma_f64 v[38:39], -v[26:27], v[24:25], v[14:15]
	v_mov_b32_e32 v14, s7
	v_fma_f64 v[48:49], -v[26:27], v[22:23], v[16:17]
	v_fma_f64 v[22:23], -v[42:43], v[18:19], v[44:45]
	ds_read2_b64 v[14:17], v14 offset1:1
	s_waitcnt lgkmcnt(1)
	v_fma_f64 v[24:25], -v[50:51], v[30:31], v[20:21]
	v_fma_f64 v[30:31], -v[58:59], v[2:3], v[60:61]
	;; [unrolled: 1-line block ×3, first 2 shown]
	s_add_i32 s9, s13, s19
	v_fma_f64 v[36:37], -v[58:59], v[0:1], v[54:55]
	s_add_i32 s7, s11, s26
	v_mov_b32_e32 v18, s9
	v_mov_b32_e32 v0, s7
	ds_read2_b64 v[0:3], v0 offset1:1
	ds_read2_b64 v[18:21], v18 offset1:1
	s_waitcnt lgkmcnt(2)
	v_fma_f64 v[16:17], -v[42:43], v[16:17], v[24:25]
	v_mul_f64 v[44:45], v[46:47], v[22:23]
	s_add_i32 s7, s11, s24
	s_waitcnt lgkmcnt(1)
	v_fma_f64 v[2:3], -v[52:53], v[2:3], v[30:31]
	v_mov_b32_e32 v22, s7
	v_fma_f64 v[0:1], -v[52:53], v[0:1], v[36:37]
	ds_read2_b64 v[22:25], v22 offset1:1
	s_add_i32 s14, s2, -13
	s_lshl_b32 s23, s14, 3
	s_add_i32 s7, s23, s3
	v_fma_f64 v[28:29], -v[42:43], v[14:15], v[28:29]
	s_waitcnt lgkmcnt(1)
	v_fma_f64 v[20:21], -v[44:45], v[20:21], v[16:17]
	v_mov_b32_e32 v62, s7
	s_waitcnt lgkmcnt(0)
	v_fma_f64 v[24:25], -v[50:51], v[24:25], v[2:3]
	s_add_i32 s7, s11, s15
	s_add_i32 s25, s3, 0xfffffc40
	v_mov_b32_e32 v14, s7
	s_add_i32 s7, s13, s25
	v_fma_f64 v[30:31], -v[50:51], v[22:23], v[0:1]
	v_mov_b32_e32 v0, s7
	ds_read2_b64 v[0:3], v0 offset1:1
	ds_read2_b64 v[14:17], v14 offset1:1
	s_add_i32 s27, s3, 0xfffffba0
	s_add_i32 s7, s11, s19
	;; [unrolled: 1-line block ×3, first 2 shown]
	v_fma_f64 v[28:29], -v[44:45], v[18:19], v[28:29]
	v_mov_b32_e32 v18, s9
	s_waitcnt lgkmcnt(1)
	v_mul_f64 v[46:47], v[2:3], v[20:21]
	v_mov_b32_e32 v2, s7
	ds_read_b64 v[36:37], v18
	ds_read2_b64 v[18:21], v2 offset1:1
	s_waitcnt lgkmcnt(2)
	v_fma_f64 v[2:3], -v[42:43], v[16:17], v[24:25]
	v_fma_f64 v[14:15], -v[42:43], v[14:15], v[30:31]
	s_add_i32 s18, s2, -15
	s_lshl_b32 s21, s18, 3
	s_add_i32 s7, s21, s3
	v_mov_b32_e32 v16, s7
	s_add_i32 s7, s23, s5
	v_fma_f64 v[54:55], -v[46:47], v[0:1], v[28:29]
	s_waitcnt lgkmcnt(0)
	v_fma_f64 v[56:57], -v[44:45], v[20:21], v[2:3]
	v_mov_b32_e32 v30, s7
	s_add_i32 s7, s11, s25
	v_mov_b32_e32 v0, s7
	ds_read2_b64 v[22:25], v16 offset1:1
	ds_read2_b64 v[0:3], v0 offset1:1
	v_fma_f64 v[60:61], -v[44:45], v[18:19], v[14:15]
	ds_read2_b64 v[14:17], v62 offset1:1
	ds_read2_b64 v[18:21], v30 offset1:1
	v_mul_f64 v[36:37], v[36:37], v[54:55]
	s_add_i32 s7, s11, s27
	s_waitcnt lgkmcnt(2)
	v_fma_f64 v[56:57], -v[46:47], v[2:3], v[56:57]
	v_mov_b32_e32 v28, s7
	ds_read2_b64 v[28:31], v28 offset1:1
	s_waitcnt lgkmcnt(2)
	v_fma_f64 v[54:55], -v[26:27], v[14:15], v[12:13]
	v_fma_f64 v[12:13], -v[46:47], v[0:1], v[60:61]
	s_add_i32 s5, s21, s5
	v_fma_f64 v[32:33], -v[58:59], v[32:33], v[48:49]
	v_mov_b32_e32 v2, s5
	s_add_i32 s5, s17, s26
	v_fma_f64 v[24:25], -v[26:27], v[24:25], v[8:9]
	v_mov_b32_e32 v8, s5
	v_fma_f64 v[16:17], -v[26:27], v[16:17], v[10:11]
	ds_read2_b64 v[8:11], v8 offset1:1
	s_waitcnt lgkmcnt(1)
	v_fma_f64 v[56:57], -v[36:37], v[30:31], v[56:57]
	v_fma_f64 v[30:31], -v[58:59], v[34:35], v[38:39]
	s_add_i32 s5, s17, s24
	v_fma_f64 v[34:35], -v[36:37], v[28:29], v[12:13]
	v_mov_b32_e32 v12, s5
	ds_read2_b64 v[12:15], v12 offset1:1
	s_waitcnt lgkmcnt(1)
	v_fma_f64 v[8:9], -v[52:53], v[8:9], v[32:33]
	s_add_i32 s28, s3, 0xfffffb00
	s_add_i32 s5, s11, s28
	v_fma_f64 v[10:11], -v[52:53], v[10:11], v[30:31]
	v_mov_b32_e32 v28, s5
	ds_read2_b64 v[28:31], v28 offset1:1
	s_add_i32 s29, s3, 0xfffffa60
	s_add_i32 s5, s11, s29
	s_waitcnt lgkmcnt(1)
	v_fma_f64 v[12:13], -v[50:51], v[12:13], v[8:9]
	v_mov_b32_e32 v32, s5
	s_add_i32 s5, s17, s15
	global_store_dwordx2 v[4:5], v[26:27], off
	v_mov_b32_e32 v4, s5
	s_add_i32 s5, s17, s19
	ds_read2_b64 v[0:3], v2 offset1:1
	v_fma_f64 v[22:23], -v[26:27], v[22:23], v[6:7]
	ds_read2_b64 v[4:7], v4 offset1:1
	v_mov_b32_e32 v8, s5
	v_fma_f64 v[14:15], -v[50:51], v[14:15], v[10:11]
	ds_read2_b64 v[8:11], v8 offset1:1
	s_waitcnt lgkmcnt(3)
	v_mul_f64 v[30:31], v[30:31], v[56:57]
	s_mov_b32 s5, 0
	s_lshl_b64 s[30:31], s[4:5], 3
	s_waitcnt lgkmcnt(1)
	v_fma_f64 v[4:5], -v[42:43], v[4:5], v[12:13]
	v_mov_b32_e32 v13, s31
	v_add_co_u32_e32 v12, vcc, s30, v40
	s_add_i32 s4, s2, -2
	v_addc_co_u32_e32 v13, vcc, v41, v13, vcc
	s_lshl_b64 s[30:31], s[4:5], 3
	global_store_dwordx2 v[12:13], v[58:59], off
	v_mov_b32_e32 v13, s31
	v_add_co_u32_e32 v12, vcc, s30, v40
	s_mov_b32 s7, s5
	v_addc_co_u32_e32 v13, vcc, v41, v13, vcc
	s_lshl_b64 s[6:7], s[6:7], 3
	v_fma_f64 v[26:27], -v[30:31], v[28:29], v[34:35]
	global_store_dwordx2 v[12:13], v[52:53], off
	v_mov_b32_e32 v13, s7
	v_add_co_u32_e32 v12, vcc, s6, v40
	s_add_i32 s4, s2, -4
	v_fma_f64 v[6:7], -v[42:43], v[6:7], v[14:15]
	v_addc_co_u32_e32 v13, vcc, v41, v13, vcc
	s_lshl_b64 s[6:7], s[4:5], 3
	global_store_dwordx2 v[12:13], v[50:51], off
	v_mov_b32_e32 v13, s7
	v_add_co_u32_e32 v12, vcc, s6, v40
	s_mov_b32 s9, s5
	ds_read_b64 v[32:33], v32
	v_addc_co_u32_e32 v13, vcc, v41, v13, vcc
	s_lshl_b64 s[6:7], s[8:9], 3
	global_store_dwordx2 v[12:13], v[42:43], off
	v_mov_b32_e32 v13, s7
	v_add_co_u32_e32 v12, vcc, s6, v40
	s_add_i32 s4, s2, -6
	v_addc_co_u32_e32 v13, vcc, v41, v13, vcc
	s_lshl_b64 s[6:7], s[4:5], 3
	global_store_dwordx2 v[12:13], v[44:45], off
	v_mov_b32_e32 v13, s7
	v_add_co_u32_e32 v12, vcc, s6, v40
	s_mov_b32 s13, s5
	v_addc_co_u32_e32 v13, vcc, v41, v13, vcc
	s_lshl_b64 s[6:7], s[12:13], 3
	s_add_i32 s4, s2, -8
	global_store_dwordx2 v[12:13], v[46:47], off
	v_mov_b32_e32 v13, s7
	v_add_co_u32_e32 v12, vcc, s6, v40
	s_lshl_b64 s[6:7], s[4:5], 3
	s_waitcnt lgkmcnt(0)
	v_mul_f64 v[26:27], v[32:33], v[26:27]
	s_add_i32 s4, s17, s25
	v_fma_f64 v[32:33], -v[44:45], v[8:9], v[4:5]
	v_fma_f64 v[8:9], -v[58:59], v[20:21], v[16:17]
	v_fma_f64 v[28:29], -v[44:45], v[10:11], v[6:7]
	v_mov_b32_e32 v10, s4
	s_add_i32 s4, s23, s26
	v_mov_b32_e32 v4, s4
	ds_read2_b64 v[4:7], v4 offset1:1
	v_addc_co_u32_e32 v13, vcc, v41, v13, vcc
	v_fma_f64 v[14:15], -v[58:59], v[18:19], v[54:55]
	global_store_dwordx2 v[12:13], v[36:37], off
	v_mov_b32_e32 v13, s7
	v_add_co_u32_e32 v12, vcc, s6, v40
	s_add_i32 s4, s23, s24
	v_addc_co_u32_e32 v13, vcc, v41, v13, vcc
	v_mov_b32_e32 v11, s4
	s_add_i32 s4, s21, s26
	global_store_dwordx2 v[12:13], v[30:31], off
	v_fma_f64 v[24:25], -v[58:59], v[2:3], v[24:25]
	v_fma_f64 v[22:23], -v[58:59], v[0:1], v[22:23]
	ds_read2_b64 v[0:3], v11 offset1:1
	s_waitcnt lgkmcnt(1)
	v_fma_f64 v[34:35], -v[52:53], v[6:7], v[8:9]
	v_mov_b32_e32 v6, s4
	ds_read2_b64 v[6:9], v6 offset1:1
	ds_read2_b64 v[10:13], v10 offset1:1
	s_add_i32 s4, s17, s27
	v_fma_f64 v[38:39], -v[52:53], v[4:5], v[14:15]
	v_mov_b32_e32 v4, s4
	ds_read2_b64 v[14:17], v4 offset1:1
	s_waitcnt lgkmcnt(1)
	v_fma_f64 v[4:5], -v[46:47], v[12:13], v[28:29]
	s_add_i32 s4, s21, s24
	v_mov_b32_e32 v12, s4
	s_add_i32 s4, s17, s28
	ds_read2_b64 v[18:21], v12 offset1:1
	v_fma_f64 v[22:23], -v[52:53], v[6:7], v[22:23]
	s_mov_b32 s11, s5
	s_lshl_b64 s[6:7], s[10:11], 3
	s_waitcnt lgkmcnt(1)
	v_fma_f64 v[16:17], -v[36:37], v[16:17], v[4:5]
	v_mov_b32_e32 v4, s4
	ds_read2_b64 v[4:7], v4 offset1:1
	v_fma_f64 v[12:13], -v[46:47], v[10:11], v[32:33]
	v_mov_b32_e32 v28, s7
	s_add_i32 s4, s17, s29
	v_fma_f64 v[24:25], -v[52:53], v[8:9], v[24:25]
	v_mov_b32_e32 v8, s4
	s_waitcnt lgkmcnt(0)
	v_fma_f64 v[6:7], -v[30:31], v[6:7], v[16:17]
	ds_read2_b64 v[8:11], v8 offset1:1
	v_fma_f64 v[0:1], -v[50:51], v[0:1], v[38:39]
	v_fma_f64 v[16:17], -v[36:37], v[14:15], v[12:13]
	v_add_co_u32_e32 v12, vcc, s6, v40
	v_addc_co_u32_e32 v13, vcc, v41, v28, vcc
	v_fma_f64 v[28:29], -v[50:51], v[2:3], v[34:35]
	s_add_i32 s6, s23, s15
	v_mov_b32_e32 v2, s6
	global_store_dwordx2 v[12:13], v[26:27], off
	ds_read2_b64 v[12:15], v2 offset1:1
	s_add_i32 s6, s23, s19
	v_mov_b32_e32 v2, s6
	v_fma_f64 v[32:33], -v[30:31], v[4:5], v[16:17]
	ds_read2_b64 v[2:5], v2 offset1:1
	s_waitcnt lgkmcnt(1)
	v_fma_f64 v[28:29], -v[42:43], v[14:15], v[28:29]
	s_add_i32 s8, s3, 0xfffff9c0
	s_add_i32 s6, s17, s8
	v_fma_f64 v[34:35], -v[26:27], v[10:11], v[6:7]
	v_mov_b32_e32 v6, s6
	v_fma_f64 v[0:1], -v[42:43], v[12:13], v[0:1]
	ds_read2_b64 v[14:17], v6 offset1:1
	s_add_i32 s6, s23, s25
	s_waitcnt lgkmcnt(1)
	v_fma_f64 v[28:29], -v[44:45], v[4:5], v[28:29]
	v_mov_b32_e32 v4, s6
	ds_read2_b64 v[4:7], v4 offset1:1
	s_add_i32 s6, s23, s27
	s_add_i32 s9, s3, 0xfffff920
	s_add_i32 s4, s2, -10
	v_fma_f64 v[32:33], -v[26:27], v[8:9], v[32:33]
	v_mov_b32_e32 v8, s6
	s_add_i32 s6, s17, s9
	v_mov_b32_e32 v12, s6
	s_lshl_b64 s[6:7], s[4:5], 3
	s_add_i32 s4, s23, s28
	s_waitcnt lgkmcnt(1)
	v_mul_f64 v[34:35], v[16:17], v[34:35]
	v_fma_f64 v[16:17], -v[44:45], v[2:3], v[0:1]
	v_mov_b32_e32 v0, s4
	ds_read2_b64 v[0:3], v0 offset1:1
	s_waitcnt lgkmcnt(1)
	v_fma_f64 v[6:7], -v[46:47], v[6:7], v[28:29]
	ds_read2_b64 v[8:11], v8 offset1:1
	ds_read_b64 v[28:29], v12
	s_add_i32 s4, s23, s29
	v_fma_f64 v[14:15], -v[34:35], v[14:15], v[32:33]
	v_fma_f64 v[4:5], -v[46:47], v[4:5], v[16:17]
	s_add_i32 s10, s21, s15
	v_mov_b32_e32 v38, s7
	s_waitcnt lgkmcnt(1)
	v_fma_f64 v[6:7], -v[36:37], v[10:11], v[6:7]
	v_mov_b32_e32 v10, s4
	ds_read2_b64 v[10:13], v10 offset1:1
	s_add_i32 s4, s23, s8
	s_waitcnt lgkmcnt(1)
	v_mul_f64 v[28:29], v[28:29], v[14:15]
	v_fma_f64 v[14:15], -v[50:51], v[20:21], v[24:25]
	v_fma_f64 v[18:19], -v[50:51], v[18:19], v[22:23]
	v_mov_b32_e32 v22, s4
	v_fma_f64 v[2:3], -v[30:31], v[2:3], v[6:7]
	v_add_co_u32_e32 v6, vcc, s6, v40
	v_addc_co_u32_e32 v7, vcc, v41, v38, vcc
	s_add_i32 s4, s21, s19
	global_store_dwordx2 v[6:7], v[34:35], off
	v_mov_b32_e32 v6, s4
	s_waitcnt lgkmcnt(0)
	v_fma_f64 v[16:17], -v[26:27], v[12:13], v[2:3]
	v_mov_b32_e32 v2, s10
	v_fma_f64 v[12:13], -v[36:37], v[8:9], v[4:5]
	ds_read2_b64 v[2:5], v2 offset1:1
	ds_read2_b64 v[6:9], v6 offset1:1
	s_add_i32 s4, s23, s9
	s_addk_i32 s3, 0xf880
	s_mul_i32 s10, s2, 0xa8
	s_waitcnt lgkmcnt(1)
	v_fma_f64 v[4:5], -v[42:43], v[4:5], v[14:15]
	v_fma_f64 v[18:19], -v[42:43], v[2:3], v[18:19]
	v_fma_f64 v[20:21], -v[30:31], v[0:1], v[12:13]
	ds_read2_b64 v[12:15], v22 offset1:1
	v_mov_b32_e32 v0, s4
	ds_read2_b64 v[0:3], v0 offset1:1
	s_add_i32 s4, s21, s25
	s_mov_b32 s17, s5
	s_waitcnt lgkmcnt(2)
	v_fma_f64 v[4:5], -v[44:45], v[8:9], v[4:5]
	v_mov_b32_e32 v8, s4
	s_waitcnt lgkmcnt(1)
	v_fma_f64 v[22:23], -v[34:35], v[14:15], v[16:17]
	ds_read2_b64 v[14:17], v8 offset1:1
	v_fma_f64 v[6:7], -v[44:45], v[6:7], v[18:19]
	s_add_i32 s4, s21, s27
	v_mov_b32_e32 v8, s4
	v_fma_f64 v[20:21], -v[26:27], v[10:11], v[20:21]
	s_waitcnt lgkmcnt(0)
	v_fma_f64 v[16:17], -v[46:47], v[16:17], v[4:5]
	ds_read2_b64 v[8:11], v8 offset1:1
	s_add_i32 s4, s23, s3
	v_fma_f64 v[18:19], -v[28:29], v[2:3], v[22:23]
	v_mov_b32_e32 v2, s4
	ds_read2_b64 v[2:5], v2 offset1:1
	v_fma_f64 v[6:7], -v[46:47], v[14:15], v[6:7]
	s_add_i32 s4, s21, s28
	s_waitcnt lgkmcnt(1)
	v_fma_f64 v[22:23], -v[36:37], v[10:11], v[16:17]
	v_mov_b32_e32 v10, s4
	v_fma_f64 v[20:21], -v[34:35], v[12:13], v[20:21]
	ds_read2_b64 v[10:13], v10 offset1:1
	s_add_i32 s4, s21, s29
	v_mov_b32_e32 v14, s4
	ds_read2_b64 v[14:17], v14 offset1:1
	v_fma_f64 v[8:9], -v[36:37], v[8:9], v[6:7]
	s_waitcnt lgkmcnt(1)
	v_fma_f64 v[12:13], -v[30:31], v[12:13], v[22:23]
	s_add_i32 s4, s10, 0xfffff778
	v_mov_b32_e32 v22, s4
	s_add_i32 s4, s21, s8
	v_mul_f64 v[18:19], v[4:5], v[18:19]
	v_mov_b32_e32 v4, s4
	ds_read2_b64 v[4:7], v4 offset1:1
	s_add_i32 s4, s21, s9
	s_waitcnt lgkmcnt(1)
	v_fma_f64 v[12:13], -v[26:27], v[16:17], v[12:13]
	v_fma_f64 v[16:17], -v[30:31], v[10:11], v[8:9]
	v_mov_b32_e32 v8, s4
	v_fma_f64 v[0:1], -v[28:29], v[0:1], v[20:21]
	ds_read2_b64 v[8:11], v8 offset1:1
	s_lshl_b64 s[6:7], s[16:17], 3
	v_mov_b32_e32 v24, s7
	s_add_i32 s3, s21, s3
	s_waitcnt lgkmcnt(1)
	v_fma_f64 v[6:7], -v[34:35], v[6:7], v[12:13]
	v_fma_f64 v[14:15], -v[26:27], v[14:15], v[16:17]
	v_add_co_u32_e32 v12, vcc, s6, v40
	v_addc_co_u32_e32 v13, vcc, v41, v24, vcc
	global_store_dwordx2 v[12:13], v[28:29], off
	v_fma_f64 v[12:13], -v[18:19], v[2:3], v[0:1]
	s_waitcnt lgkmcnt(0)
	v_fma_f64 v[10:11], -v[28:29], v[10:11], v[6:7]
	v_fma_f64 v[14:15], -v[34:35], v[4:5], v[14:15]
	v_mov_b32_e32 v0, s3
	ds_read_b64 v[22:23], v22
	ds_read2_b64 v[0:3], v0 offset1:1
	s_add_i32 s4, s2, -12
	s_lshl_b64 s[6:7], s[4:5], 3
	s_add_i32 s4, s3, 0xffffff60
	v_mov_b32_e32 v4, s4
	s_waitcnt lgkmcnt(1)
	v_mul_f64 v[12:13], v[22:23], v[12:13]
	ds_read2_b64 v[4:7], v4 offset1:1
	s_waitcnt lgkmcnt(1)
	v_fma_f64 v[2:3], -v[18:19], v[2:3], v[10:11]
	v_fma_f64 v[8:9], -v[28:29], v[8:9], v[14:15]
	s_addk_i32 s3, 0xfec0
	v_mov_b32_e32 v16, s7
	v_add_co_u32_e32 v10, vcc, s6, v40
	v_addc_co_u32_e32 v11, vcc, v41, v16, vcc
	s_waitcnt lgkmcnt(0)
	v_fma_f64 v[6:7], -v[12:13], v[6:7], v[2:3]
	v_fma_f64 v[8:9], -v[18:19], v[0:1], v[8:9]
	v_mov_b32_e32 v0, s3
	ds_read2_b64 v[0:3], v0 offset1:1
	s_add_i32 s3, s10, 0xfffff628
	global_store_dwordx2 v[10:11], v[18:19], off
	v_mov_b32_e32 v10, s3
	ds_read_b64 v[10:11], v10
	s_waitcnt lgkmcnt(1)
	v_mul_f64 v[2:3], v[2:3], v[6:7]
	v_fma_f64 v[4:5], -v[12:13], v[4:5], v[8:9]
	s_mov_b32 s15, s5
	s_lshl_b64 s[6:7], s[14:15], 3
	v_mov_b32_e32 v7, s7
	v_add_co_u32_e32 v6, vcc, s6, v40
	s_add_i32 s4, s2, -14
	v_addc_co_u32_e32 v7, vcc, v41, v7, vcc
	v_fma_f64 v[0:1], -v[2:3], v[0:1], v[4:5]
	s_lshl_b64 s[6:7], s[4:5], 3
	v_mov_b32_e32 v5, s7
	v_add_co_u32_e32 v4, vcc, s6, v40
	s_mov_b32 s19, s5
	v_addc_co_u32_e32 v5, vcc, v41, v5, vcc
	s_waitcnt lgkmcnt(0)
	v_mul_f64 v[0:1], v[10:11], v[0:1]
	s_lshl_b64 s[4:5], s[18:19], 3
	global_store_dwordx2 v[4:5], v[2:3], off
	v_mov_b32_e32 v3, s5
	v_add_co_u32_e32 v2, vcc, s4, v40
	v_addc_co_u32_e32 v3, vcc, v41, v3, vcc
	s_add_i32 s2, s2, -16
	global_store_dwordx2 v[6:7], v[12:13], off
	global_store_dwordx2 v[2:3], v[0:1], off
.LBB88_34:
	s_cmp_lt_i32 s2, 0
	s_cbranch_scc1 .LBB88_47
; %bb.35:
	s_bitcmp1_b32 s2, 0
	s_cselect_b64 s[4:5], -1, 0
	s_and_b64 vcc, exec, s[4:5]
	s_mov_b32 s4, s2
	s_cbranch_vccnz .LBB88_40
; %bb.36:
	s_mov_b32 s5, 0
	s_mov_b32 s3, s5
	s_lshl_b64 s[6:7], s[2:3], 3
	v_mov_b32_e32 v1, s7
	v_add_co_u32_e32 v0, vcc, s6, v40
	v_addc_co_u32_e32 v1, vcc, v41, v1, vcc
	global_load_dwordx2 v[2:3], v[0:1], off
	s_cmp_le_i32 s20, s2
	s_waitcnt vmcnt(0)
	v_mul_f64 v[2:3], s[0:1], v[2:3]
	s_cbranch_scc1 .LBB88_39
; %bb.37:
	s_mul_i32 s3, s22, 0xa0
	s_lshl_b32 s4, s2, 3
	s_add_i32 s3, s3, s4
	s_addk_i32 s3, 0xff60
	s_mov_b32 s4, s20
.LBB88_38:                              ; =>This Inner Loop Header: Depth=1
	s_lshl_b64 s[6:7], s[4:5], 3
	v_mov_b32_e32 v5, s7
	v_add_co_u32_e32 v4, vcc, s6, v40
	v_addc_co_u32_e32 v5, vcc, v41, v5, vcc
	global_load_dwordx2 v[4:5], v[4:5], off
	v_mov_b32_e32 v6, s3
	ds_read_b64 v[6:7], v6
	s_add_i32 s4, s4, -1
	s_addk_i32 s3, 0xff60
	s_cmp_gt_i32 s4, s2
	s_waitcnt vmcnt(0) lgkmcnt(0)
	v_fma_f64 v[2:3], -v[4:5], v[6:7], v[2:3]
	s_cbranch_scc1 .LBB88_38
.LBB88_39:
	s_mul_i32 s3, s2, 0xa8
	v_mov_b32_e32 v4, s3
	ds_read_b64 v[4:5], v4
	s_add_i32 s4, s2, -1
	s_waitcnt lgkmcnt(0)
	v_mul_f64 v[2:3], v[4:5], v[2:3]
	global_store_dwordx2 v[0:1], v[2:3], off
.LBB88_40:
	s_cmp_eq_u32 s2, 0
	s_mov_b32 s3, 0
	s_cbranch_scc1 .LBB88_47
; %bb.41:
	s_mul_i32 s2, s22, 0xa0
	s_lshl_b32 s5, s4, 3
	s_add_i32 s2, s2, s5
	s_add_i32 s6, s2, 0xffffff60
	;; [unrolled: 1-line block ×3, first 2 shown]
	s_branch .LBB88_43
.LBB88_42:                              ;   in Loop: Header=BB88_43 Depth=1
	s_add_i32 s2, s5, 0xffffff58
	v_mov_b32_e32 v0, s2
	ds_read_b64 v[0:1], v0
	s_add_i32 s2, s4, -2
	s_add_i32 s6, s6, -16
	s_add_i32 s7, s7, -16
	s_cmp_lt_i32 s4, 2
	s_waitcnt lgkmcnt(0)
	v_mul_f64 v[0:1], v[0:1], v[4:5]
	s_mov_b32 s4, s2
	global_store_dwordx2 v[2:3], v[0:1], off
	s_cbranch_scc1 .LBB88_47
.LBB88_43:                              ; =>This Loop Header: Depth=1
                                        ;     Child Loop BB88_44 Depth 2
                                        ;     Child Loop BB88_46 Depth 2
	s_mov_b32 s5, s3
	s_lshl_b64 s[8:9], s[4:5], 3
	v_mov_b32_e32 v1, s9
	v_add_co_u32_e32 v0, vcc, s8, v40
	v_addc_co_u32_e32 v1, vcc, v41, v1, vcc
	global_load_dwordx2 v[2:3], v[0:1], off
	s_cmp_le_i32 s20, s4
	s_mov_b32 s5, s6
	s_mov_b32 s2, s20
	s_waitcnt vmcnt(0)
	v_mul_f64 v[4:5], s[0:1], v[2:3]
	s_cbranch_scc1 .LBB88_45
.LBB88_44:                              ;   Parent Loop BB88_43 Depth=1
                                        ; =>  This Inner Loop Header: Depth=2
	s_lshl_b64 s[8:9], s[2:3], 3
	v_mov_b32_e32 v3, s9
	v_add_co_u32_e32 v2, vcc, s8, v40
	v_addc_co_u32_e32 v3, vcc, v41, v3, vcc
	global_load_dwordx2 v[2:3], v[2:3], off
	v_mov_b32_e32 v6, s5
	ds_read_b64 v[6:7], v6
	s_add_i32 s2, s2, -1
	s_addk_i32 s5, 0xff60
	s_cmp_gt_i32 s2, s4
	s_waitcnt vmcnt(0) lgkmcnt(0)
	v_fma_f64 v[4:5], -v[2:3], v[6:7], v[4:5]
	s_cbranch_scc1 .LBB88_44
.LBB88_45:                              ;   in Loop: Header=BB88_43 Depth=1
	s_add_i32 s2, s4, -1
	s_lshl_b64 s[8:9], s[2:3], 3
	v_mov_b32_e32 v3, s9
	v_add_co_u32_e32 v2, vcc, s8, v40
	v_addc_co_u32_e32 v3, vcc, v41, v3, vcc
	global_load_dwordx2 v[6:7], v[2:3], off
	s_mul_i32 s5, s4, 0xa8
	v_mov_b32_e32 v8, s5
	ds_read_b64 v[8:9], v8
	s_cmp_le_i32 s22, s4
	s_mov_b32 s8, s7
	s_mov_b32 s2, s22
	s_waitcnt lgkmcnt(0)
	v_mul_f64 v[8:9], v[8:9], v[4:5]
	global_store_dwordx2 v[0:1], v[8:9], off
	s_waitcnt vmcnt(1)
	v_mul_f64 v[4:5], s[0:1], v[6:7]
	s_cbranch_scc1 .LBB88_42
.LBB88_46:                              ;   Parent Loop BB88_43 Depth=1
                                        ; =>  This Inner Loop Header: Depth=2
	s_add_i32 s2, s2, -1
	s_lshl_b64 s[10:11], s[2:3], 3
	v_mov_b32_e32 v1, s11
	v_add_co_u32_e32 v0, vcc, s10, v40
	v_addc_co_u32_e32 v1, vcc, v41, v1, vcc
	global_load_dwordx2 v[0:1], v[0:1], off
	v_mov_b32_e32 v6, s8
	ds_read_b64 v[6:7], v6
	s_addk_i32 s8, 0xff60
	s_cmp_gt_i32 s2, s4
	s_waitcnt vmcnt(0) lgkmcnt(0)
	v_fma_f64 v[4:5], -v[0:1], v[6:7], v[4:5]
	s_cbranch_scc1 .LBB88_46
	s_branch .LBB88_42
.LBB88_47:
	s_endpgm
	.section	.rodata,"a",@progbits
	.p2align	6, 0x0
	.amdhsa_kernel _ZL30rocblas_trsm_small_left_deviceILi20ELi20ELb0EddPKdPdEv13rocblas_fill_18rocblas_operation_17rocblas_diagonal_iiT3_T4_lilT5_lili
		.amdhsa_group_segment_fixed_size 3200
		.amdhsa_private_segment_fixed_size 0
		.amdhsa_kernarg_size 360
		.amdhsa_user_sgpr_count 6
		.amdhsa_user_sgpr_private_segment_buffer 1
		.amdhsa_user_sgpr_dispatch_ptr 0
		.amdhsa_user_sgpr_queue_ptr 0
		.amdhsa_user_sgpr_kernarg_segment_ptr 1
		.amdhsa_user_sgpr_dispatch_id 0
		.amdhsa_user_sgpr_flat_scratch_init 0
		.amdhsa_user_sgpr_private_segment_size 0
		.amdhsa_uses_dynamic_stack 0
		.amdhsa_system_sgpr_private_segment_wavefront_offset 0
		.amdhsa_system_sgpr_workgroup_id_x 1
		.amdhsa_system_sgpr_workgroup_id_y 0
		.amdhsa_system_sgpr_workgroup_id_z 1
		.amdhsa_system_sgpr_workgroup_info 0
		.amdhsa_system_vgpr_workitem_id 0
		.amdhsa_next_free_vgpr 84
		.amdhsa_next_free_sgpr 98
		.amdhsa_reserve_vcc 1
		.amdhsa_reserve_flat_scratch 0
		.amdhsa_float_round_mode_32 0
		.amdhsa_float_round_mode_16_64 0
		.amdhsa_float_denorm_mode_32 3
		.amdhsa_float_denorm_mode_16_64 3
		.amdhsa_dx10_clamp 1
		.amdhsa_ieee_mode 1
		.amdhsa_fp16_overflow 0
		.amdhsa_exception_fp_ieee_invalid_op 0
		.amdhsa_exception_fp_denorm_src 0
		.amdhsa_exception_fp_ieee_div_zero 0
		.amdhsa_exception_fp_ieee_overflow 0
		.amdhsa_exception_fp_ieee_underflow 0
		.amdhsa_exception_fp_ieee_inexact 0
		.amdhsa_exception_int_div_zero 0
	.end_amdhsa_kernel
	.section	.text._ZL30rocblas_trsm_small_left_deviceILi20ELi20ELb0EddPKdPdEv13rocblas_fill_18rocblas_operation_17rocblas_diagonal_iiT3_T4_lilT5_lili,"axG",@progbits,_ZL30rocblas_trsm_small_left_deviceILi20ELi20ELb0EddPKdPdEv13rocblas_fill_18rocblas_operation_17rocblas_diagonal_iiT3_T4_lilT5_lili,comdat
.Lfunc_end88:
	.size	_ZL30rocblas_trsm_small_left_deviceILi20ELi20ELb0EddPKdPdEv13rocblas_fill_18rocblas_operation_17rocblas_diagonal_iiT3_T4_lilT5_lili, .Lfunc_end88-_ZL30rocblas_trsm_small_left_deviceILi20ELi20ELb0EddPKdPdEv13rocblas_fill_18rocblas_operation_17rocblas_diagonal_iiT3_T4_lilT5_lili
                                        ; -- End function
	.set _ZL30rocblas_trsm_small_left_deviceILi20ELi20ELb0EddPKdPdEv13rocblas_fill_18rocblas_operation_17rocblas_diagonal_iiT3_T4_lilT5_lili.num_vgpr, 84
	.set _ZL30rocblas_trsm_small_left_deviceILi20ELi20ELb0EddPKdPdEv13rocblas_fill_18rocblas_operation_17rocblas_diagonal_iiT3_T4_lilT5_lili.num_agpr, 0
	.set _ZL30rocblas_trsm_small_left_deviceILi20ELi20ELb0EddPKdPdEv13rocblas_fill_18rocblas_operation_17rocblas_diagonal_iiT3_T4_lilT5_lili.numbered_sgpr, 32
	.set _ZL30rocblas_trsm_small_left_deviceILi20ELi20ELb0EddPKdPdEv13rocblas_fill_18rocblas_operation_17rocblas_diagonal_iiT3_T4_lilT5_lili.num_named_barrier, 0
	.set _ZL30rocblas_trsm_small_left_deviceILi20ELi20ELb0EddPKdPdEv13rocblas_fill_18rocblas_operation_17rocblas_diagonal_iiT3_T4_lilT5_lili.private_seg_size, 0
	.set _ZL30rocblas_trsm_small_left_deviceILi20ELi20ELb0EddPKdPdEv13rocblas_fill_18rocblas_operation_17rocblas_diagonal_iiT3_T4_lilT5_lili.uses_vcc, 1
	.set _ZL30rocblas_trsm_small_left_deviceILi20ELi20ELb0EddPKdPdEv13rocblas_fill_18rocblas_operation_17rocblas_diagonal_iiT3_T4_lilT5_lili.uses_flat_scratch, 0
	.set _ZL30rocblas_trsm_small_left_deviceILi20ELi20ELb0EddPKdPdEv13rocblas_fill_18rocblas_operation_17rocblas_diagonal_iiT3_T4_lilT5_lili.has_dyn_sized_stack, 0
	.set _ZL30rocblas_trsm_small_left_deviceILi20ELi20ELb0EddPKdPdEv13rocblas_fill_18rocblas_operation_17rocblas_diagonal_iiT3_T4_lilT5_lili.has_recursion, 0
	.set _ZL30rocblas_trsm_small_left_deviceILi20ELi20ELb0EddPKdPdEv13rocblas_fill_18rocblas_operation_17rocblas_diagonal_iiT3_T4_lilT5_lili.has_indirect_call, 0
	.section	.AMDGPU.csdata,"",@progbits
; Kernel info:
; codeLenInByte = 14092
; TotalNumSgprs: 36
; NumVgprs: 84
; ScratchSize: 0
; MemoryBound: 1
; FloatMode: 240
; IeeeMode: 1
; LDSByteSize: 3200 bytes/workgroup (compile time only)
; SGPRBlocks: 12
; VGPRBlocks: 20
; NumSGPRsForWavesPerEU: 102
; NumVGPRsForWavesPerEU: 84
; Occupancy: 3
; WaveLimiterHint : 1
; COMPUTE_PGM_RSRC2:SCRATCH_EN: 0
; COMPUTE_PGM_RSRC2:USER_SGPR: 6
; COMPUTE_PGM_RSRC2:TRAP_HANDLER: 0
; COMPUTE_PGM_RSRC2:TGID_X_EN: 1
; COMPUTE_PGM_RSRC2:TGID_Y_EN: 0
; COMPUTE_PGM_RSRC2:TGID_Z_EN: 1
; COMPUTE_PGM_RSRC2:TIDIG_COMP_CNT: 0
	.section	.text._ZL38rocblas_trsm_small_left_device_sharedBILi20ELi20ELb1EddPKdPdEv13rocblas_fill_18rocblas_operation_17rocblas_diagonal_iiT3_T4_lilT5_lili,"axG",@progbits,_ZL38rocblas_trsm_small_left_device_sharedBILi20ELi20ELb1EddPKdPdEv13rocblas_fill_18rocblas_operation_17rocblas_diagonal_iiT3_T4_lilT5_lili,comdat
	.globl	_ZL38rocblas_trsm_small_left_device_sharedBILi20ELi20ELb1EddPKdPdEv13rocblas_fill_18rocblas_operation_17rocblas_diagonal_iiT3_T4_lilT5_lili ; -- Begin function _ZL38rocblas_trsm_small_left_device_sharedBILi20ELi20ELb1EddPKdPdEv13rocblas_fill_18rocblas_operation_17rocblas_diagonal_iiT3_T4_lilT5_lili
	.p2align	8
	.type	_ZL38rocblas_trsm_small_left_device_sharedBILi20ELi20ELb1EddPKdPdEv13rocblas_fill_18rocblas_operation_17rocblas_diagonal_iiT3_T4_lilT5_lili,@function
_ZL38rocblas_trsm_small_left_device_sharedBILi20ELi20ELb1EddPKdPdEv13rocblas_fill_18rocblas_operation_17rocblas_diagonal_iiT3_T4_lilT5_lili: ; @_ZL38rocblas_trsm_small_left_device_sharedBILi20ELi20ELb1EddPKdPdEv13rocblas_fill_18rocblas_operation_17rocblas_diagonal_iiT3_T4_lilT5_lili
; %bb.0:
	s_load_dwordx4 s[8:11], s[4:5], 0x4
	s_load_dwordx4 s[12:15], s[4:5], 0x18
	s_load_dwordx2 s[20:21], s[4:5], 0x28
	s_load_dwordx4 s[0:3], s[4:5], 0x38
	s_load_dwordx2 s[16:17], s[4:5], 0x48
	s_waitcnt lgkmcnt(0)
	s_min_i32 s22, s10, 20
	v_cmp_gt_i32_e32 vcc, s22, v0
	s_and_saveexec_b64 s[18:19], vcc
	s_cbranch_execz .LBB89_6
; %bb.1:
	s_load_dword s24, s[4:5], 0x30
	s_mul_i32 s1, s1, s7
	s_mul_hi_u32 s23, s0, s7
	s_mul_i32 s0, s0, s7
	s_add_i32 s1, s23, s1
	s_waitcnt lgkmcnt(0)
	s_ashr_i32 s25, s24, 31
	s_lshl_b64 s[0:1], s[0:1], 3
	s_add_u32 s14, s14, s0
	s_addc_u32 s15, s15, s1
	s_lshl_b64 s[0:1], s[20:21], 3
	s_add_u32 s0, s14, s0
	s_addc_u32 s1, s15, s1
	v_lshlrev_b32_e32 v3, 3, v0
	v_mov_b32_e32 v2, s1
	v_add_co_u32_e32 v1, vcc, s0, v3
	s_lshl_b64 s[0:1], s[24:25], 3
	v_addc_co_u32_e32 v2, vcc, 0, v2, vcc
	v_mov_b32_e32 v4, s1
	v_mov_b32_e32 v5, v3
	s_mov_b32 s1, s22
.LBB89_2:                               ; =>This Inner Loop Header: Depth=1
	global_load_dwordx2 v[6:7], v[1:2], off
	v_add_co_u32_e32 v1, vcc, s0, v1
	s_add_i32 s1, s1, -1
	v_addc_co_u32_e32 v2, vcc, v2, v4, vcc
	s_cmp_eq_u32 s1, 0
	s_waitcnt vmcnt(0)
	ds_write_b64 v5, v[6:7]
	v_add_u32_e32 v5, 0xa0, v5
	s_cbranch_scc0 .LBB89_2
; %bb.3:
	v_mul_u32_u24_e32 v4, 0xa0, v0
	v_mov_b32_e32 v1, 0
	s_cmpk_lg_i32 s9, 0x84
	v_mov_b32_e32 v2, 0x3ff00000
	v_add_u32_e32 v3, v3, v4
	s_cbranch_scc0 .LBB89_5
; %bb.4:
	ds_read_b64 v[1:2], v3
	s_waitcnt lgkmcnt(0)
	v_div_scale_f64 v[4:5], s[0:1], v[1:2], v[1:2], 1.0
	v_div_scale_f64 v[10:11], vcc, 1.0, v[1:2], 1.0
	v_rcp_f64_e32 v[6:7], v[4:5]
	v_fma_f64 v[8:9], -v[4:5], v[6:7], 1.0
	v_fma_f64 v[6:7], v[6:7], v[8:9], v[6:7]
	v_fma_f64 v[8:9], -v[4:5], v[6:7], 1.0
	v_fma_f64 v[6:7], v[6:7], v[8:9], v[6:7]
	v_mul_f64 v[8:9], v[10:11], v[6:7]
	v_fma_f64 v[4:5], -v[4:5], v[8:9], v[10:11]
	v_div_fmas_f64 v[4:5], v[4:5], v[6:7], v[8:9]
	v_div_fixup_f64 v[1:2], v[4:5], v[1:2], 1.0
.LBB89_5:
	ds_write_b64 v3, v[1:2]
.LBB89_6:
	s_or_b64 exec, exec, s[18:19]
	s_load_dword s0, s[4:5], 0x68
	s_load_dwordx2 s[14:15], s[4:5], 0x58
	s_load_dword s9, s[4:5], 0x50
	s_waitcnt lgkmcnt(0)
	s_mul_i32 s1, s15, s7
	s_mul_hi_u32 s5, s14, s7
	s_mul_i32 s4, s14, s7
	s_add_i32 s5, s5, s1
	s_lshl_b64 s[4:5], s[4:5], 3
	s_add_u32 s1, s2, s4
	s_addc_u32 s4, s3, s5
	s_lshl_b64 s[2:3], s[16:17], 3
	s_add_u32 s2, s1, s2
	s_mul_i32 s1, s6, 0xffffffec
	s_addc_u32 s3, s4, s3
	s_add_i32 s0, s0, -1
	s_add_i32 s1, s11, s1
	s_cmp_ge_u32 s6, s0
	s_mul_i32 s6, s6, 20
	s_cselect_b32 s4, s1, 20
	s_mul_hi_i32 s1, s9, s6
	s_mul_i32 s0, s9, s6
	s_lshl_b64 s[0:1], s[0:1], 3
	s_add_u32 s6, s2, s0
	s_addc_u32 s7, s3, s1
	s_cmp_gt_i32 s10, 0
	v_cmp_gt_i32_e64 s[0:1], s4, v0
	s_cselect_b64 s[2:3], -1, 0
	s_and_b64 s[14:15], s[0:1], s[2:3]
	s_and_saveexec_b64 s[4:5], s[14:15]
	s_cbranch_execz .LBB89_9
; %bb.7:
	v_mad_i64_i32 v[1:2], s[14:15], s9, v0, 0
	v_mov_b32_e32 v3, s7
	s_mov_b32 s11, s22
	v_lshlrev_b64 v[1:2], 3, v[1:2]
	v_add_co_u32_e32 v1, vcc, s6, v1
	v_addc_co_u32_e32 v2, vcc, v3, v2, vcc
	v_mov_b32_e32 v3, 0xc80
	v_lshl_add_u32 v3, v0, 3, v3
.LBB89_8:                               ; =>This Inner Loop Header: Depth=1
	global_load_dwordx2 v[4:5], v[1:2], off
	s_add_i32 s11, s11, -1
	v_add_co_u32_e32 v1, vcc, 8, v1
	v_addc_co_u32_e32 v2, vcc, 0, v2, vcc
	s_cmp_lg_u32 s11, 0
	s_waitcnt vmcnt(0)
	v_mul_f64 v[4:5], s[12:13], v[4:5]
	ds_write_b64 v3, v[4:5]
	v_add_u32_e32 v3, 0xa0, v3
	s_cbranch_scc1 .LBB89_8
.LBB89_9:
	s_or_b64 exec, exec, s[4:5]
	v_mov_b32_e32 v1, 0xc80
	s_cmpk_eq_i32 s8, 0x6f
	v_lshl_add_u32 v41, v0, 3, v1
	s_mov_b64 s[4:5], -1
	s_waitcnt lgkmcnt(0)
	; wave barrier
	s_cbranch_scc1 .LBB89_32
; %bb.10:
	s_add_i32 s4, s22, -1
	s_cmp_gt_i32 s10, 19
	s_mov_b32 s5, s4
	s_cbranch_scc0 .LBB89_12
; %bb.11:
	s_movk_i32 s5, 0x800
	v_add_u32_e32 v21, 0x800, v41
	v_add_u32_e64 v40, s5, 0
	ds_read2_b64 v[3:6], v21 offset0:104 offset1:124
	ds_read2_b64 v[7:10], v40 offset0:103 offset1:143
	v_mov_b32_e32 v23, 0
	v_mov_b32_e32 v36, 0x9e8
	ds_read_b128 v[13:16], v23 offset:2704
	v_add_u32_e32 v22, 0x400, v41
	s_waitcnt lgkmcnt(1)
	v_mul_f64 v[1:2], v[9:10], v[5:6]
	ds_read_b128 v[9:12], v23 offset:3024
	ds_read2_b64 v[17:20], v41 offset0:200 offset1:220
	ds_read2_b64 v[24:27], v21 offset0:64 offset1:84
	ds_read2_b64 v[28:31], v41 offset0:160 offset1:180
	ds_read2_b64 v[32:35], v41 offset0:120 offset1:140
	v_mov_b32_e32 v5, 0xb28
	v_mov_b32_e32 v58, 0x9d8
	;; [unrolled: 1-line block ×4, first 2 shown]
	s_mov_b32 s5, -1
	s_waitcnt lgkmcnt(4)
	v_fma_f64 v[3:4], -v[1:2], v[11:12], v[3:4]
	s_waitcnt lgkmcnt(2)
	v_fma_f64 v[26:27], -v[1:2], v[7:8], v[26:27]
	ds_read2_b64 v[5:8], v5 offset1:1
	v_fma_f64 v[15:16], -v[1:2], v[15:16], v[24:25]
	v_mul_f64 v[3:4], v[9:10], v[3:4]
	ds_read2_b64 v[9:12], v21 offset0:24 offset1:44
	ds_read2_b64 v[36:39], v36 offset1:1
	s_waitcnt lgkmcnt(2)
	v_fma_f64 v[7:8], -v[3:4], v[7:8], v[26:27]
	ds_read2_b64 v[24:27], v40 offset0:23 offset1:63
	v_fma_f64 v[15:16], -v[3:4], v[13:14], v[15:16]
	ds_read2_b64 v[42:45], v22 offset0:112 offset1:132
	ds_read_b128 v[46:49], v23 offset:2688
	ds_read_b128 v[50:53], v23 offset:2384
	v_mov_b32_e32 v40, 0x888
	s_waitcnt lgkmcnt(3)
	v_fma_f64 v[26:27], -v[1:2], v[26:27], v[11:12]
	ds_read_b128 v[11:14], v23 offset:2352
	ds_read_b128 v[54:57], v23 offset:2368
	ds_read2_b64 v[58:61], v58 offset1:1
	ds_read2_b64 v[62:65], v62 offset1:1
	v_mul_f64 v[5:6], v[5:6], v[7:8]
	s_waitcnt lgkmcnt(4)
	v_fma_f64 v[7:8], -v[1:2], v[52:53], v[9:10]
	ds_read2_b64 v[66:69], v66 offset1:1
	ds_read2_b64 v[70:73], v40 offset1:1
	ds_read_b128 v[74:77], v23 offset:2064
	ds_read_b128 v[78:81], v23 offset:2048
	v_fma_f64 v[9:10], -v[3:4], v[38:39], v[26:27]
	s_waitcnt lgkmcnt(1)
	v_fma_f64 v[52:53], -v[1:2], v[76:77], v[42:43]
	v_fma_f64 v[15:16], -v[5:6], v[48:49], v[15:16]
	;; [unrolled: 1-line block ×4, first 2 shown]
	ds_read2_b64 v[24:27], v23 offset0:199 offset1:239
	v_fma_f64 v[9:10], -v[5:6], v[36:37], v[9:10]
	ds_read_b128 v[36:39], v23 offset:1744
	ds_read_b128 v[42:45], v23 offset:1728
	v_mul_f64 v[7:8], v[46:47], v[15:16]
	v_fma_f64 v[64:65], -v[3:4], v[64:65], v[48:49]
	v_fma_f64 v[50:51], -v[5:6], v[56:57], v[50:51]
	s_waitcnt lgkmcnt(2)
	v_fma_f64 v[19:20], -v[1:2], v[26:27], v[19:20]
	v_fma_f64 v[74:75], -v[3:4], v[74:75], v[52:53]
	s_waitcnt lgkmcnt(1)
	v_fma_f64 v[38:39], -v[1:2], v[38:39], v[17:18]
	ds_read2_b64 v[15:18], v23 offset0:237 offset1:238
	ds_read2_b64 v[46:49], v23 offset0:235 offset1:236
	v_fma_f64 v[9:10], -v[7:8], v[60:61], v[9:10]
	v_fma_f64 v[60:61], -v[5:6], v[62:63], v[64:65]
	;; [unrolled: 1-line block ×4, first 2 shown]
	s_waitcnt lgkmcnt(1)
	v_fma_f64 v[30:31], -v[3:4], v[17:18], v[19:20]
	ds_read_b128 v[50:53], v23 offset:1424
	ds_read_b128 v[54:57], v23 offset:1408
	;; [unrolled: 1-line block ×3, first 2 shown]
	ds_read2_b64 v[17:20], v23 offset0:197 offset1:198
	v_mul_f64 v[9:10], v[58:59], v[9:10]
	v_fma_f64 v[58:59], -v[5:6], v[80:81], v[74:75]
	v_fma_f64 v[60:61], -v[7:8], v[68:69], v[60:61]
	s_waitcnt lgkmcnt(3)
	v_fma_f64 v[52:53], -v[1:2], v[52:53], v[28:29]
	v_fma_f64 v[68:69], -v[3:4], v[36:37], v[38:39]
	;; [unrolled: 1-line block ×3, first 2 shown]
	s_waitcnt lgkmcnt(0)
	v_fma_f64 v[19:20], -v[3:4], v[19:20], v[64:65]
	v_fma_f64 v[62:63], -v[9:10], v[13:14], v[62:63]
	;; [unrolled: 1-line block ×4, first 2 shown]
	ds_read_b128 v[13:16], v23 offset:2032
	ds_read_b128 v[28:31], v23 offset:2016
	v_fma_f64 v[44:45], -v[5:6], v[44:45], v[68:69]
	v_fma_f64 v[52:53], -v[3:4], v[50:51], v[52:53]
	;; [unrolled: 1-line block ×4, first 2 shown]
	v_mul_f64 v[11:12], v[11:12], v[62:63]
	s_waitcnt lgkmcnt(1)
	v_fma_f64 v[74:75], -v[9:10], v[15:16], v[76:77]
	ds_read2_b64 v[36:39], v23 offset0:233 offset1:234
	ds_read2_b64 v[58:61], v23 offset0:231 offset1:232
	ds_read_b128 v[62:65], v23 offset:1712
	ds_read2_b64 v[15:18], v23 offset0:195 offset1:196
	ds_read2_b64 v[48:51], v23 offset0:193 offset1:194
	v_fma_f64 v[78:79], -v[7:8], v[42:43], v[44:45]
	ds_read2_b64 v[42:45], v23 offset0:119 offset1:159
	v_fma_f64 v[52:53], -v[5:6], v[56:57], v[52:53]
	v_fma_f64 v[76:77], -v[11:12], v[72:73], v[66:67]
	;; [unrolled: 1-line block ×4, first 2 shown]
	s_waitcnt lgkmcnt(0)
	v_fma_f64 v[34:35], -v[1:2], v[44:45], v[34:35]
	v_fma_f64 v[44:45], -v[7:8], v[17:18], v[19:20]
	ds_read_b128 v[66:69], v23 offset:1104
	ds_read_b128 v[72:75], v23 offset:1088
	ds_read2_b64 v[17:20], v23 offset0:157 offset1:158
	v_fma_f64 v[64:65], -v[9:10], v[64:65], v[78:79]
	v_mul_f64 v[13:14], v[70:71], v[76:77]
	v_fma_f64 v[38:39], -v[11:12], v[38:39], v[46:47]
	v_fma_f64 v[70:71], -v[7:8], v[54:55], v[52:53]
	s_waitcnt lgkmcnt(2)
	v_fma_f64 v[68:69], -v[1:2], v[68:69], v[32:33]
	v_fma_f64 v[76:77], -v[9:10], v[15:16], v[44:45]
	ds_read2_b64 v[44:47], v23 offset0:155 offset1:156
	s_waitcnt lgkmcnt(1)
	v_fma_f64 v[19:20], -v[3:4], v[19:20], v[34:35]
	v_fma_f64 v[78:79], -v[11:12], v[62:63], v[64:65]
	v_fma_f64 v[56:57], -v[13:14], v[30:31], v[56:57]
	ds_read_b128 v[30:33], v23 offset:1696
	ds_read_b128 v[52:55], v23 offset:1392
	v_fma_f64 v[38:39], -v[13:14], v[36:37], v[38:39]
	ds_read2_b64 v[34:37], v41 offset0:80 offset1:100
	ds_read_b128 v[62:65], v23 offset:1376
	v_fma_f64 v[17:18], -v[5:6], v[17:18], v[19:20]
	v_fma_f64 v[19:20], -v[11:12], v[50:51], v[76:77]
	v_mul_f64 v[15:16], v[28:29], v[56:57]
	s_waitcnt lgkmcnt(2)
	v_fma_f64 v[28:29], -v[9:10], v[54:55], v[70:71]
	v_fma_f64 v[70:71], -v[3:4], v[66:67], v[68:69]
	;; [unrolled: 1-line block ×3, first 2 shown]
	s_waitcnt lgkmcnt(1)
	v_fma_f64 v[42:43], -v[1:2], v[42:43], v[36:37]
	ds_read2_b64 v[54:57], v23 offset0:191 offset1:192
	ds_read2_b64 v[66:69], v23 offset0:189 offset1:190
	v_fma_f64 v[46:47], -v[7:8], v[46:47], v[17:18]
	v_fma_f64 v[19:20], -v[13:14], v[48:49], v[19:20]
	v_fma_f64 v[38:39], -v[15:16], v[60:61], v[38:39]
	v_fma_f64 v[60:61], -v[11:12], v[52:53], v[28:29]
	ds_read2_b64 v[50:53], v23 offset0:117 offset1:118
	v_fma_f64 v[32:33], -v[15:16], v[30:31], v[32:33]
	s_waitcnt lgkmcnt(0)
	v_fma_f64 v[52:53], -v[3:4], v[52:53], v[42:43]
	v_mul_f64 v[17:18], v[58:59], v[38:39]
	v_fma_f64 v[58:59], -v[5:6], v[74:75], v[70:71]
	v_fma_f64 v[60:61], -v[13:14], v[64:65], v[60:61]
	;; [unrolled: 1-line block ×4, first 2 shown]
	ds_read_b128 v[28:31], v23 offset:1360
	ds_read_b128 v[36:39], v23 offset:1344
	ds_read2_b64 v[42:45], v23 offset0:153 offset1:154
	ds_read2_b64 v[46:49], v23 offset0:151 offset1:152
	v_fma_f64 v[26:27], -v[17:18], v[26:27], v[32:33]
	v_fma_f64 v[32:33], -v[7:8], v[72:73], v[58:59]
	ds_read_b128 v[56:59], v23 offset:1072
	v_fma_f64 v[60:61], -v[15:16], v[62:63], v[60:61]
	v_fma_f64 v[62:63], -v[5:6], v[50:51], v[52:53]
	s_waitcnt lgkmcnt(2)
	v_fma_f64 v[44:45], -v[11:12], v[44:45], v[64:65]
	v_fma_f64 v[54:55], -v[17:18], v[54:55], v[19:20]
	v_mul_f64 v[19:20], v[24:25], v[26:27]
	s_waitcnt lgkmcnt(0)
	v_fma_f64 v[58:59], -v[9:10], v[58:59], v[32:33]
	ds_read2_b64 v[24:27], v23 offset0:115 offset1:116
	ds_read_b128 v[50:53], v23 offset:1056
	v_fma_f64 v[60:61], -v[17:18], v[30:31], v[60:61]
	ds_read2_b64 v[30:33], v23 offset0:113 offset1:114
	s_waitcnt lgkmcnt(2)
	v_fma_f64 v[26:27], -v[7:8], v[26:27], v[62:63]
	v_fma_f64 v[62:63], -v[13:14], v[42:43], v[44:45]
	ds_read_b128 v[42:45], v23 offset:784
	v_fma_f64 v[64:65], -v[19:20], v[68:69], v[54:55]
	v_fma_f64 v[58:59], -v[11:12], v[56:57], v[58:59]
	ds_read_b128 v[54:57], v23 offset:768
	v_fma_f64 v[28:29], -v[19:20], v[28:29], v[60:61]
	s_waitcnt lgkmcnt(1)
	v_fma_f64 v[34:35], -v[1:2], v[44:45], v[34:35]
	v_fma_f64 v[44:45], -v[9:10], v[24:25], v[26:27]
	;; [unrolled: 1-line block ×3, first 2 shown]
	ds_read2_b64 v[24:27], v41 offset0:40 offset1:60
	v_mul_f64 v[68:69], v[66:67], v[64:65]
	v_fma_f64 v[52:53], -v[13:14], v[52:53], v[58:59]
	ds_read2_b64 v[58:61], v23 offset0:149 offset1:150
	ds_read2_b64 v[62:65], v23 offset0:147 offset1:148
	v_fma_f64 v[66:67], -v[3:4], v[42:43], v[34:35]
	v_fma_f64 v[70:71], -v[11:12], v[32:33], v[44:45]
	;; [unrolled: 1-line block ×3, first 2 shown]
	ds_read_b128 v[32:35], v23 offset:1040
	v_fma_f64 v[28:29], -v[68:69], v[38:39], v[28:29]
	v_fma_f64 v[38:39], -v[15:16], v[50:51], v[52:53]
	ds_read2_b64 v[42:45], v23 offset0:111 offset1:112
	ds_read2_b64 v[46:49], v23 offset0:39 offset1:79
	s_waitcnt lgkmcnt(6)
	v_fma_f64 v[50:51], -v[5:6], v[56:57], v[66:67]
	v_fma_f64 v[30:31], -v[13:14], v[30:31], v[70:71]
	s_waitcnt lgkmcnt(4)
	v_fma_f64 v[56:57], -v[19:20], v[60:61], v[72:73]
	s_waitcnt lgkmcnt(0)
	v_fma_f64 v[60:61], -v[1:2], v[48:49], v[26:27]
	v_mul_f64 v[70:71], v[36:37], v[28:29]
	v_fma_f64 v[38:39], -v[17:18], v[34:35], v[38:39]
	ds_read2_b64 v[26:29], v23 offset0:109 offset1:110
	ds_read2_b64 v[34:37], v23 offset0:77 offset1:78
	v_fma_f64 v[66:67], -v[7:8], v[54:55], v[50:51]
	v_fma_f64 v[44:45], -v[15:16], v[44:45], v[30:31]
	ds_read_b128 v[48:51], v23 offset:752
	ds_read2_b64 v[52:55], v23 offset0:75 offset1:76
	s_waitcnt lgkmcnt(2)
	v_fma_f64 v[60:61], -v[3:4], v[36:37], v[60:61]
	v_fma_f64 v[72:73], -v[68:69], v[58:59], v[56:57]
	;; [unrolled: 1-line block ×3, first 2 shown]
	ds_read_b128 v[36:39], v23 offset:464
	ds_read_b128 v[56:59], v23 offset:448
	s_waitcnt lgkmcnt(3)
	v_fma_f64 v[50:51], -v[9:10], v[50:51], v[66:67]
	v_fma_f64 v[66:67], -v[17:18], v[42:43], v[44:45]
	ds_read_b128 v[30:33], v23 offset:736
	v_fma_f64 v[34:35], -v[5:6], v[34:35], v[60:61]
	s_waitcnt lgkmcnt(2)
	v_fma_f64 v[24:25], -v[1:2], v[38:39], v[24:25]
	v_fma_f64 v[38:39], -v[70:71], v[64:65], v[72:73]
	ds_read_b128 v[42:45], v23 offset:1024
	v_fma_f64 v[60:61], -v[11:12], v[48:49], v[50:51]
	v_fma_f64 v[28:29], -v[19:20], v[28:29], v[66:67]
	ds_read2_b64 v[64:67], v41 offset1:20
	v_fma_f64 v[34:35], -v[7:8], v[54:55], v[34:35]
	v_fma_f64 v[36:37], -v[3:4], v[36:37], v[24:25]
	ds_read_b128 v[48:51], v23 offset:1008
	v_mul_f64 v[72:73], v[62:63], v[38:39]
	s_waitcnt lgkmcnt(1)
	v_fma_f64 v[46:47], -v[1:2], v[46:47], v[66:67]
	v_fma_f64 v[38:39], -v[13:14], v[32:33], v[60:61]
	v_fma_f64 v[66:67], -v[68:69], v[26:27], v[28:29]
	ds_read2_b64 v[24:27], v23 offset0:37 offset1:38
	v_fma_f64 v[52:53], -v[9:10], v[52:53], v[34:35]
	v_fma_f64 v[54:55], -v[5:6], v[58:59], v[36:37]
	ds_read_b128 v[32:35], v23 offset:144
	v_fma_f64 v[44:45], -v[68:69], v[44:45], v[74:75]
	s_waitcnt lgkmcnt(1)
	v_fma_f64 v[46:47], -v[3:4], v[26:27], v[46:47]
	v_fma_f64 v[74:75], -v[15:16], v[30:31], v[38:39]
	ds_read2_b64 v[26:29], v23 offset0:73 offset1:74
	ds_read_b128 v[36:39], v23 offset:128
	s_waitcnt lgkmcnt(2)
	v_fma_f64 v[34:35], -v[1:2], v[34:35], v[64:65]
	v_fma_f64 v[60:61], -v[7:8], v[56:57], v[54:55]
	s_waitcnt lgkmcnt(1)
	v_fma_f64 v[64:65], -v[11:12], v[28:29], v[52:53]
	v_fma_f64 v[62:63], -v[70:71], v[42:43], v[44:45]
	ds_read2_b64 v[42:45], v23 offset0:71 offset1:72
	ds_read_b128 v[28:31], v23 offset:432
	v_fma_f64 v[46:47], -v[5:6], v[24:25], v[46:47]
	v_fma_f64 v[76:77], -v[3:4], v[32:33], v[34:35]
	ds_read_b128 v[52:55], v23 offset:720
	ds_read2_b64 v[56:59], v23 offset0:35 offset1:36
	ds_read_b128 v[32:35], v23 offset:416
	s_waitcnt lgkmcnt(3)
	v_fma_f64 v[30:31], -v[9:10], v[30:31], v[60:61]
	v_fma_f64 v[50:51], -v[72:73], v[50:51], v[62:63]
	;; [unrolled: 1-line block ×3, first 2 shown]
	s_waitcnt lgkmcnt(2)
	v_fma_f64 v[74:75], -v[17:18], v[54:55], v[74:75]
	s_waitcnt lgkmcnt(1)
	v_fma_f64 v[46:47], -v[7:8], v[58:59], v[46:47]
	v_fma_f64 v[38:39], -v[5:6], v[38:39], v[76:77]
	ds_read2_b64 v[58:61], v23 offset0:107 offset1:108
	ds_read2_b64 v[24:27], v23 offset0:33 offset1:34
	v_fma_f64 v[62:63], -v[11:12], v[28:29], v[30:31]
	ds_read2_b64 v[28:31], v23 offset0:105 offset1:106
	v_fma_f64 v[64:65], -v[15:16], v[44:45], v[64:65]
	s_waitcnt lgkmcnt(2)
	v_fma_f64 v[60:61], -v[70:71], v[60:61], v[66:67]
	v_fma_f64 v[46:47], -v[9:10], v[56:57], v[46:47]
	;; [unrolled: 1-line block ×4, first 2 shown]
	ds_read_b128 v[54:57], v23 offset:704
	v_fma_f64 v[62:63], -v[13:14], v[34:35], v[62:63]
	ds_read_b128 v[34:37], v23 offset:112
	v_fma_f64 v[42:43], -v[17:18], v[42:43], v[64:65]
	v_fma_f64 v[74:75], -v[72:73], v[58:59], v[60:61]
	s_waitcnt lgkmcnt(3)
	v_fma_f64 v[26:27], -v[11:12], v[26:27], v[46:47]
	ds_read_b128 v[44:47], v23 offset:96
	s_waitcnt lgkmcnt(1)
	v_fma_f64 v[58:59], -v[9:10], v[36:37], v[38:39]
	v_mul_f64 v[66:67], v[48:49], v[50:51]
	v_fma_f64 v[60:61], -v[15:16], v[32:33], v[62:63]
	ds_read2_b64 v[36:39], v23 offset0:69 offset1:70
	ds_read2_b64 v[48:51], v23 offset0:67 offset1:68
	v_fma_f64 v[52:53], -v[68:69], v[56:57], v[52:53]
	v_fma_f64 v[64:65], -v[13:14], v[24:25], v[26:27]
	ds_read_b128 v[24:27], v23 offset:400
	v_fma_f64 v[76:77], -v[11:12], v[34:35], v[58:59]
	ds_read2_b64 v[32:35], v23 offset0:31 offset1:32
	s_waitcnt lgkmcnt(3)
	v_fma_f64 v[38:39], -v[19:20], v[38:39], v[42:43]
	ds_read_b128 v[56:59], v23 offset:384
	s_waitcnt lgkmcnt(2)
	v_fma_f64 v[26:27], -v[17:18], v[26:27], v[60:61]
	ds_read2_b64 v[60:63], v23 offset0:29 offset1:30
	s_waitcnt lgkmcnt(2)
	v_fma_f64 v[42:43], -v[15:16], v[34:35], v[64:65]
	v_fma_f64 v[52:53], -v[70:71], v[54:55], v[52:53]
	;; [unrolled: 1-line block ×5, first 2 shown]
	ds_read_b128 v[34:37], v23 offset:688
	v_fma_f64 v[54:55], -v[19:20], v[24:25], v[26:27]
	ds_read_b128 v[24:27], v23 offset:80
	v_fma_f64 v[32:33], -v[17:18], v[32:33], v[42:43]
	v_fma_f64 v[42:43], -v[15:16], v[44:45], v[46:47]
	s_waitcnt lgkmcnt(1)
	v_fma_f64 v[36:37], -v[72:73], v[36:37], v[52:53]
	v_fma_f64 v[38:39], -v[70:71], v[50:51], v[38:39]
	v_mul_f64 v[64:65], v[28:29], v[30:31]
	v_fma_f64 v[44:45], -v[68:69], v[58:59], v[54:55]
	ds_read_b128 v[28:31], v23 offset:64
	v_fma_f64 v[46:47], -v[19:20], v[62:63], v[32:33]
	s_waitcnt lgkmcnt(1)
	v_fma_f64 v[26:27], -v[17:18], v[26:27], v[42:43]
	v_fma_f64 v[50:51], -v[66:67], v[34:35], v[36:37]
	v_fma_f64 v[52:53], -v[72:73], v[48:49], v[38:39]
	ds_read_b128 v[32:35], v23 offset:672
	v_fma_f64 v[54:55], -v[70:71], v[56:57], v[44:45]
	ds_read2_b64 v[36:39], v23 offset0:65 offset1:66
	ds_read_b128 v[42:45], v23 offset:368
	v_fma_f64 v[56:57], -v[68:69], v[60:61], v[46:47]
	v_fma_f64 v[58:59], -v[19:20], v[24:25], v[26:27]
	ds_read2_b64 v[24:27], v23 offset0:27 offset1:28
	ds_read2_b64 v[46:49], v23 offset0:63 offset1:64
	s_waitcnt lgkmcnt(4)
	v_fma_f64 v[34:35], -v[64:65], v[34:35], v[50:51]
	s_waitcnt lgkmcnt(3)
	v_fma_f64 v[38:39], -v[66:67], v[38:39], v[52:53]
	;; [unrolled: 2-line block ×3, first 2 shown]
	ds_read2_b64 v[50:53], v23 offset0:25 offset1:26
	s_waitcnt lgkmcnt(2)
	v_fma_f64 v[26:27], -v[70:71], v[26:27], v[56:57]
	v_fma_f64 v[54:55], -v[68:69], v[30:31], v[58:59]
	v_mul_f64 v[56:57], v[32:33], v[34:35]
	v_fma_f64 v[34:35], -v[64:65], v[36:37], v[38:39]
	v_fma_f64 v[36:37], -v[66:67], v[42:43], v[44:45]
	ds_read_b128 v[30:33], v23 offset:352
	v_fma_f64 v[38:39], -v[72:73], v[24:25], v[26:27]
	v_fma_f64 v[28:29], -v[70:71], v[28:29], v[54:55]
	ds_read_b128 v[24:27], v23 offset:48
	s_waitcnt lgkmcnt(3)
	v_fma_f64 v[34:35], -v[56:57], v[48:49], v[34:35]
	s_waitcnt lgkmcnt(1)
	v_fma_f64 v[32:33], -v[64:65], v[32:33], v[36:37]
	v_fma_f64 v[36:37], -v[66:67], v[52:53], v[38:39]
	s_waitcnt lgkmcnt(0)
	v_fma_f64 v[38:39], -v[72:73], v[26:27], v[28:29]
	ds_read_b128 v[26:29], v23 offset:336
	v_mul_f64 v[46:47], v[46:47], v[34:35]
	v_fma_f64 v[42:43], -v[56:57], v[30:31], v[32:33]
	v_fma_f64 v[48:49], -v[64:65], v[50:51], v[36:37]
	;; [unrolled: 1-line block ×3, first 2 shown]
	ds_read2_b64 v[30:33], v23 offset0:23 offset1:24
	ds_read_b128 v[34:37], v23 offset:32
	s_waitcnt lgkmcnt(2)
	v_fma_f64 v[28:29], -v[46:47], v[28:29], v[42:43]
	ds_read2_b64 v[42:45], v23 offset0:21 offset1:22
	s_waitcnt lgkmcnt(2)
	v_fma_f64 v[32:33], -v[56:57], v[32:33], v[48:49]
	s_waitcnt lgkmcnt(1)
	v_fma_f64 v[24:25], -v[64:65], v[36:37], v[24:25]
	v_mul_f64 v[28:29], v[26:27], v[28:29]
	v_fma_f64 v[30:31], -v[46:47], v[30:31], v[32:33]
	v_fma_f64 v[32:33], -v[56:57], v[34:35], v[24:25]
	ds_read_b128 v[24:27], v23 offset:16
	s_waitcnt lgkmcnt(1)
	v_fma_f64 v[30:31], -v[28:29], v[44:45], v[30:31]
	s_waitcnt lgkmcnt(0)
	v_fma_f64 v[26:27], -v[46:47], v[26:27], v[32:33]
	v_mul_f64 v[30:31], v[42:43], v[30:31]
	v_fma_f64 v[32:33], -v[28:29], v[24:25], v[26:27]
	ds_read_b128 v[23:26], v23
	ds_write2_b64 v21, v[3:4], v[1:2] offset0:104 offset1:124
	ds_write2_b64 v21, v[7:8], v[5:6] offset0:64 offset1:84
	s_waitcnt lgkmcnt(2)
	v_fma_f64 v[25:26], -v[30:31], v[25:26], v[32:33]
	v_mul_f64 v[1:2], v[23:24], v[25:26]
	ds_write2_b64 v21, v[11:12], v[9:10] offset0:24 offset1:44
	ds_write2_b64 v22, v[15:16], v[13:14] offset0:112 offset1:132
	;; [unrolled: 1-line block ×7, first 2 shown]
	ds_write2_b64 v41, v[1:2], v[30:31] offset1:20
.LBB89_12:
	s_cmp_gt_i32 s5, -1
	s_cbranch_scc0 .LBB89_31
; %bb.13:
	s_cmp_lt_u32 s5, 15
	s_cbranch_scc1 .LBB89_18
; %bb.14:
	s_mul_i32 s11, s5, 0xa0
	v_add_u32_e32 v33, s11, v41
	v_add_u32_e32 v1, 0xffffff60, v33
	v_add_u32_e32 v2, 0xfffffec0, v33
	v_add_u32_e32 v3, 0xfffffe20, v33
	ds_read_b64 v[5:6], v33
	ds_read_b64 v[31:32], v1
	ds_read_b64 v[7:8], v2
	ds_read_b64 v[11:12], v3
	v_add_u32_e32 v1, 0xfffffd80, v33
	v_add_u32_e32 v2, 0xfffffce0, v33
	v_add_u32_e32 v3, 0xfffffc40, v33
	v_add_u32_e32 v4, 0xfffffba0, v33
	ds_read_b64 v[29:30], v1
	ds_read_b64 v[15:16], v2
	ds_read_b64 v[13:14], v3
	ds_read_b64 v[27:28], v4
	;; [unrolled: 8-line block ×4, first 2 shown]
	s_cmp_le_i32 s4, s5
	s_cbranch_scc1 .LBB89_17
; %bb.15:
	s_mul_i32 s8, s22, 0xa0
	v_lshl_add_u32 v34, v0, 3, s8
	s_lshl_b32 s8, s22, 3
	s_add_i32 s8, s11, s8
	v_add_u32_e32 v34, 0xbe0, v34
	s_addk_i32 s8, 0xf698
	s_mov_b32 s12, s4
.LBB89_16:                              ; =>This Inner Loop Header: Depth=1
	v_mov_b32_e32 v58, s8
	v_add_u32_e32 v62, 0x800, v58
	v_add_u32_e32 v66, 0x400, v58
	ds_read_b64 v[39:40], v34
	ds_read2_b64 v[35:38], v58 offset0:200 offset1:220
	ds_read2_b64 v[42:45], v58 offset0:160 offset1:180
	;; [unrolled: 1-line block ×5, first 2 shown]
	ds_read2_b64 v[58:61], v58 offset1:20
	ds_read2_b64 v[62:65], v62 offset0:24 offset1:44
	ds_read2_b64 v[66:69], v66 offset0:112 offset1:132
	s_add_i32 s12, s12, -1
	s_add_i32 s8, s8, -8
	s_cmp_gt_i32 s12, s5
	s_waitcnt lgkmcnt(7)
	v_fma_f64 v[29:30], -v[39:40], v[37:38], v[29:30]
	v_fma_f64 v[15:16], -v[39:40], v[35:36], v[15:16]
	s_waitcnt lgkmcnt(6)
	v_fma_f64 v[13:14], -v[39:40], v[44:45], v[13:14]
	v_fma_f64 v[27:28], -v[39:40], v[42:43], v[27:28]
	;; [unrolled: 3-line block ×8, first 2 shown]
	v_add_u32_e32 v34, 0xffffff60, v34
	s_cbranch_scc1 .LBB89_16
.LBB89_17:
	s_mul_i32 s8, s5, 0xa8
	v_mov_b32_e32 v34, s8
	ds_read_b64 v[38:39], v34
	s_addk_i32 s11, 0xff60
	s_lshl_b32 s8, s5, 3
	s_add_i32 s8, s11, s8
	s_add_i32 s12, s8, -8
	s_waitcnt lgkmcnt(0)
	v_mul_f64 v[5:6], v[38:39], v[5:6]
	v_mov_b32_e32 v34, s12
	ds_read2_b64 v[34:37], v34 offset1:1
	s_add_i32 s12, s8, 0xffffff60
	s_add_i32 s13, s8, 0xffffff50
	;; [unrolled: 1-line block ×5, first 2 shown]
	s_waitcnt lgkmcnt(0)
	v_fma_f64 v[31:32], -v[5:6], v[36:37], v[31:32]
	v_mov_b32_e32 v36, s12
	ds_read_b64 v[42:43], v36
	v_mov_b32_e32 v36, s13
	ds_read2_b64 v[36:39], v36 offset1:1
	s_add_i32 s12, s8, 0xfffffe10
	s_add_i32 s13, s8, 0xfffffd78
	s_waitcnt lgkmcnt(1)
	v_fma_f64 v[50:51], -v[5:6], v[42:43], v[7:8]
	v_mul_f64 v[7:8], v[34:35], v[31:32]
	v_mov_b32_e32 v31, s14
	ds_read2_b64 v[42:45], v31 offset1:1
	v_mov_b32_e32 v34, s16
	ds_read_b64 v[34:35], v34
	v_mov_b32_e32 v31, s15
	ds_read2_b64 v[46:49], v31 offset1:1
	s_waitcnt lgkmcnt(2)
	v_fma_f64 v[11:12], -v[5:6], v[44:45], v[11:12]
	v_fma_f64 v[31:32], -v[7:8], v[38:39], v[50:51]
	v_mov_b32_e32 v38, s12
	ds_read2_b64 v[50:53], v38 offset1:1
	s_waitcnt lgkmcnt(2)
	v_fma_f64 v[38:39], -v[5:6], v[34:35], v[29:30]
	s_add_i32 s17, s8, 0xfffffe00
	v_mov_b32_e32 v44, s13
	v_mov_b32_e32 v40, s17
	v_fma_f64 v[42:43], -v[7:8], v[42:43], v[11:12]
	v_mul_f64 v[11:12], v[36:37], v[31:32]
	ds_read2_b64 v[29:32], v44 offset1:1
	ds_read2_b64 v[34:37], v40 offset1:1
	s_add_i32 s12, s8, 0xfffffce0
	v_mov_b32_e32 v40, s12
	ds_read_b64 v[54:55], v40
	s_waitcnt lgkmcnt(2)
	v_fma_f64 v[15:16], -v[5:6], v[31:32], v[15:16]
	v_fma_f64 v[31:32], -v[7:8], v[52:53], v[38:39]
	s_add_i32 s12, s8, 0xfffffd68
	v_fma_f64 v[38:39], -v[11:12], v[48:49], v[42:43]
	s_waitcnt lgkmcnt(0)
	v_fma_f64 v[52:53], -v[5:6], v[54:55], v[13:14]
	s_add_i32 s13, s8, 0xfffffcd0
	v_mov_b32_e32 v40, s13
	ds_read2_b64 v[42:45], v40 offset1:1
	v_fma_f64 v[15:16], -v[7:8], v[29:30], v[15:16]
	v_fma_f64 v[50:51], -v[11:12], v[50:51], v[31:32]
	v_mov_b32_e32 v29, s12
	v_mul_f64 v[13:14], v[46:47], v[38:39]
	ds_read2_b64 v[29:32], v29 offset1:1
	s_add_i32 s12, s8, 0xfffffd58
	v_mov_b32_e32 v38, s12
	ds_read2_b64 v[46:49], v38 offset1:1
	s_waitcnt lgkmcnt(2)
	v_fma_f64 v[44:45], -v[7:8], v[44:45], v[52:53]
	s_waitcnt lgkmcnt(1)
	v_fma_f64 v[15:16], -v[11:12], v[31:32], v[15:16]
	s_add_i32 s13, s8, 0xfffffc38
	v_fma_f64 v[31:32], -v[13:14], v[36:37], v[50:51]
	v_mov_b32_e32 v36, s13
	ds_read2_b64 v[36:39], v36 offset1:1
	s_add_i32 s12, s8, 0xfffffcc0
	v_mov_b32_e32 v40, s12
	s_add_i32 s12, s8, 0xfffffc28
	v_fma_f64 v[56:57], -v[13:14], v[29:30], v[15:16]
	v_fma_f64 v[54:55], -v[11:12], v[42:43], v[44:45]
	v_mul_f64 v[15:16], v[34:35], v[31:32]
	v_mov_b32_e32 v34, s12
	ds_read2_b64 v[42:45], v34 offset1:1
	s_waitcnt lgkmcnt(1)
	v_fma_f64 v[27:28], -v[5:6], v[38:39], v[27:28]
	ds_read2_b64 v[29:32], v40 offset1:1
	s_add_i32 s12, s8, 0xfffffcb0
	v_mov_b32_e32 v34, s12
	s_add_i32 s12, s8, 0xfffffba0
	ds_read2_b64 v[50:53], v34 offset1:1
	s_waitcnt lgkmcnt(1)
	v_fma_f64 v[31:32], -v[13:14], v[31:32], v[54:55]
	s_add_i32 s13, s8, 0xfffffad8
	v_fma_f64 v[36:37], -v[7:8], v[36:37], v[27:28]
	v_mov_b32_e32 v27, s12
	ds_read_b64 v[38:39], v27
	v_fma_f64 v[34:35], -v[15:16], v[48:49], v[56:57]
	s_add_i32 s12, s8, 0xfffffb90
	v_mov_b32_e32 v27, s12
	v_fma_f64 v[31:32], -v[15:16], v[29:30], v[31:32]
	s_waitcnt lgkmcnt(0)
	v_fma_f64 v[38:39], -v[5:6], v[38:39], v[19:20]
	v_fma_f64 v[36:37], -v[11:12], v[44:45], v[36:37]
	ds_read2_b64 v[27:30], v27 offset1:1
	s_add_i32 s12, s8, 0xfffffc18
	v_mul_f64 v[19:20], v[46:47], v[34:35]
	s_add_i32 s5, s5, -16
	s_waitcnt lgkmcnt(0)
	v_fma_f64 v[38:39], -v[7:8], v[29:30], v[38:39]
	v_fma_f64 v[46:47], -v[13:14], v[42:43], v[36:37]
	v_mov_b32_e32 v29, s12
	s_add_i32 s12, s8, 0xfffffc08
	v_mov_b32_e32 v34, s12
	v_fma_f64 v[60:61], -v[19:20], v[52:53], v[31:32]
	ds_read2_b64 v[29:32], v29 offset1:1
	ds_read2_b64 v[34:37], v34 offset1:1
	s_add_i32 s12, s8, 0xfffffb80
	v_fma_f64 v[27:28], -v[11:12], v[27:28], v[38:39]
	v_mov_b32_e32 v38, s12
	s_waitcnt lgkmcnt(1)
	v_fma_f64 v[31:32], -v[15:16], v[31:32], v[46:47]
	ds_read2_b64 v[42:45], v38 offset1:1
	s_add_i32 s12, s8, 0xfffffb70
	v_mov_b32_e32 v38, s12
	s_add_i32 s12, s8, 0xfffffaf8
	ds_read2_b64 v[46:49], v38 offset1:1
	v_mov_b32_e32 v38, s12
	ds_read2_b64 v[52:55], v38 offset1:1
	s_waitcnt lgkmcnt(2)
	v_fma_f64 v[27:28], -v[13:14], v[44:45], v[27:28]
	s_add_i32 s12, s8, 0xfffffae8
	v_mov_b32_e32 v38, s12
	s_add_i32 s12, s8, 0xfffffa60
	v_fma_f64 v[29:30], -v[19:20], v[29:30], v[31:32]
	v_mov_b32_e32 v31, s12
	ds_read2_b64 v[56:59], v38 offset1:1
	ds_read_b64 v[31:32], v31
	s_waitcnt lgkmcnt(2)
	v_fma_f64 v[38:39], -v[5:6], v[54:55], v[23:24]
	v_fma_f64 v[27:28], -v[15:16], v[42:43], v[27:28]
	v_mul_f64 v[23:24], v[50:51], v[60:61]
	s_add_i32 s12, s8, 0xfffffa50
	s_waitcnt lgkmcnt(0)
	v_fma_f64 v[44:45], -v[5:6], v[31:32], v[25:26]
	v_mov_b32_e32 v25, s12
	s_add_i32 s12, s8, 0xfffffa40
	v_fma_f64 v[38:39], -v[7:8], v[52:53], v[38:39]
	v_fma_f64 v[42:43], -v[19:20], v[48:49], v[27:28]
	ds_read2_b64 v[25:28], v25 offset1:1
	v_fma_f64 v[36:37], -v[23:24], v[36:37], v[29:30]
	v_mov_b32_e32 v29, s12
	ds_read2_b64 v[29:32], v29 offset1:1
	s_add_i32 s12, s8, 0xfffffb60
	s_waitcnt lgkmcnt(1)
	v_fma_f64 v[27:28], -v[7:8], v[27:28], v[44:45]
	v_fma_f64 v[38:39], -v[11:12], v[58:59], v[38:39]
	v_fma_f64 v[46:47], -v[23:24], v[46:47], v[42:43]
	v_mov_b32_e32 v40, s12
	s_add_i32 s12, s8, 0xfffffac8
	v_mul_f64 v[54:55], v[34:35], v[36:37]
	v_mov_b32_e32 v34, s12
	s_add_i32 s12, s8, 0xfffff9b8
	v_fma_f64 v[42:43], -v[11:12], v[25:26], v[27:28]
	v_fma_f64 v[38:39], -v[13:14], v[56:57], v[38:39]
	v_mov_b32_e32 v25, s13
	ds_read2_b64 v[25:28], v25 offset1:1
	ds_read2_b64 v[34:37], v34 offset1:1
	s_add_i32 s13, s8, 0xfffff9a8
	s_waitcnt lgkmcnt(2)
	v_fma_f64 v[31:32], -v[13:14], v[31:32], v[42:43]
	s_waitcnt lgkmcnt(1)
	v_fma_f64 v[27:28], -v[15:16], v[27:28], v[38:39]
	ds_read2_b64 v[42:45], v40 offset1:1
	s_waitcnt lgkmcnt(0)
	v_fma_f64 v[48:49], -v[54:55], v[44:45], v[46:47]
	v_fma_f64 v[50:51], -v[15:16], v[29:30], v[31:32]
	;; [unrolled: 1-line block ×3, first 2 shown]
	v_mov_b32_e32 v25, s12
	ds_read2_b64 v[25:28], v25 offset1:1
	s_add_i32 s12, s8, 0xfffffa30
	v_mov_b32_e32 v29, s13
	ds_read2_b64 v[29:32], v29 offset1:1
	v_mul_f64 v[56:57], v[42:43], v[48:49]
	s_waitcnt lgkmcnt(1)
	v_fma_f64 v[21:22], -v[5:6], v[27:28], v[21:22]
	v_mov_b32_e32 v27, s12
	ds_read2_b64 v[44:47], v27 offset1:1
	v_fma_f64 v[27:28], -v[23:24], v[36:37], v[38:39]
	s_add_i32 s12, s8, 0xfffffa20
	v_mov_b32_e32 v36, s12
	s_add_i32 s12, s8, 0xfffffab8
	s_waitcnt lgkmcnt(0)
	v_fma_f64 v[46:47], -v[19:20], v[46:47], v[50:51]
	v_fma_f64 v[21:22], -v[7:8], v[25:26], v[21:22]
	v_mov_b32_e32 v25, s12
	s_add_i32 s12, s8, 0xfffff998
	v_fma_f64 v[34:35], -v[54:55], v[34:35], v[27:28]
	ds_read2_b64 v[25:28], v25 offset1:1
	ds_read2_b64 v[36:39], v36 offset1:1
	s_add_i32 s13, s8, 0xfffff858
	v_fma_f64 v[42:43], -v[23:24], v[44:45], v[46:47]
	v_fma_f64 v[21:22], -v[11:12], v[31:32], v[21:22]
	s_waitcnt lgkmcnt(1)
	v_fma_f64 v[34:35], -v[56:57], v[27:28], v[34:35]
	v_mov_b32_e32 v27, s12
	s_add_i32 s12, s8, 0xfffff920
	v_mov_b32_e32 v28, s12
	ds_read_b64 v[31:32], v28
	s_add_i32 s12, s8, 0xfffff988
	v_fma_f64 v[21:22], -v[13:14], v[29:30], v[21:22]
	v_mov_b32_e32 v40, s12
	s_add_i32 s12, s8, 0xfffff910
	s_waitcnt lgkmcnt(0)
	v_fma_f64 v[17:18], -v[5:6], v[31:32], v[17:18]
	v_mov_b32_e32 v31, s12
	v_fma_f64 v[38:39], -v[54:55], v[38:39], v[42:43]
	ds_read2_b64 v[27:30], v27 offset1:1
	ds_read2_b64 v[42:45], v40 offset1:1
	ds_read2_b64 v[46:49], v31 offset1:1
	s_add_i32 s12, s8, 0xfffff900
	v_mul_f64 v[58:59], v[25:26], v[34:35]
	s_waitcnt lgkmcnt(2)
	v_fma_f64 v[21:22], -v[15:16], v[29:30], v[21:22]
	v_mov_b32_e32 v29, s12
	s_waitcnt lgkmcnt(0)
	v_fma_f64 v[17:18], -v[7:8], v[48:49], v[17:18]
	s_add_i32 s12, s8, 0xfffffa10
	v_mov_b32_e32 v25, s12
	s_add_i32 s12, s8, 0xfffff878
	ds_read2_b64 v[29:32], v29 offset1:1
	v_mov_b32_e32 v34, s12
	v_fma_f64 v[21:22], -v[19:20], v[27:28], v[21:22]
	v_fma_f64 v[38:39], -v[56:57], v[36:37], v[38:39]
	;; [unrolled: 1-line block ×3, first 2 shown]
	ds_read2_b64 v[34:37], v34 offset1:1
	s_add_i32 s12, s8, 0xfffff868
	ds_read2_b64 v[25:28], v25 offset1:1
	v_fma_f64 v[21:22], -v[23:24], v[44:45], v[21:22]
	s_waitcnt lgkmcnt(2)
	v_fma_f64 v[17:18], -v[13:14], v[31:32], v[17:18]
	v_mov_b32_e32 v31, s12
	ds_read2_b64 v[44:47], v31 offset1:1
	s_waitcnt lgkmcnt(2)
	v_fma_f64 v[9:10], -v[5:6], v[36:37], v[9:10]
	s_add_i32 s12, s8, 0xfffff978
	s_waitcnt lgkmcnt(1)
	v_fma_f64 v[31:32], -v[58:59], v[27:28], v[38:39]
	v_mov_b32_e32 v27, s12
	s_add_i32 s12, s8, 0xfffff8f0
	v_fma_f64 v[17:18], -v[15:16], v[29:30], v[17:18]
	ds_read2_b64 v[36:39], v27 offset1:1
	v_mov_b32_e32 v27, s12
	v_fma_f64 v[9:10], -v[7:8], v[34:35], v[9:10]
	ds_read2_b64 v[27:30], v27 offset1:1
	s_add_i32 s12, s8, 0xfffff8e0
	v_mov_b32_e32 v34, s12
	ds_read2_b64 v[48:51], v34 offset1:1
	v_fma_f64 v[21:22], -v[54:55], v[42:43], v[21:22]
	s_waitcnt lgkmcnt(1)
	v_fma_f64 v[17:18], -v[19:20], v[29:30], v[17:18]
	v_mul_f64 v[60:61], v[25:26], v[31:32]
	v_fma_f64 v[9:10], -v[11:12], v[46:47], v[9:10]
	v_mov_b32_e32 v25, s13
	s_add_i32 s13, s8, 0xfffff848
	v_mov_b32_e32 v29, s13
	s_add_i32 s13, s8, 0xfffff7e0
	v_fma_f64 v[21:22], -v[56:57], v[38:39], v[21:22]
	v_fma_f64 v[17:18], -v[23:24], v[27:28], v[17:18]
	ds_read2_b64 v[25:28], v25 offset1:1
	ds_read2_b64 v[29:32], v29 offset1:1
	v_fma_f64 v[9:10], -v[13:14], v[44:45], v[9:10]
	v_mov_b32_e32 v34, s13
	ds_read_b64 v[38:39], v34
	s_add_i32 s12, s8, 0xfffff968
	v_fma_f64 v[21:22], -v[58:59], v[36:37], v[21:22]
	s_waitcnt lgkmcnt(3)
	v_fma_f64 v[17:18], -v[54:55], v[50:51], v[17:18]
	s_waitcnt lgkmcnt(0)
	v_fma_f64 v[3:4], -v[5:6], v[38:39], v[3:4]
	v_fma_f64 v[9:10], -v[15:16], v[27:28], v[9:10]
	v_mov_b32_e32 v27, s12
	s_add_i32 s12, s8, 0xfffff7d0
	ds_read2_b64 v[34:37], v27 offset1:1
	v_mov_b32_e32 v27, s12
	ds_read2_b64 v[42:45], v27 offset1:1
	s_add_i32 s12, s8, 0xfffff7c0
	v_fma_f64 v[17:18], -v[56:57], v[48:49], v[17:18]
	v_fma_f64 v[9:10], -v[19:20], v[25:26], v[9:10]
	v_mov_b32_e32 v25, s12
	s_add_i32 s12, s8, 0xfffff8d0
	v_mov_b32_e32 v40, s12
	s_add_i32 s12, s8, 0xfffff738
	s_waitcnt lgkmcnt(0)
	v_fma_f64 v[3:4], -v[7:8], v[44:45], v[3:4]
	ds_read2_b64 v[25:28], v25 offset1:1
	v_fma_f64 v[21:22], -v[60:61], v[36:37], v[21:22]
	v_fma_f64 v[9:10], -v[23:24], v[31:32], v[9:10]
	v_mov_b32_e32 v31, s12
	ds_read2_b64 v[44:47], v31 offset1:1
	s_add_i32 s12, s8, 0xfffff728
	v_fma_f64 v[31:32], -v[11:12], v[42:43], v[3:4]
	v_mov_b32_e32 v3, s12
	s_waitcnt lgkmcnt(0)
	v_fma_f64 v[38:39], -v[5:6], v[46:47], v[1:2]
	ds_read2_b64 v[48:51], v3 offset1:1
	ds_read2_b64 v[1:4], v40 offset1:1
	s_add_i32 s12, s8, 0xfffff838
	v_fma_f64 v[9:10], -v[54:55], v[29:30], v[9:10]
	v_mov_b32_e32 v29, s12
	v_fma_f64 v[27:28], -v[13:14], v[27:28], v[31:32]
	s_waitcnt lgkmcnt(0)
	v_fma_f64 v[3:4], -v[58:59], v[3:4], v[17:18]
	v_fma_f64 v[17:18], -v[7:8], v[44:45], v[38:39]
	s_add_i32 s12, s8, 0xfffff828
	v_mov_b32_e32 v36, s12
	s_add_i32 s12, s8, 0xfffff7b0
	v_mul_f64 v[21:22], v[34:35], v[21:22]
	v_fma_f64 v[46:47], -v[15:16], v[25:26], v[27:28]
	v_mov_b32_e32 v25, s12
	v_fma_f64 v[17:18], -v[11:12], v[50:51], v[17:18]
	ds_read2_b64 v[25:28], v25 offset1:1
	ds_read2_b64 v[29:32], v29 offset1:1
	;; [unrolled: 1-line block ×3, first 2 shown]
	s_add_i32 s12, s8, 0xfffff7a0
	v_mov_b32_e32 v40, s12
	s_add_i32 s12, s8, 0xfffff718
	ds_read2_b64 v[42:45], v40 offset1:1
	v_mov_b32_e32 v40, s12
	s_waitcnt lgkmcnt(3)
	v_fma_f64 v[27:28], -v[19:20], v[27:28], v[46:47]
	v_fma_f64 v[17:18], -v[13:14], v[48:49], v[17:18]
	ds_read2_b64 v[46:49], v40 offset1:1
	s_add_i32 s12, s8, 0xfffff708
	s_waitcnt lgkmcnt(3)
	v_fma_f64 v[9:10], -v[56:57], v[31:32], v[9:10]
	v_mov_b32_e32 v31, s12
	ds_read2_b64 v[50:53], v31 offset1:1
	s_add_i32 s12, s8, 0xfffff8c0
	v_fma_f64 v[25:26], -v[23:24], v[25:26], v[27:28]
	s_waitcnt lgkmcnt(1)
	v_fma_f64 v[17:18], -v[15:16], v[48:49], v[17:18]
	v_fma_f64 v[27:28], -v[60:61], v[1:2], v[3:4]
	v_mov_b32_e32 v1, s12
	v_fma_f64 v[9:10], -v[58:59], v[29:30], v[9:10]
	ds_read2_b64 v[1:4], v1 offset1:1
	s_add_i32 s12, s8, 0xfffff790
	v_fma_f64 v[25:26], -v[54:55], v[44:45], v[25:26]
	v_fma_f64 v[17:18], -v[19:20], v[46:47], v[17:18]
	s_waitcnt lgkmcnt(0)
	v_fma_f64 v[3:4], -v[21:22], v[3:4], v[27:28]
	v_fma_f64 v[9:10], -v[60:61], v[38:39], v[9:10]
	;; [unrolled: 1-line block ×4, first 2 shown]
	v_mov_b32_e32 v25, s12
	s_add_i32 s12, s8, 0xfffff780
	v_mov_b32_e32 v29, s12
	s_add_i32 s12, s8, 0xfffff6f8
	v_mov_b32_e32 v38, s12
	ds_read2_b64 v[25:28], v25 offset1:1
	ds_read2_b64 v[29:32], v29 offset1:1
	;; [unrolled: 1-line block ×3, first 2 shown]
	v_fma_f64 v[17:18], -v[54:55], v[50:51], v[17:18]
	s_add_i32 s12, s8, 0xfffff6e8
	s_waitcnt lgkmcnt(2)
	v_fma_f64 v[27:28], -v[58:59], v[27:28], v[34:35]
	v_mov_b32_e32 v34, s12
	ds_read2_b64 v[46:49], v34 offset1:1
	v_mul_f64 v[34:35], v[1:2], v[3:4]
	v_fma_f64 v[9:10], -v[21:22], v[36:37], v[9:10]
	s_add_i32 s12, s8, 0xfffff818
	s_waitcnt lgkmcnt(1)
	v_fma_f64 v[17:18], -v[56:57], v[44:45], v[17:18]
	v_mov_b32_e32 v1, s12
	v_fma_f64 v[25:26], -v[60:61], v[25:26], v[27:28]
	ds_read2_b64 v[1:4], v1 offset1:1
	ds_write_b64 v33, v[5:6]
	v_add_u32_e32 v27, s11, v41
	s_add_i32 s11, s8, 0xfffff770
	ds_write_b64 v27, v[7:8]
	v_fma_f64 v[17:18], -v[58:59], v[42:43], v[17:18]
	s_waitcnt lgkmcnt(2)
	v_fma_f64 v[3:4], -v[34:35], v[3:4], v[9:10]
	v_fma_f64 v[9:10], -v[21:22], v[31:32], v[25:26]
	v_add_u32_e32 v28, 0xffffff60, v27
	ds_write_b64 v28, v[11:12]
	v_add_u32_e32 v11, 0xfffffec0, v27
	ds_write_b64 v11, v[13:14]
	v_add_u32_e32 v11, 0xfffffce0, v27
	v_fma_f64 v[5:6], -v[60:61], v[48:49], v[17:18]
	v_mul_f64 v[17:18], v[1:2], v[3:4]
	v_fma_f64 v[9:10], -v[34:35], v[29:30], v[9:10]
	v_mov_b32_e32 v1, s11
	s_add_i32 s11, s8, 0xfffff6d8
	ds_read2_b64 v[1:4], v1 offset1:1
	s_addk_i32 s8, 0xf6c8
	v_fma_f64 v[25:26], -v[21:22], v[46:47], v[5:6]
	v_mov_b32_e32 v5, s11
	ds_read2_b64 v[5:8], v5 offset1:1
	s_waitcnt lgkmcnt(1)
	v_fma_f64 v[3:4], -v[17:18], v[3:4], v[9:10]
	v_add_u32_e32 v9, 0xfffffe20, v27
	ds_write_b64 v9, v[15:16]
	v_add_u32_e32 v9, 0xfffffd80, v27
	ds_write_b64 v9, v[19:20]
	s_waitcnt lgkmcnt(2)
	v_fma_f64 v[7:8], -v[34:35], v[7:8], v[25:26]
	ds_write_b64 v11, v[23:24]
	v_mul_f64 v[9:10], v[1:2], v[3:4]
	v_mov_b32_e32 v1, s8
	ds_read2_b64 v[1:4], v1 offset1:1
	v_fma_f64 v[5:6], -v[17:18], v[5:6], v[7:8]
	v_add_u32_e32 v7, 0xfffffc40, v27
	ds_write_b64 v7, v[54:55]
	v_add_u32_e32 v7, 0xfffffba0, v27
	ds_write_b64 v7, v[56:57]
	s_waitcnt lgkmcnt(2)
	v_fma_f64 v[3:4], -v[9:10], v[3:4], v[5:6]
	v_add_u32_e32 v5, 0xfffffb00, v27
	ds_write_b64 v5, v[58:59]
	v_add_u32_e32 v5, 0xfffffa60, v27
	ds_write_b64 v5, v[60:61]
	;; [unrolled: 2-line block ×3, first 2 shown]
	v_mul_f64 v[1:2], v[1:2], v[3:4]
	v_add_u32_e32 v3, 0xfffff920, v27
	ds_write_b64 v3, v[34:35]
	v_add_u32_e32 v3, 0xfffff880, v27
	ds_write_b64 v3, v[17:18]
	;; [unrolled: 2-line block ×4, first 2 shown]
.LBB89_18:
	s_cmp_lt_i32 s5, 0
	s_cbranch_scc1 .LBB89_31
; %bb.19:
	s_bitcmp1_b32 s5, 0
	s_cselect_b64 s[12:13], -1, 0
	s_and_b64 vcc, exec, s[12:13]
	s_mov_b32 s8, s5
	s_cbranch_vccnz .LBB89_24
; %bb.20:
	s_mul_i32 s8, s5, 0xa0
	v_add_u32_e32 v3, s8, v41
	ds_read_b64 v[1:2], v3
	s_cmp_le_i32 s4, s5
	s_cbranch_scc1 .LBB89_23
; %bb.21:
	s_lshl_b32 s11, s22, 3
	s_add_i32 s8, s8, s11
	s_mul_i32 s11, s22, 0xa0
	v_lshl_add_u32 v4, v0, 3, s11
	s_add_i32 s8, s8, -8
	v_add_u32_e32 v4, 0xbe0, v4
	s_mov_b32 s11, s4
.LBB89_22:                              ; =>This Inner Loop Header: Depth=1
	v_mov_b32_e32 v7, s8
	ds_read_b64 v[5:6], v4
	ds_read_b64 v[7:8], v7
	s_add_i32 s11, s11, -1
	s_add_i32 s8, s8, -8
	s_cmp_gt_i32 s11, s5
	v_add_u32_e32 v4, 0xffffff60, v4
	s_waitcnt lgkmcnt(0)
	v_fma_f64 v[1:2], -v[5:6], v[7:8], v[1:2]
	s_cbranch_scc1 .LBB89_22
.LBB89_23:
	s_mul_i32 s8, s5, 0xa8
	v_mov_b32_e32 v4, s8
	ds_read_b64 v[4:5], v4
	s_add_i32 s8, s5, -1
	s_waitcnt lgkmcnt(0)
	v_mul_f64 v[1:2], v[4:5], v[1:2]
	ds_write_b64 v3, v[1:2]
.LBB89_24:
	s_cmp_eq_u32 s5, 0
	s_cbranch_scc1 .LBB89_31
; %bb.25:
	s_mul_i32 s5, s8, 0xa0
	s_lshl_b32 s11, s22, 3
	s_mul_i32 s12, s22, 0xa0
	s_add_i32 s11, s5, s11
	v_lshl_add_u32 v1, v0, 3, s12
	s_add_i32 s5, s11, -8
	v_add_u32_e32 v5, 0xbe0, v1
	s_addk_i32 s11, 0xff58
	s_branch .LBB89_27
.LBB89_26:                              ;   in Loop: Header=BB89_27 Depth=1
	s_addk_i32 s12, 0xff58
	v_mov_b32_e32 v1, s12
	ds_read_b64 v[1:2], v1
	s_add_i32 s12, s8, -2
	s_addk_i32 s5, 0xfec0
	s_addk_i32 s11, 0xfec0
	s_cmp_lt_i32 s8, 2
	s_waitcnt lgkmcnt(0)
	v_mul_f64 v[1:2], v[1:2], v[3:4]
	s_mov_b32 s8, s12
	ds_write_b64 v7, v[1:2]
	s_cbranch_scc1 .LBB89_31
.LBB89_27:                              ; =>This Loop Header: Depth=1
                                        ;     Child Loop BB89_28 Depth 2
                                        ;     Child Loop BB89_30 Depth 2
	s_mul_i32 s13, s8, 0xa0
	v_add_u32_e32 v6, s13, v41
	ds_read_b64 v[1:2], v6
	s_cmp_le_i32 s4, s8
	v_mov_b32_e32 v3, v5
	s_mov_b32 s12, s5
	s_mov_b32 s14, s4
	s_cbranch_scc1 .LBB89_29
.LBB89_28:                              ;   Parent Loop BB89_27 Depth=1
                                        ; =>  This Inner Loop Header: Depth=2
	v_mov_b32_e32 v4, s12
	ds_read_b64 v[7:8], v3
	ds_read_b64 v[9:10], v4
	s_add_i32 s14, s14, -1
	s_add_i32 s12, s12, -8
	s_cmp_gt_i32 s14, s8
	v_add_u32_e32 v3, 0xffffff60, v3
	s_waitcnt lgkmcnt(0)
	v_fma_f64 v[1:2], -v[7:8], v[9:10], v[1:2]
	s_cbranch_scc1 .LBB89_28
.LBB89_29:                              ;   in Loop: Header=BB89_27 Depth=1
	s_mul_i32 s12, s8, 0xa8
	v_mov_b32_e32 v3, s12
	ds_read_b64 v[8:9], v3
	s_addk_i32 s13, 0xff60
	v_add_u32_e32 v7, s13, v41
	ds_read_b64 v[3:4], v7
	s_mov_b32 s13, s11
	s_waitcnt lgkmcnt(1)
	v_mul_f64 v[8:9], v[8:9], v[1:2]
	v_mov_b32_e32 v1, v5
	s_cmp_le_i32 s22, s8
	s_mov_b32 s14, s22
	ds_write_b64 v6, v[8:9]
	s_cbranch_scc1 .LBB89_26
.LBB89_30:                              ;   Parent Loop BB89_27 Depth=1
                                        ; =>  This Inner Loop Header: Depth=2
	v_mov_b32_e32 v2, s13
	ds_read_b64 v[8:9], v1
	ds_read_b64 v[10:11], v2
	s_add_i32 s14, s14, -1
	s_add_i32 s13, s13, -8
	s_cmp_gt_i32 s14, s8
	v_add_u32_e32 v1, 0xffffff60, v1
	s_waitcnt lgkmcnt(0)
	v_fma_f64 v[3:4], -v[8:9], v[10:11], v[3:4]
	s_cbranch_scc1 .LBB89_30
	s_branch .LBB89_26
.LBB89_31:
	s_mov_b64 s[4:5], 0
.LBB89_32:
	s_and_b64 vcc, exec, s[4:5]
	s_cbranch_vccz .LBB89_46
; %bb.33:
	s_cmp_gt_i32 s10, 19
	s_cselect_b64 s[4:5], -1, 0
	s_mov_b32 s11, 0
	s_and_b64 vcc, exec, s[4:5]
	s_cbranch_vccz .LBB89_35
; %bb.34:
	v_add_u32_e32 v72, 0x400, v41
	v_add_u32_e32 v42, 0x800, v41
	v_mov_b32_e32 v43, 0
	ds_read2_b64 v[5:8], v41 offset1:20
	ds_read2_b64 v[11:14], v41 offset0:40 offset1:60
	ds_read2_b64 v[15:18], v41 offset0:80 offset1:100
	;; [unrolled: 1-line block ×9, first 2 shown]
	ds_read_b128 v[48:51], v43
	s_movk_i32 s8, 0x800
	s_mov_b32 s11, 20
	s_waitcnt lgkmcnt(0)
	v_mul_f64 v[23:24], v[48:49], v[5:6]
	v_fma_f64 v[9:10], -v[23:24], v[50:51], v[7:8]
	ds_read2_b64 v[5:8], v43 offset0:21 offset1:22
	s_waitcnt lgkmcnt(0)
	v_mul_f64 v[9:10], v[5:6], v[9:10]
	ds_write2_b64 v41, v[23:24], v[9:10] offset1:20
	ds_read_b128 v[48:51], v43 offset:16
	ds_read_b128 v[52:55], v43 offset:32
	s_waitcnt lgkmcnt(1)
	v_fma_f64 v[5:6], -v[23:24], v[48:49], v[11:12]
	v_fma_f64 v[11:12], -v[9:10], v[7:8], v[5:6]
	ds_read_b128 v[5:8], v43 offset:336
	s_waitcnt lgkmcnt(0)
	v_mul_f64 v[11:12], v[5:6], v[11:12]
	v_fma_f64 v[5:6], -v[23:24], v[50:51], v[13:14]
	ds_read2_b64 v[48:51], v43 offset0:23 offset1:24
	s_waitcnt lgkmcnt(0)
	v_fma_f64 v[5:6], -v[9:10], v[48:49], v[5:6]
	v_fma_f64 v[13:14], -v[11:12], v[7:8], v[5:6]
	ds_read2_b64 v[5:8], v43 offset0:63 offset1:64
	s_waitcnt lgkmcnt(0)
	v_mul_f64 v[13:14], v[5:6], v[13:14]
	v_fma_f64 v[5:6], -v[23:24], v[52:53], v[15:16]
	ds_write2_b64 v41, v[11:12], v[13:14] offset0:40 offset1:60
	v_fma_f64 v[5:6], -v[9:10], v[50:51], v[5:6]
	ds_read_b128 v[48:51], v43 offset:352
	s_waitcnt lgkmcnt(0)
	v_fma_f64 v[5:6], -v[11:12], v[48:49], v[5:6]
	v_fma_f64 v[15:16], -v[13:14], v[7:8], v[5:6]
	ds_read_b128 v[5:8], v43 offset:672
	s_waitcnt lgkmcnt(0)
	v_mul_f64 v[15:16], v[5:6], v[15:16]
	v_fma_f64 v[5:6], -v[23:24], v[54:55], v[17:18]
	ds_read2_b64 v[52:55], v43 offset0:25 offset1:26
	s_waitcnt lgkmcnt(0)
	v_fma_f64 v[5:6], -v[9:10], v[52:53], v[5:6]
	v_fma_f64 v[5:6], -v[11:12], v[50:51], v[5:6]
	ds_read2_b64 v[48:51], v43 offset0:65 offset1:66
	s_waitcnt lgkmcnt(0)
	v_fma_f64 v[5:6], -v[13:14], v[48:49], v[5:6]
	v_fma_f64 v[17:18], -v[15:16], v[7:8], v[5:6]
	ds_read2_b64 v[5:8], v43 offset0:105 offset1:106
	s_waitcnt lgkmcnt(0)
	v_mul_f64 v[17:18], v[5:6], v[17:18]
	ds_write2_b64 v41, v[15:16], v[17:18] offset0:80 offset1:100
	ds_read_b128 v[56:59], v43 offset:48
	ds_read_b128 v[60:63], v43 offset:64
	s_waitcnt lgkmcnt(1)
	v_fma_f64 v[5:6], -v[23:24], v[56:57], v[19:20]
	v_fma_f64 v[5:6], -v[9:10], v[54:55], v[5:6]
	ds_read_b128 v[52:55], v43 offset:368
	s_waitcnt lgkmcnt(0)
	v_fma_f64 v[5:6], -v[11:12], v[52:53], v[5:6]
	v_fma_f64 v[5:6], -v[13:14], v[50:51], v[5:6]
	;; [unrolled: 4-line block ×3, first 2 shown]
	ds_read_b128 v[5:8], v43 offset:1008
	s_waitcnt lgkmcnt(0)
	v_mul_f64 v[19:20], v[5:6], v[19:20]
	v_fma_f64 v[5:6], -v[23:24], v[58:59], v[21:22]
	ds_read2_b64 v[56:59], v43 offset0:27 offset1:28
	s_waitcnt lgkmcnt(0)
	v_fma_f64 v[5:6], -v[9:10], v[56:57], v[5:6]
	v_fma_f64 v[5:6], -v[11:12], v[54:55], v[5:6]
	ds_read2_b64 v[52:55], v43 offset0:67 offset1:68
	s_waitcnt lgkmcnt(0)
	v_fma_f64 v[5:6], -v[13:14], v[52:53], v[5:6]
	;; [unrolled: 4-line block ×3, first 2 shown]
	v_fma_f64 v[21:22], -v[19:20], v[7:8], v[5:6]
	ds_read2_b64 v[5:8], v43 offset0:147 offset1:148
	s_waitcnt lgkmcnt(0)
	v_mul_f64 v[21:22], v[5:6], v[21:22]
	v_fma_f64 v[5:6], -v[23:24], v[60:61], v[25:26]
	ds_write2_b64 v41, v[19:20], v[21:22] offset0:120 offset1:140
	v_fma_f64 v[5:6], -v[9:10], v[58:59], v[5:6]
	ds_read_b128 v[56:59], v43 offset:384
	s_waitcnt lgkmcnt(0)
	v_fma_f64 v[5:6], -v[11:12], v[56:57], v[5:6]
	v_fma_f64 v[5:6], -v[13:14], v[54:55], v[5:6]
	ds_read_b128 v[52:55], v43 offset:704
	s_waitcnt lgkmcnt(0)
	v_fma_f64 v[5:6], -v[15:16], v[52:53], v[5:6]
	;; [unrolled: 4-line block ×3, first 2 shown]
	v_fma_f64 v[25:26], -v[21:22], v[7:8], v[5:6]
	ds_read_b128 v[5:8], v43 offset:1344
	s_waitcnt lgkmcnt(0)
	v_mul_f64 v[25:26], v[5:6], v[25:26]
	v_fma_f64 v[5:6], -v[23:24], v[62:63], v[27:28]
	ds_read2_b64 v[60:63], v43 offset0:29 offset1:30
	s_waitcnt lgkmcnt(0)
	v_fma_f64 v[5:6], -v[9:10], v[60:61], v[5:6]
	v_fma_f64 v[5:6], -v[11:12], v[58:59], v[5:6]
	ds_read2_b64 v[56:59], v43 offset0:69 offset1:70
	s_waitcnt lgkmcnt(0)
	v_fma_f64 v[5:6], -v[13:14], v[56:57], v[5:6]
	v_fma_f64 v[5:6], -v[15:16], v[54:55], v[5:6]
	ds_read2_b64 v[52:55], v43 offset0:109 offset1:110
	s_waitcnt lgkmcnt(0)
	v_fma_f64 v[5:6], -v[17:18], v[52:53], v[5:6]
	v_fma_f64 v[5:6], -v[19:20], v[50:51], v[5:6]
	ds_read2_b64 v[48:51], v43 offset0:149 offset1:150
	s_waitcnt lgkmcnt(0)
	v_fma_f64 v[5:6], -v[21:22], v[48:49], v[5:6]
	v_fma_f64 v[27:28], -v[25:26], v[7:8], v[5:6]
	ds_read2_b64 v[5:8], v43 offset0:189 offset1:190
	s_waitcnt lgkmcnt(0)
	v_mul_f64 v[27:28], v[5:6], v[27:28]
	ds_write2_b64 v41, v[25:26], v[27:28] offset0:160 offset1:180
	ds_read_b128 v[64:67], v43 offset:80
	ds_read_b128 v[68:71], v43 offset:96
	;; [unrolled: 1-line block ×4, first 2 shown]
	s_waitcnt lgkmcnt(3)
	v_fma_f64 v[5:6], -v[23:24], v[64:65], v[29:30]
	s_waitcnt lgkmcnt(0)
	v_fma_f64 v[1:2], -v[23:24], v[80:81], v[1:2]
	v_fma_f64 v[5:6], -v[9:10], v[62:63], v[5:6]
	ds_read_b128 v[60:63], v43 offset:400
	s_waitcnt lgkmcnt(0)
	v_fma_f64 v[5:6], -v[11:12], v[60:61], v[5:6]
	v_fma_f64 v[5:6], -v[13:14], v[58:59], v[5:6]
	ds_read_b128 v[56:59], v43 offset:720
	;; [unrolled: 4-line block ×5, first 2 shown]
	s_waitcnt lgkmcnt(0)
	v_mul_f64 v[29:30], v[5:6], v[29:30]
	v_fma_f64 v[5:6], -v[23:24], v[66:67], v[31:32]
	ds_read2_b64 v[64:67], v43 offset0:31 offset1:32
	s_waitcnt lgkmcnt(0)
	v_fma_f64 v[5:6], -v[9:10], v[64:65], v[5:6]
	v_fma_f64 v[5:6], -v[11:12], v[62:63], v[5:6]
	ds_read2_b64 v[60:63], v43 offset0:71 offset1:72
	s_waitcnt lgkmcnt(0)
	v_fma_f64 v[5:6], -v[13:14], v[60:61], v[5:6]
	;; [unrolled: 4-line block ×5, first 2 shown]
	v_fma_f64 v[31:32], -v[29:30], v[7:8], v[5:6]
	ds_read2_b64 v[5:8], v43 offset0:231 offset1:232
	s_waitcnt lgkmcnt(0)
	v_mul_f64 v[31:32], v[5:6], v[31:32]
	v_fma_f64 v[5:6], -v[23:24], v[68:69], v[33:34]
	ds_write2_b64 v41, v[29:30], v[31:32] offset0:200 offset1:220
	v_fma_f64 v[5:6], -v[9:10], v[66:67], v[5:6]
	ds_read_b128 v[64:67], v43 offset:416
	s_waitcnt lgkmcnt(0)
	v_fma_f64 v[5:6], -v[11:12], v[64:65], v[5:6]
	v_fma_f64 v[5:6], -v[13:14], v[62:63], v[5:6]
	ds_read_b128 v[60:63], v43 offset:736
	s_waitcnt lgkmcnt(0)
	v_fma_f64 v[5:6], -v[15:16], v[60:61], v[5:6]
	;; [unrolled: 4-line block ×5, first 2 shown]
	v_fma_f64 v[33:34], -v[31:32], v[7:8], v[5:6]
	ds_read_b128 v[5:8], v43 offset:2016
	s_waitcnt lgkmcnt(0)
	v_mul_f64 v[33:34], v[5:6], v[33:34]
	v_fma_f64 v[5:6], -v[23:24], v[70:71], v[35:36]
	ds_read2_b64 v[68:71], v43 offset0:33 offset1:34
	s_waitcnt lgkmcnt(0)
	v_fma_f64 v[5:6], -v[9:10], v[68:69], v[5:6]
	v_fma_f64 v[5:6], -v[11:12], v[66:67], v[5:6]
	ds_read2_b64 v[64:67], v43 offset0:73 offset1:74
	s_waitcnt lgkmcnt(0)
	v_fma_f64 v[5:6], -v[13:14], v[64:65], v[5:6]
	;; [unrolled: 4-line block ×6, first 2 shown]
	v_fma_f64 v[35:36], -v[33:34], v[7:8], v[5:6]
	v_mov_b32_e32 v5, 0x888
	ds_read2_b64 v[5:8], v5 offset1:1
	s_waitcnt lgkmcnt(0)
	v_mul_f64 v[35:36], v[5:6], v[35:36]
	ds_write2_b64 v72, v[33:34], v[35:36] offset0:112 offset1:132
	ds_read_b128 v[72:75], v43 offset:112
	s_waitcnt lgkmcnt(0)
	v_fma_f64 v[5:6], -v[23:24], v[72:73], v[37:38]
	v_fma_f64 v[5:6], -v[9:10], v[70:71], v[5:6]
	ds_read_b128 v[68:71], v43 offset:432
	s_waitcnt lgkmcnt(0)
	v_fma_f64 v[5:6], -v[11:12], v[68:69], v[5:6]
	v_fma_f64 v[5:6], -v[13:14], v[66:67], v[5:6]
	;; [unrolled: 4-line block ×7, first 2 shown]
	ds_read_b128 v[5:8], v43 offset:2352
	s_waitcnt lgkmcnt(0)
	v_mul_f64 v[37:38], v[5:6], v[37:38]
	v_fma_f64 v[5:6], -v[23:24], v[74:75], v[39:40]
	ds_read2_b64 v[72:75], v43 offset0:35 offset1:36
	v_mov_b32_e32 v39, 0x898
	s_waitcnt lgkmcnt(0)
	v_fma_f64 v[5:6], -v[9:10], v[72:73], v[5:6]
	v_fma_f64 v[5:6], -v[11:12], v[70:71], v[5:6]
	ds_read2_b64 v[68:71], v43 offset0:75 offset1:76
	s_waitcnt lgkmcnt(0)
	v_fma_f64 v[5:6], -v[13:14], v[68:69], v[5:6]
	v_fma_f64 v[5:6], -v[15:16], v[66:67], v[5:6]
	ds_read2_b64 v[64:67], v43 offset0:115 offset1:116
	;; [unrolled: 4-line block ×5, first 2 shown]
	s_waitcnt lgkmcnt(0)
	v_fma_f64 v[5:6], -v[31:32], v[52:53], v[5:6]
	v_fma_f64 v[5:6], -v[33:34], v[50:51], v[5:6]
	ds_read2_b64 v[48:51], v39 offset1:1
	s_waitcnt lgkmcnt(0)
	v_fma_f64 v[5:6], -v[35:36], v[48:49], v[5:6]
	v_fma_f64 v[39:40], -v[37:38], v[7:8], v[5:6]
	v_mov_b32_e32 v5, 0x9d8
	ds_read2_b64 v[5:8], v5 offset1:1
	s_waitcnt lgkmcnt(0)
	v_mul_f64 v[39:40], v[5:6], v[39:40]
	v_fma_f64 v[5:6], -v[23:24], v[76:77], v[44:45]
	ds_write2_b64 v42, v[37:38], v[39:40] offset0:24 offset1:44
	v_fma_f64 v[5:6], -v[9:10], v[74:75], v[5:6]
	ds_read_b128 v[72:75], v43 offset:448
	s_waitcnt lgkmcnt(0)
	v_fma_f64 v[5:6], -v[11:12], v[72:73], v[5:6]
	v_fma_f64 v[5:6], -v[13:14], v[70:71], v[5:6]
	ds_read_b128 v[68:71], v43 offset:768
	s_waitcnt lgkmcnt(0)
	v_fma_f64 v[5:6], -v[15:16], v[68:69], v[5:6]
	v_fma_f64 v[5:6], -v[17:18], v[66:67], v[5:6]
	ds_read_b128 v[64:67], v43 offset:1088
	s_waitcnt lgkmcnt(0)
	v_fma_f64 v[5:6], -v[19:20], v[64:65], v[5:6]
	v_fma_f64 v[5:6], -v[21:22], v[62:63], v[5:6]
	ds_read_b128 v[60:63], v43 offset:1408
	s_waitcnt lgkmcnt(0)
	v_fma_f64 v[5:6], -v[25:26], v[60:61], v[5:6]
	v_fma_f64 v[5:6], -v[27:28], v[58:59], v[5:6]
	ds_read_b128 v[56:59], v43 offset:1728
	s_waitcnt lgkmcnt(0)
	v_fma_f64 v[5:6], -v[29:30], v[56:57], v[5:6]
	v_fma_f64 v[5:6], -v[31:32], v[54:55], v[5:6]
	ds_read_b128 v[52:55], v43 offset:2048
	s_waitcnt lgkmcnt(0)
	v_fma_f64 v[5:6], -v[33:34], v[52:53], v[5:6]
	v_fma_f64 v[5:6], -v[35:36], v[50:51], v[5:6]
	ds_read_b128 v[48:51], v43 offset:2368
	s_waitcnt lgkmcnt(0)
	v_fma_f64 v[5:6], -v[37:38], v[48:49], v[5:6]
	v_fma_f64 v[48:49], -v[23:24], v[78:79], v[46:47]
	v_fma_f64 v[23:24], -v[23:24], v[82:83], v[3:4]
	;; [unrolled: 1-line block ×3, first 2 shown]
	ds_read_b128 v[5:8], v43 offset:2688
	s_waitcnt lgkmcnt(0)
	v_mul_f64 v[5:6], v[5:6], v[44:45]
	ds_read2_b64 v[44:47], v43 offset0:37 offset1:38
	s_waitcnt lgkmcnt(0)
	v_fma_f64 v[44:45], -v[9:10], v[44:45], v[48:49]
	v_mov_b32_e32 v48, 0x8a8
	v_fma_f64 v[1:2], -v[9:10], v[46:47], v[1:2]
	v_fma_f64 v[44:45], -v[11:12], v[74:75], v[44:45]
	ds_read2_b64 v[72:75], v43 offset0:77 offset1:78
	s_waitcnt lgkmcnt(0)
	v_fma_f64 v[44:45], -v[13:14], v[72:73], v[44:45]
	v_fma_f64 v[44:45], -v[15:16], v[70:71], v[44:45]
	ds_read2_b64 v[68:71], v43 offset0:117 offset1:118
	s_waitcnt lgkmcnt(0)
	;; [unrolled: 4-line block ×5, first 2 shown]
	v_fma_f64 v[44:45], -v[31:32], v[56:57], v[44:45]
	v_fma_f64 v[44:45], -v[33:34], v[54:55], v[44:45]
	ds_read2_b64 v[52:55], v48 offset1:1
	v_mov_b32_e32 v48, 0x9e8
	s_waitcnt lgkmcnt(0)
	v_fma_f64 v[44:45], -v[35:36], v[52:53], v[44:45]
	v_fma_f64 v[44:45], -v[37:38], v[50:51], v[44:45]
	ds_read2_b64 v[48:51], v48 offset1:1
	s_waitcnt lgkmcnt(0)
	v_fma_f64 v[44:45], -v[39:40], v[48:49], v[44:45]
	v_fma_f64 v[7:8], -v[5:6], v[7:8], v[44:45]
	v_mov_b32_e32 v44, 0xb28
	ds_read2_b64 v[76:79], v44 offset1:1
	ds_read_b128 v[44:47], v43 offset:464
	s_waitcnt lgkmcnt(0)
	v_fma_f64 v[1:2], -v[11:12], v[44:45], v[1:2]
	v_mul_f64 v[7:8], v[76:77], v[7:8]
	v_fma_f64 v[1:2], -v[13:14], v[74:75], v[1:2]
	ds_read_b128 v[72:75], v43 offset:784
	ds_write2_b64 v42, v[5:6], v[7:8] offset0:64 offset1:84
	s_waitcnt lgkmcnt(1)
	v_fma_f64 v[1:2], -v[15:16], v[72:73], v[1:2]
	v_fma_f64 v[1:2], -v[17:18], v[70:71], v[1:2]
	ds_read_b128 v[68:71], v43 offset:1104
	s_waitcnt lgkmcnt(0)
	v_fma_f64 v[1:2], -v[19:20], v[68:69], v[1:2]
	v_fma_f64 v[1:2], -v[21:22], v[66:67], v[1:2]
	ds_read_b128 v[64:67], v43 offset:1424
	;; [unrolled: 4-line block ×7, first 2 shown]
	s_waitcnt lgkmcnt(0)
	v_mul_f64 v[44:45], v[76:77], v[1:2]
	ds_read2_b64 v[1:4], v43 offset0:39 offset1:79
	s_waitcnt lgkmcnt(0)
	v_fma_f64 v[1:2], -v[9:10], v[1:2], v[23:24]
	v_fma_f64 v[1:2], -v[11:12], v[46:47], v[1:2]
	v_add_u32_e64 v11, s8, 0
	v_fma_f64 v[1:2], -v[13:14], v[3:4], v[1:2]
	v_fma_f64 v[9:10], -v[15:16], v[74:75], v[1:2]
	ds_read2_b64 v[1:4], v43 offset0:119 offset1:159
	s_waitcnt lgkmcnt(0)
	v_fma_f64 v[1:2], -v[17:18], v[1:2], v[9:10]
	v_fma_f64 v[1:2], -v[19:20], v[70:71], v[1:2]
	v_fma_f64 v[1:2], -v[21:22], v[3:4], v[1:2]
	v_fma_f64 v[9:10], -v[25:26], v[66:67], v[1:2]
	ds_read2_b64 v[1:4], v43 offset0:199 offset1:239
	s_waitcnt lgkmcnt(0)
	v_fma_f64 v[1:2], -v[27:28], v[1:2], v[9:10]
	v_fma_f64 v[1:2], -v[29:30], v[62:63], v[1:2]
	;; [unrolled: 6-line block ×4, first 2 shown]
	v_mul_f64 v[1:2], v[3:4], v[1:2]
	ds_write2_b64 v42, v[44:45], v[1:2] offset0:104 offset1:124
.LBB89_35:
	s_cmp_lt_i32 s11, s22
	s_cbranch_scc0 .LBB89_46
; %bb.36:
	s_add_i32 s8, s11, 15
	s_cmp_ge_u32 s8, s22
	s_cbranch_scc1 .LBB89_41
; %bb.37:
	s_mul_i32 s10, s11, 0xa0
	v_add_u32_e32 v35, s10, v41
	ds_read2_b64 v[29:32], v35 offset1:20
	ds_read2_b64 v[25:28], v35 offset0:40 offset1:60
	ds_read2_b64 v[21:24], v35 offset0:80 offset1:100
	;; [unrolled: 1-line block ×5, first 2 shown]
	v_add_u32_e32 v1, 0x400, v35
	ds_read2_b64 v[5:8], v1 offset0:112 offset1:132
	v_add_u32_e32 v1, 0x800, v35
	ds_read2_b64 v[1:4], v1 offset0:24 offset1:44
	s_andn2_b64 vcc, exec, s[4:5]
	s_lshl_b32 s5, s11, 3
	s_cbranch_vccnz .LBB89_40
; %bb.38:
	v_mov_b32_e32 v33, 0xc80
	v_lshl_add_u32 v33, v0, 3, v33
	s_mov_b32 s4, s5
	s_mov_b32 s12, s11
.LBB89_39:                              ; =>This Inner Loop Header: Depth=1
	v_mov_b32_e32 v34, s4
	ds_read_b64 v[70:71], v33
	ds_read_b128 v[36:39], v34
	ds_read_b128 v[42:45], v34 offset:16
	ds_read_b128 v[46:49], v34 offset:32
	;; [unrolled: 1-line block ×7, first 2 shown]
	s_add_i32 s12, s12, -1
	s_addk_i32 s4, 0xa0
	s_cmp_lg_u32 s12, 0
	s_waitcnt lgkmcnt(7)
	v_fma_f64 v[29:30], -v[70:71], v[36:37], v[29:30]
	v_fma_f64 v[31:32], -v[70:71], v[38:39], v[31:32]
	s_waitcnt lgkmcnt(6)
	v_fma_f64 v[25:26], -v[70:71], v[42:43], v[25:26]
	v_fma_f64 v[27:28], -v[70:71], v[44:45], v[27:28]
	;; [unrolled: 3-line block ×8, first 2 shown]
	v_add_u32_e32 v33, 0xa0, v33
	s_cbranch_scc1 .LBB89_39
.LBB89_40:
	s_add_i32 s12, s5, s10
	v_mov_b32_e32 v37, s12
	ds_read_b128 v[42:45], v37
	ds_read_b128 v[46:49], v37 offset:16
	ds_read_b128 v[50:53], v37 offset:32
	s_add_i32 s13, s10, 0xa0
	s_add_i32 s14, s10, 0x140
	s_waitcnt lgkmcnt(2)
	v_mul_f64 v[33:34], v[42:43], v[29:30]
	s_addk_i32 s12, 0x888
	s_add_i32 s4, s11, 16
	ds_write_b64 v35, v[33:34]
	v_fma_f64 v[35:36], -v[33:34], v[44:45], v[31:32]
	ds_read2_b64 v[29:32], v37 offset0:21 offset1:22
	ds_read_b128 v[42:45], v37 offset:336
	s_waitcnt lgkmcnt(4)
	v_fma_f64 v[25:26], -v[33:34], v[46:47], v[25:26]
	v_fma_f64 v[38:39], -v[33:34], v[48:49], v[27:28]
	s_waitcnt lgkmcnt(3)
	v_fma_f64 v[21:22], -v[33:34], v[50:51], v[21:22]
	v_fma_f64 v[23:24], -v[33:34], v[52:53], v[23:24]
	s_waitcnt lgkmcnt(1)
	v_mul_f64 v[29:30], v[29:30], v[35:36]
	v_add_u32_e32 v35, s13, v41
	s_add_i32 s13, s5, s13
	v_fma_f64 v[25:26], -v[29:30], v[31:32], v[25:26]
	ds_write_b64 v35, v[29:30]
	v_mov_b32_e32 v35, s13
	s_add_i32 s13, s5, s14
	ds_read2_b64 v[50:53], v35 offset0:5 offset1:6
	s_waitcnt lgkmcnt(2)
	v_mul_f64 v[31:32], v[42:43], v[25:26]
	v_add_u32_e32 v25, s14, v41
	s_add_i32 s14, s10, 0x1e0
	v_add_u32_e32 v36, s14, v41
	s_waitcnt lgkmcnt(0)
	v_fma_f64 v[23:24], -v[29:30], v[50:51], v[23:24]
	ds_write_b64 v25, v[31:32]
	ds_read2_b64 v[25:28], v35 offset0:3 offset1:4
	s_waitcnt lgkmcnt(0)
	v_fma_f64 v[25:26], -v[29:30], v[25:26], v[38:39]
	v_fma_f64 v[21:22], -v[29:30], v[27:28], v[21:22]
	v_mov_b32_e32 v39, s13
	s_add_i32 s13, s5, s14
	s_add_i32 s14, s10, 0x280
	v_add_u32_e32 v27, s14, v41
	ds_read_b128 v[46:49], v39 offset:32
	v_fma_f64 v[25:26], -v[31:32], v[44:45], v[25:26]
	ds_read2_b64 v[42:45], v37 offset0:63 offset1:64
	s_waitcnt lgkmcnt(1)
	v_fma_f64 v[21:22], -v[31:32], v[46:47], v[21:22]
	v_fma_f64 v[23:24], -v[31:32], v[48:49], v[23:24]
	s_waitcnt lgkmcnt(0)
	v_mul_f64 v[25:26], v[42:43], v[25:26]
	v_fma_f64 v[21:22], -v[25:26], v[44:45], v[21:22]
	ds_write_b64 v36, v[25:26]
	v_mov_b32_e32 v36, s13
	ds_read_b128 v[42:45], v37 offset:672
	ds_read2_b64 v[46:49], v36 offset0:5 offset1:6
	s_add_i32 s13, s5, s14
	s_add_i32 s14, s10, 0x320
	v_mov_b32_e32 v40, s13
	s_waitcnt lgkmcnt(1)
	v_mul_f64 v[21:22], v[42:43], v[21:22]
	s_waitcnt lgkmcnt(0)
	v_fma_f64 v[23:24], -v[25:26], v[46:47], v[23:24]
	s_add_i32 s13, s5, s14
	v_mov_b32_e32 v38, s13
	ds_write_b64 v27, v[21:22]
	v_fma_f64 v[23:24], -v[21:22], v[44:45], v[23:24]
	ds_read2_b64 v[42:45], v37 offset0:105 offset1:106
	v_add_u32_e32 v27, s14, v41
	s_add_i32 s14, s10, 0x3c0
	s_add_i32 s13, s5, s14
	v_mov_b32_e32 v74, s13
	s_waitcnt lgkmcnt(0)
	v_mul_f64 v[23:24], v[42:43], v[23:24]
	ds_write_b64 v27, v[23:24]
	ds_read_b128 v[54:57], v37 offset:48
	ds_read_b128 v[58:61], v37 offset:64
	s_waitcnt lgkmcnt(1)
	v_fma_f64 v[17:18], -v[33:34], v[54:55], v[17:18]
	s_waitcnt lgkmcnt(0)
	v_fma_f64 v[13:14], -v[33:34], v[58:59], v[13:14]
	v_fma_f64 v[17:18], -v[29:30], v[52:53], v[17:18]
	ds_read_b128 v[50:53], v39 offset:48
	ds_read_b128 v[62:65], v39 offset:64
	s_waitcnt lgkmcnt(1)
	v_fma_f64 v[17:18], -v[31:32], v[50:51], v[17:18]
	v_fma_f64 v[17:18], -v[25:26], v[48:49], v[17:18]
	ds_read_b128 v[46:49], v40 offset:48
	ds_read_b128 v[66:69], v40 offset:64
	s_waitcnt lgkmcnt(1)
	v_fma_f64 v[17:18], -v[21:22], v[46:47], v[17:18]
	v_fma_f64 v[17:18], -v[23:24], v[44:45], v[17:18]
	ds_read_b128 v[42:45], v37 offset:1008
	s_waitcnt lgkmcnt(0)
	v_mul_f64 v[27:28], v[42:43], v[17:18]
	v_fma_f64 v[42:43], -v[33:34], v[56:57], v[19:20]
	v_add_u32_e32 v17, s14, v41
	s_add_i32 s14, s10, 0x460
	s_add_i32 s13, s5, s14
	ds_read2_b64 v[54:57], v36 offset0:9 offset1:10
	ds_write_b64 v17, v[27:28]
	ds_read2_b64 v[17:20], v35 offset0:7 offset1:8
	s_waitcnt lgkmcnt(0)
	v_fma_f64 v[17:18], -v[29:30], v[17:18], v[42:43]
	v_fma_f64 v[13:14], -v[29:30], v[19:20], v[13:14]
	;; [unrolled: 1-line block ×3, first 2 shown]
	ds_read2_b64 v[50:53], v36 offset0:7 offset1:8
	v_fma_f64 v[13:14], -v[31:32], v[62:63], v[13:14]
	s_waitcnt lgkmcnt(0)
	v_fma_f64 v[17:18], -v[25:26], v[50:51], v[17:18]
	v_fma_f64 v[13:14], -v[25:26], v[52:53], v[13:14]
	ds_read2_b64 v[50:53], v35 offset0:9 offset1:10
	v_fma_f64 v[17:18], -v[21:22], v[48:49], v[17:18]
	ds_read2_b64 v[46:49], v38 offset0:7 offset1:8
	v_fma_f64 v[13:14], -v[21:22], v[66:67], v[13:14]
	s_waitcnt lgkmcnt(0)
	v_fma_f64 v[17:18], -v[23:24], v[46:47], v[17:18]
	v_fma_f64 v[13:14], -v[23:24], v[48:49], v[13:14]
	ds_read_b128 v[46:49], v74 offset:64
	v_fma_f64 v[17:18], -v[27:28], v[44:45], v[17:18]
	ds_read2_b64 v[42:45], v37 offset0:147 offset1:148
	s_waitcnt lgkmcnt(1)
	v_fma_f64 v[13:14], -v[27:28], v[46:47], v[13:14]
	s_waitcnt lgkmcnt(0)
	v_mul_f64 v[17:18], v[42:43], v[17:18]
	v_add_u32_e32 v42, s14, v41
	s_add_i32 s14, s10, 0x500
	v_fma_f64 v[13:14], -v[17:18], v[44:45], v[13:14]
	ds_write_b64 v42, v[17:18]
	ds_read_b128 v[42:45], v37 offset:1344
	s_waitcnt lgkmcnt(0)
	v_mul_f64 v[19:20], v[42:43], v[13:14]
	v_add_u32_e32 v13, s14, v41
	ds_write_b64 v13, v[19:20]
	v_fma_f64 v[13:14], -v[33:34], v[60:61], v[15:16]
	ds_read2_b64 v[58:61], v38 offset0:9 offset1:10
	v_mov_b32_e32 v15, s13
	s_add_i32 s13, s5, s14
	v_mov_b32_e32 v75, s13
	s_add_i32 s14, s10, 0x5a0
	v_add_u32_e32 v16, s14, v41
	s_add_i32 s13, s5, s14
	v_fma_f64 v[13:14], -v[29:30], v[50:51], v[13:14]
	s_add_i32 s14, s10, 0x640
	v_fma_f64 v[13:14], -v[31:32], v[64:65], v[13:14]
	ds_read_b128 v[62:65], v37 offset:80
	s_waitcnt lgkmcnt(0)
	v_fma_f64 v[9:10], -v[33:34], v[62:63], v[9:10]
	v_fma_f64 v[11:12], -v[33:34], v[64:65], v[11:12]
	ds_read2_b64 v[62:65], v35 offset0:11 offset1:12
	v_fma_f64 v[13:14], -v[25:26], v[54:55], v[13:14]
	v_fma_f64 v[9:10], -v[29:30], v[52:53], v[9:10]
	ds_read_b128 v[50:53], v39 offset:80
	s_waitcnt lgkmcnt(1)
	v_fma_f64 v[11:12], -v[29:30], v[62:63], v[11:12]
	v_fma_f64 v[13:14], -v[21:22], v[68:69], v[13:14]
	ds_read_b128 v[66:69], v37 offset:96
	s_waitcnt lgkmcnt(1)
	v_fma_f64 v[9:10], -v[31:32], v[50:51], v[9:10]
	s_waitcnt lgkmcnt(0)
	v_fma_f64 v[5:6], -v[33:34], v[66:67], v[5:6]
	v_fma_f64 v[11:12], -v[31:32], v[52:53], v[11:12]
	ds_read2_b64 v[50:53], v36 offset0:11 offset1:12
	v_fma_f64 v[13:14], -v[23:24], v[58:59], v[13:14]
	v_fma_f64 v[9:10], -v[25:26], v[56:57], v[9:10]
	ds_read_b128 v[54:57], v40 offset:80
	s_waitcnt lgkmcnt(1)
	v_fma_f64 v[11:12], -v[25:26], v[50:51], v[11:12]
	v_fma_f64 v[5:6], -v[29:30], v[64:65], v[5:6]
	;; [unrolled: 1-line block ×3, first 2 shown]
	ds_read2_b64 v[46:49], v15 offset0:9 offset1:10
	ds_read_b128 v[62:65], v39 offset:96
	s_waitcnt lgkmcnt(2)
	v_fma_f64 v[9:10], -v[21:22], v[54:55], v[9:10]
	v_fma_f64 v[11:12], -v[21:22], v[56:57], v[11:12]
	ds_read2_b64 v[54:57], v38 offset0:11 offset1:12
	s_waitcnt lgkmcnt(1)
	v_fma_f64 v[5:6], -v[31:32], v[62:63], v[5:6]
	v_fma_f64 v[9:10], -v[23:24], v[60:61], v[9:10]
	ds_read_b128 v[58:61], v74 offset:80
	s_waitcnt lgkmcnt(1)
	v_fma_f64 v[11:12], -v[23:24], v[54:55], v[11:12]
	v_fma_f64 v[5:6], -v[25:26], v[52:53], v[5:6]
	ds_read_b128 v[50:53], v40 offset:96
	s_waitcnt lgkmcnt(1)
	v_fma_f64 v[9:10], -v[27:28], v[58:59], v[9:10]
	v_fma_f64 v[11:12], -v[27:28], v[60:61], v[11:12]
	ds_read2_b64 v[58:61], v15 offset0:11 offset1:12
	v_fma_f64 v[13:14], -v[17:18], v[46:47], v[13:14]
	s_waitcnt lgkmcnt(1)
	v_fma_f64 v[5:6], -v[21:22], v[50:51], v[5:6]
	v_fma_f64 v[9:10], -v[17:18], v[48:49], v[9:10]
	ds_read_b128 v[46:49], v75 offset:80
	s_waitcnt lgkmcnt(1)
	v_fma_f64 v[11:12], -v[17:18], v[58:59], v[11:12]
	v_fma_f64 v[13:14], -v[19:20], v[44:45], v[13:14]
	ds_read2_b64 v[42:45], v37 offset0:189 offset1:190
	v_fma_f64 v[5:6], -v[23:24], v[56:57], v[5:6]
	ds_read_b128 v[54:57], v74 offset:96
	s_waitcnt lgkmcnt(2)
	v_fma_f64 v[9:10], -v[19:20], v[46:47], v[9:10]
	v_fma_f64 v[11:12], -v[19:20], v[48:49], v[11:12]
	s_waitcnt lgkmcnt(1)
	v_mul_f64 v[13:14], v[42:43], v[13:14]
	s_waitcnt lgkmcnt(0)
	v_fma_f64 v[5:6], -v[27:28], v[54:55], v[5:6]
	v_fma_f64 v[9:10], -v[13:14], v[44:45], v[9:10]
	ds_read_b128 v[42:45], v37 offset:1680
	ds_write_b64 v16, v[13:14]
	v_add_u32_e32 v16, s14, v41
	v_fma_f64 v[5:6], -v[17:18], v[60:61], v[5:6]
	ds_read_b128 v[58:61], v75 offset:96
	s_waitcnt lgkmcnt(2)
	v_mul_f64 v[9:10], v[42:43], v[9:10]
	s_waitcnt lgkmcnt(0)
	v_fma_f64 v[5:6], -v[19:20], v[58:59], v[5:6]
	ds_write_b64 v16, v[9:10]
	v_mov_b32_e32 v16, s13
	ds_read2_b64 v[46:49], v16 offset0:11 offset1:12
	s_add_i32 s13, s5, s14
	v_mov_b32_e32 v76, s13
	s_add_i32 s14, s10, 0x6e0
	s_add_i32 s13, s5, s14
	s_waitcnt lgkmcnt(0)
	v_fma_f64 v[11:12], -v[13:14], v[46:47], v[11:12]
	v_mov_b32_e32 v77, s13
	v_fma_f64 v[5:6], -v[13:14], v[48:49], v[5:6]
	ds_read_b128 v[46:49], v76 offset:96
	v_fma_f64 v[11:12], -v[9:10], v[44:45], v[11:12]
	ds_read2_b64 v[42:45], v37 offset0:231 offset1:232
	s_waitcnt lgkmcnt(1)
	v_fma_f64 v[5:6], -v[9:10], v[46:47], v[5:6]
	s_waitcnt lgkmcnt(0)
	v_mul_f64 v[11:12], v[42:43], v[11:12]
	v_add_u32_e32 v42, s14, v41
	s_add_i32 s14, s10, 0x780
	s_addk_i32 s10, 0x820
	s_add_i32 s13, s5, s14
	s_add_i32 s5, s5, s10
	ds_write_b64 v42, v[11:12]
	v_fma_f64 v[5:6], -v[11:12], v[44:45], v[5:6]
	ds_read_b128 v[42:45], v37 offset:2016
	s_waitcnt lgkmcnt(0)
	v_mul_f64 v[70:71], v[42:43], v[5:6]
	v_fma_f64 v[42:43], -v[33:34], v[68:69], v[7:8]
	v_add_u32_e32 v5, s14, v41
	ds_read_b128 v[66:69], v37 offset:112
	ds_write_b64 v5, v[70:71]
	ds_read2_b64 v[5:8], v35 offset0:13 offset1:14
	s_waitcnt lgkmcnt(2)
	v_fma_f64 v[1:2], -v[33:34], v[66:67], v[1:2]
	v_fma_f64 v[3:4], -v[33:34], v[68:69], v[3:4]
	s_waitcnt lgkmcnt(0)
	v_fma_f64 v[5:6], -v[29:30], v[5:6], v[42:43]
	v_mov_b32_e32 v42, s12
	v_fma_f64 v[1:2], -v[29:30], v[7:8], v[1:2]
	v_fma_f64 v[5:6], -v[31:32], v[64:65], v[5:6]
	ds_read2_b64 v[62:65], v36 offset0:13 offset1:14
	s_waitcnt lgkmcnt(0)
	v_fma_f64 v[5:6], -v[25:26], v[62:63], v[5:6]
	v_fma_f64 v[5:6], -v[21:22], v[52:53], v[5:6]
	ds_read2_b64 v[50:53], v38 offset0:13 offset1:14
	s_waitcnt lgkmcnt(0)
	;; [unrolled: 4-line block ×5, first 2 shown]
	v_fma_f64 v[5:6], -v[11:12], v[46:47], v[5:6]
	v_fma_f64 v[5:6], -v[70:71], v[44:45], v[5:6]
	ds_read2_b64 v[42:45], v42 offset1:1
	s_waitcnt lgkmcnt(0)
	v_mul_f64 v[72:73], v[42:43], v[5:6]
	v_add_u32_e32 v5, s10, v41
	s_add_i32 s10, s11, 14
	s_mul_i32 s11, s10, 0xa8
	s_mulk_i32 s10, 0xa0
	ds_write_b64 v5, v[72:73]
	ds_read_b128 v[5:8], v39 offset:112
	s_waitcnt lgkmcnt(0)
	v_fma_f64 v[1:2], -v[31:32], v[5:6], v[1:2]
	v_mov_b32_e32 v5, s13
	v_fma_f64 v[1:2], -v[25:26], v[64:65], v[1:2]
	ds_read_b128 v[62:65], v40 offset:112
	s_waitcnt lgkmcnt(0)
	v_fma_f64 v[1:2], -v[21:22], v[62:63], v[1:2]
	v_fma_f64 v[1:2], -v[23:24], v[52:53], v[1:2]
	ds_read_b128 v[50:53], v74 offset:112
	s_waitcnt lgkmcnt(0)
	v_fma_f64 v[1:2], -v[27:28], v[50:51], v[1:2]
	;; [unrolled: 4-line block ×4, first 2 shown]
	v_fma_f64 v[1:2], -v[11:12], v[48:49], v[1:2]
	ds_read_b128 v[46:49], v5 offset:112
	v_mov_b32_e32 v5, s11
	s_mov_b32 s11, s4
	s_waitcnt lgkmcnt(0)
	v_fma_f64 v[1:2], -v[70:71], v[46:47], v[1:2]
	v_fma_f64 v[1:2], -v[72:73], v[44:45], v[1:2]
	ds_read_b128 v[42:45], v5
	v_add_u32_e32 v5, s10, v41
	s_waitcnt lgkmcnt(0)
	v_mul_f64 v[1:2], v[42:43], v[1:2]
	ds_write_b64 v5, v[1:2]
	ds_read_b64 v[5:6], v35 offset:120
	s_waitcnt lgkmcnt(0)
	v_fma_f64 v[3:4], -v[29:30], v[5:6], v[3:4]
	ds_read_b64 v[5:6], v36 offset:120
	v_fma_f64 v[3:4], -v[31:32], v[7:8], v[3:4]
	s_waitcnt lgkmcnt(0)
	v_fma_f64 v[3:4], -v[25:26], v[5:6], v[3:4]
	ds_read_b64 v[5:6], v38 offset:120
	v_fma_f64 v[3:4], -v[21:22], v[64:65], v[3:4]
	;; [unrolled: 4-line block ×5, first 2 shown]
	s_waitcnt lgkmcnt(0)
	v_fma_f64 v[3:4], -v[11:12], v[5:6], v[3:4]
	v_mov_b32_e32 v5, s5
	s_mul_i32 s5, s8, 0xa8
	s_mulk_i32 s8, 0xa0
	ds_read_b64 v[5:6], v5 offset:120
	v_fma_f64 v[3:4], -v[70:71], v[48:49], v[3:4]
	s_waitcnt lgkmcnt(0)
	v_fma_f64 v[3:4], -v[72:73], v[5:6], v[3:4]
	v_fma_f64 v[1:2], -v[1:2], v[44:45], v[3:4]
	v_mov_b32_e32 v3, s5
	ds_read_b64 v[3:4], v3
	s_waitcnt lgkmcnt(0)
	v_mul_f64 v[1:2], v[3:4], v[1:2]
	v_add_u32_e32 v3, s8, v41
	ds_write_b64 v3, v[1:2]
.LBB89_41:
	s_cmp_ge_i32 s11, s22
	s_cbranch_scc1 .LBB89_46
; %bb.42:
	v_mov_b32_e32 v1, 0xc80
	s_lshl_b32 s4, s11, 3
	v_lshl_add_u32 v3, v0, 3, v1
	s_branch .LBB89_44
.LBB89_43:                              ;   in Loop: Header=BB89_44 Depth=1
	s_lshl_b32 s8, s11, 3
	s_add_i32 s5, s8, s5
	v_mov_b32_e32 v5, s5
	ds_read_b64 v[5:6], v5
	s_add_i32 s11, s11, 1
	s_add_i32 s4, s4, 8
	s_cmp_ge_i32 s11, s22
	s_waitcnt lgkmcnt(0)
	v_mul_f64 v[1:2], v[5:6], v[1:2]
	ds_write_b64 v4, v[1:2]
	s_cbranch_scc1 .LBB89_46
.LBB89_44:                              ; =>This Loop Header: Depth=1
                                        ;     Child Loop BB89_45 Depth 2
	s_mul_i32 s5, s11, 0xa0
	v_add_u32_e32 v4, s5, v41
	ds_read_b64 v[1:2], v4
	s_cmp_eq_u32 s11, 0
	v_mov_b32_e32 v5, v3
	s_mov_b32 s8, s4
	s_mov_b32 s10, s11
	s_cbranch_scc1 .LBB89_43
.LBB89_45:                              ;   Parent Loop BB89_44 Depth=1
                                        ; =>  This Inner Loop Header: Depth=2
	v_mov_b32_e32 v8, s8
	ds_read_b64 v[6:7], v5
	ds_read_b64 v[8:9], v8
	s_add_i32 s10, s10, -1
	s_addk_i32 s8, 0xa0
	s_cmp_lg_u32 s10, 0
	v_add_u32_e32 v5, 0xa0, v5
	s_waitcnt lgkmcnt(0)
	v_fma_f64 v[1:2], -v[6:7], v[8:9], v[1:2]
	s_cbranch_scc1 .LBB89_45
	s_branch .LBB89_43
.LBB89_46:
	s_waitcnt lgkmcnt(0)
	; wave barrier
	s_and_saveexec_b64 s[4:5], s[0:1]
	s_cbranch_execz .LBB89_50
; %bb.47:
	s_andn2_b64 vcc, exec, s[2:3]
	s_cbranch_vccnz .LBB89_50
; %bb.48:
	v_mad_i64_i32 v[1:2], s[0:1], s9, v0, 0
	v_mov_b32_e32 v3, s7
	v_lshlrev_b64 v[1:2], 3, v[1:2]
	v_add_co_u32_e32 v1, vcc, s6, v1
	v_addc_co_u32_e32 v2, vcc, v3, v2, vcc
	v_mov_b32_e32 v3, 0xc80
	v_lshl_add_u32 v0, v0, 3, v3
.LBB89_49:                              ; =>This Inner Loop Header: Depth=1
	ds_read_b64 v[3:4], v0
	s_add_i32 s22, s22, -1
	v_add_u32_e32 v0, 0xa0, v0
	s_cmp_lg_u32 s22, 0
	s_waitcnt lgkmcnt(0)
	global_store_dwordx2 v[1:2], v[3:4], off
	v_add_co_u32_e32 v1, vcc, 8, v1
	v_addc_co_u32_e32 v2, vcc, 0, v2, vcc
	s_cbranch_scc1 .LBB89_49
.LBB89_50:
	s_endpgm
	.section	.rodata,"a",@progbits
	.p2align	6, 0x0
	.amdhsa_kernel _ZL38rocblas_trsm_small_left_device_sharedBILi20ELi20ELb1EddPKdPdEv13rocblas_fill_18rocblas_operation_17rocblas_diagonal_iiT3_T4_lilT5_lili
		.amdhsa_group_segment_fixed_size 6400
		.amdhsa_private_segment_fixed_size 0
		.amdhsa_kernarg_size 360
		.amdhsa_user_sgpr_count 6
		.amdhsa_user_sgpr_private_segment_buffer 1
		.amdhsa_user_sgpr_dispatch_ptr 0
		.amdhsa_user_sgpr_queue_ptr 0
		.amdhsa_user_sgpr_kernarg_segment_ptr 1
		.amdhsa_user_sgpr_dispatch_id 0
		.amdhsa_user_sgpr_flat_scratch_init 0
		.amdhsa_user_sgpr_private_segment_size 0
		.amdhsa_uses_dynamic_stack 0
		.amdhsa_system_sgpr_private_segment_wavefront_offset 0
		.amdhsa_system_sgpr_workgroup_id_x 1
		.amdhsa_system_sgpr_workgroup_id_y 0
		.amdhsa_system_sgpr_workgroup_id_z 1
		.amdhsa_system_sgpr_workgroup_info 0
		.amdhsa_system_vgpr_workitem_id 0
		.amdhsa_next_free_vgpr 84
		.amdhsa_next_free_sgpr 98
		.amdhsa_reserve_vcc 1
		.amdhsa_reserve_flat_scratch 0
		.amdhsa_float_round_mode_32 0
		.amdhsa_float_round_mode_16_64 0
		.amdhsa_float_denorm_mode_32 3
		.amdhsa_float_denorm_mode_16_64 3
		.amdhsa_dx10_clamp 1
		.amdhsa_ieee_mode 1
		.amdhsa_fp16_overflow 0
		.amdhsa_exception_fp_ieee_invalid_op 0
		.amdhsa_exception_fp_denorm_src 0
		.amdhsa_exception_fp_ieee_div_zero 0
		.amdhsa_exception_fp_ieee_overflow 0
		.amdhsa_exception_fp_ieee_underflow 0
		.amdhsa_exception_fp_ieee_inexact 0
		.amdhsa_exception_int_div_zero 0
	.end_amdhsa_kernel
	.section	.text._ZL38rocblas_trsm_small_left_device_sharedBILi20ELi20ELb1EddPKdPdEv13rocblas_fill_18rocblas_operation_17rocblas_diagonal_iiT3_T4_lilT5_lili,"axG",@progbits,_ZL38rocblas_trsm_small_left_device_sharedBILi20ELi20ELb1EddPKdPdEv13rocblas_fill_18rocblas_operation_17rocblas_diagonal_iiT3_T4_lilT5_lili,comdat
.Lfunc_end89:
	.size	_ZL38rocblas_trsm_small_left_device_sharedBILi20ELi20ELb1EddPKdPdEv13rocblas_fill_18rocblas_operation_17rocblas_diagonal_iiT3_T4_lilT5_lili, .Lfunc_end89-_ZL38rocblas_trsm_small_left_device_sharedBILi20ELi20ELb1EddPKdPdEv13rocblas_fill_18rocblas_operation_17rocblas_diagonal_iiT3_T4_lilT5_lili
                                        ; -- End function
	.set _ZL38rocblas_trsm_small_left_device_sharedBILi20ELi20ELb1EddPKdPdEv13rocblas_fill_18rocblas_operation_17rocblas_diagonal_iiT3_T4_lilT5_lili.num_vgpr, 84
	.set _ZL38rocblas_trsm_small_left_device_sharedBILi20ELi20ELb1EddPKdPdEv13rocblas_fill_18rocblas_operation_17rocblas_diagonal_iiT3_T4_lilT5_lili.num_agpr, 0
	.set _ZL38rocblas_trsm_small_left_device_sharedBILi20ELi20ELb1EddPKdPdEv13rocblas_fill_18rocblas_operation_17rocblas_diagonal_iiT3_T4_lilT5_lili.numbered_sgpr, 26
	.set _ZL38rocblas_trsm_small_left_device_sharedBILi20ELi20ELb1EddPKdPdEv13rocblas_fill_18rocblas_operation_17rocblas_diagonal_iiT3_T4_lilT5_lili.num_named_barrier, 0
	.set _ZL38rocblas_trsm_small_left_device_sharedBILi20ELi20ELb1EddPKdPdEv13rocblas_fill_18rocblas_operation_17rocblas_diagonal_iiT3_T4_lilT5_lili.private_seg_size, 0
	.set _ZL38rocblas_trsm_small_left_device_sharedBILi20ELi20ELb1EddPKdPdEv13rocblas_fill_18rocblas_operation_17rocblas_diagonal_iiT3_T4_lilT5_lili.uses_vcc, 1
	.set _ZL38rocblas_trsm_small_left_device_sharedBILi20ELi20ELb1EddPKdPdEv13rocblas_fill_18rocblas_operation_17rocblas_diagonal_iiT3_T4_lilT5_lili.uses_flat_scratch, 0
	.set _ZL38rocblas_trsm_small_left_device_sharedBILi20ELi20ELb1EddPKdPdEv13rocblas_fill_18rocblas_operation_17rocblas_diagonal_iiT3_T4_lilT5_lili.has_dyn_sized_stack, 0
	.set _ZL38rocblas_trsm_small_left_device_sharedBILi20ELi20ELb1EddPKdPdEv13rocblas_fill_18rocblas_operation_17rocblas_diagonal_iiT3_T4_lilT5_lili.has_recursion, 0
	.set _ZL38rocblas_trsm_small_left_device_sharedBILi20ELi20ELb1EddPKdPdEv13rocblas_fill_18rocblas_operation_17rocblas_diagonal_iiT3_T4_lilT5_lili.has_indirect_call, 0
	.section	.AMDGPU.csdata,"",@progbits
; Kernel info:
; codeLenInByte = 14028
; TotalNumSgprs: 30
; NumVgprs: 84
; ScratchSize: 0
; MemoryBound: 0
; FloatMode: 240
; IeeeMode: 1
; LDSByteSize: 6400 bytes/workgroup (compile time only)
; SGPRBlocks: 12
; VGPRBlocks: 20
; NumSGPRsForWavesPerEU: 102
; NumVGPRsForWavesPerEU: 84
; Occupancy: 3
; WaveLimiterHint : 0
; COMPUTE_PGM_RSRC2:SCRATCH_EN: 0
; COMPUTE_PGM_RSRC2:USER_SGPR: 6
; COMPUTE_PGM_RSRC2:TRAP_HANDLER: 0
; COMPUTE_PGM_RSRC2:TGID_X_EN: 1
; COMPUTE_PGM_RSRC2:TGID_Y_EN: 0
; COMPUTE_PGM_RSRC2:TGID_Z_EN: 1
; COMPUTE_PGM_RSRC2:TIDIG_COMP_CNT: 0
	.section	.text._ZL30rocblas_trsm_small_left_deviceILi20ELi20ELb1EddPKdPdEv13rocblas_fill_18rocblas_operation_17rocblas_diagonal_iiT3_T4_lilT5_lili,"axG",@progbits,_ZL30rocblas_trsm_small_left_deviceILi20ELi20ELb1EddPKdPdEv13rocblas_fill_18rocblas_operation_17rocblas_diagonal_iiT3_T4_lilT5_lili,comdat
	.globl	_ZL30rocblas_trsm_small_left_deviceILi20ELi20ELb1EddPKdPdEv13rocblas_fill_18rocblas_operation_17rocblas_diagonal_iiT3_T4_lilT5_lili ; -- Begin function _ZL30rocblas_trsm_small_left_deviceILi20ELi20ELb1EddPKdPdEv13rocblas_fill_18rocblas_operation_17rocblas_diagonal_iiT3_T4_lilT5_lili
	.p2align	8
	.type	_ZL30rocblas_trsm_small_left_deviceILi20ELi20ELb1EddPKdPdEv13rocblas_fill_18rocblas_operation_17rocblas_diagonal_iiT3_T4_lilT5_lili,@function
_ZL30rocblas_trsm_small_left_deviceILi20ELi20ELb1EddPKdPdEv13rocblas_fill_18rocblas_operation_17rocblas_diagonal_iiT3_T4_lilT5_lili: ; @_ZL30rocblas_trsm_small_left_deviceILi20ELi20ELb1EddPKdPdEv13rocblas_fill_18rocblas_operation_17rocblas_diagonal_iiT3_T4_lilT5_lili
; %bb.0:
	s_load_dwordx4 s[8:11], s[4:5], 0x4
	s_load_dwordx4 s[0:3], s[4:5], 0x18
	s_load_dwordx2 s[20:21], s[4:5], 0x28
	s_load_dwordx4 s[12:15], s[4:5], 0x38
	s_load_dwordx2 s[16:17], s[4:5], 0x48
	s_waitcnt lgkmcnt(0)
	s_min_i32 s22, s10, 20
	v_cmp_gt_i32_e32 vcc, s22, v0
	s_and_saveexec_b64 s[18:19], vcc
	s_cbranch_execz .LBB90_6
; %bb.1:
	s_load_dword s24, s[4:5], 0x30
	s_mul_i32 s13, s13, s7
	s_mul_hi_u32 s23, s12, s7
	s_mul_i32 s12, s12, s7
	s_add_i32 s13, s23, s13
	s_waitcnt lgkmcnt(0)
	s_ashr_i32 s25, s24, 31
	s_lshl_b64 s[12:13], s[12:13], 3
	s_add_u32 s12, s2, s12
	s_addc_u32 s13, s3, s13
	s_lshl_b64 s[2:3], s[20:21], 3
	s_add_u32 s2, s12, s2
	s_addc_u32 s3, s13, s3
	v_lshlrev_b32_e32 v3, 3, v0
	v_mov_b32_e32 v2, s3
	v_add_co_u32_e32 v1, vcc, s2, v3
	s_lshl_b64 s[2:3], s[24:25], 3
	v_addc_co_u32_e32 v2, vcc, 0, v2, vcc
	v_mov_b32_e32 v4, s3
	v_mov_b32_e32 v5, v3
	s_mov_b32 s3, s22
.LBB90_2:                               ; =>This Inner Loop Header: Depth=1
	global_load_dwordx2 v[6:7], v[1:2], off
	v_add_co_u32_e32 v1, vcc, s2, v1
	s_add_i32 s3, s3, -1
	v_addc_co_u32_e32 v2, vcc, v2, v4, vcc
	s_cmp_eq_u32 s3, 0
	s_waitcnt vmcnt(0)
	ds_write_b64 v5, v[6:7]
	v_add_u32_e32 v5, 0xa0, v5
	s_cbranch_scc0 .LBB90_2
; %bb.3:
	v_mul_u32_u24_e32 v4, 0xa0, v0
	v_mov_b32_e32 v1, 0
	s_cmpk_lg_i32 s9, 0x84
	v_mov_b32_e32 v2, 0x3ff00000
	v_add_u32_e32 v3, v3, v4
	s_cbranch_scc0 .LBB90_5
; %bb.4:
	ds_read_b64 v[1:2], v3
	s_waitcnt lgkmcnt(0)
	v_div_scale_f64 v[4:5], s[2:3], v[1:2], v[1:2], 1.0
	v_div_scale_f64 v[10:11], vcc, 1.0, v[1:2], 1.0
	v_rcp_f64_e32 v[6:7], v[4:5]
	v_fma_f64 v[8:9], -v[4:5], v[6:7], 1.0
	v_fma_f64 v[6:7], v[6:7], v[8:9], v[6:7]
	v_fma_f64 v[8:9], -v[4:5], v[6:7], 1.0
	v_fma_f64 v[6:7], v[6:7], v[8:9], v[6:7]
	v_mul_f64 v[8:9], v[10:11], v[6:7]
	v_fma_f64 v[4:5], -v[4:5], v[8:9], v[10:11]
	v_div_fmas_f64 v[4:5], v[4:5], v[6:7], v[8:9]
	v_div_fixup_f64 v[1:2], v[4:5], v[1:2], 1.0
.LBB90_5:
	ds_write_b64 v3, v[1:2]
.LBB90_6:
	s_or_b64 exec, exec, s[18:19]
	s_load_dword s2, s[4:5], 0x68
	s_mul_i32 s3, s6, 0xffffffec
	s_add_i32 s3, s11, s3
	s_waitcnt lgkmcnt(0)
	; wave barrier
	s_add_i32 s2, s2, -1
	s_cmp_ge_u32 s6, s2
	s_cselect_b32 s2, s3, 20
	v_cmp_gt_i32_e32 vcc, s2, v0
	s_and_saveexec_b64 s[2:3], vcc
	s_cbranch_execz .LBB90_44
; %bb.7:
	s_load_dwordx2 s[2:3], s[4:5], 0x58
	s_load_dword s9, s[4:5], 0x50
	s_waitcnt lgkmcnt(0)
	s_mul_i32 s3, s3, s7
	s_mul_hi_u32 s4, s2, s7
	s_add_i32 s3, s4, s3
	v_mad_u64_u32 v[0:1], s[4:5], s6, 20, v[0:1]
	s_mul_i32 s2, s2, s7
	s_lshl_b64 s[2:3], s[2:3], 3
	s_add_u32 s4, s14, s2
	s_addc_u32 s5, s15, s3
	v_mad_i64_i32 v[0:1], s[2:3], s9, v0, 0
	s_lshl_b64 s[2:3], s[16:17], 3
	s_add_u32 s2, s4, s2
	v_lshlrev_b64 v[0:1], 3, v[0:1]
	s_addc_u32 s3, s5, s3
	v_mov_b32_e32 v2, s3
	v_add_co_u32_e32 v48, vcc, s2, v0
	v_addc_co_u32_e32 v49, vcc, v2, v1, vcc
	s_cmpk_eq_i32 s8, 0x6f
	s_mov_b64 s[2:3], -1
	s_cbranch_scc1 .LBB90_30
; %bb.8:
	s_add_i32 s11, s22, -1
	s_cmp_gt_i32 s10, 19
	s_mov_b32 s2, s11
	s_cbranch_scc0 .LBB90_10
; %bb.9:
	global_load_dwordx4 v[0:3], v[48:49], off offset:144
	global_load_dwordx4 v[4:7], v[48:49], off offset:128
	;; [unrolled: 1-line block ×4, first 2 shown]
	s_movk_i32 s2, 0x800
	v_add_u32_e64 v26, s2, 0
	ds_read2_b64 v[16:19], v26 offset0:103 offset1:143
	v_mov_b32_e32 v50, 0
	v_mov_b32_e32 v28, 0x9e8
	s_mov_b32 s2, -1
	s_waitcnt vmcnt(3)
	v_mul_f64 v[2:3], s[0:1], v[2:3]
	s_waitcnt lgkmcnt(0)
	v_mul_f64 v[2:3], v[18:19], v[2:3]
	ds_read_b128 v[18:21], v50 offset:3024
	ds_read_b128 v[22:25], v50 offset:2704
	ds_read2_b64 v[28:31], v28 offset1:1
	s_waitcnt lgkmcnt(2)
	v_mul_f64 v[20:21], v[2:3], v[20:21]
	v_mul_f64 v[16:17], v[2:3], v[16:17]
	v_fma_f64 v[0:1], s[0:1], v[0:1], -v[20:21]
	s_waitcnt lgkmcnt(1)
	v_mul_f64 v[20:21], v[2:3], v[24:25]
	s_waitcnt vmcnt(2)
	v_fma_f64 v[6:7], s[0:1], v[6:7], -v[16:17]
	v_mov_b32_e32 v24, 0xb28
	v_mul_f64 v[0:1], v[18:19], v[0:1]
	ds_read2_b64 v[16:19], v26 offset0:23 offset1:63
	ds_read2_b64 v[24:27], v24 offset1:1
	v_fma_f64 v[34:35], s[0:1], v[4:5], -v[20:21]
	s_waitcnt lgkmcnt(1)
	v_mul_f64 v[32:33], v[2:3], v[18:19]
	v_mul_f64 v[16:17], v[2:3], v[16:17]
	s_waitcnt lgkmcnt(0)
	v_fma_f64 v[26:27], -v[0:1], v[26:27], v[6:7]
	ds_read_b128 v[4:7], v50 offset:2384
	ds_read_b128 v[18:21], v50 offset:2688
	global_load_dwordx4 v[51:54], v[48:49], off offset:80
	global_load_dwordx4 v[55:58], v[48:49], off offset:64
	;; [unrolled: 1-line block ×3, first 2 shown]
	s_waitcnt lgkmcnt(1)
	v_mul_f64 v[36:37], v[2:3], v[6:7]
	s_waitcnt vmcnt(4)
	v_fma_f64 v[10:11], s[0:1], v[10:11], -v[32:33]
	v_fma_f64 v[32:33], -v[0:1], v[22:23], v[34:35]
	v_mul_f64 v[6:7], v[24:25], v[26:27]
	ds_read_b128 v[22:25], v50 offset:2064
	s_waitcnt vmcnt(3)
	v_fma_f64 v[26:27], s[0:1], v[14:15], -v[16:17]
	v_fma_f64 v[8:9], s[0:1], v[8:9], -v[36:37]
	v_fma_f64 v[10:11], -v[0:1], v[30:31], v[10:11]
	v_mov_b32_e32 v37, 0x8a8
	s_waitcnt lgkmcnt(1)
	v_fma_f64 v[20:21], -v[6:7], v[20:21], v[32:33]
	ds_read_b128 v[30:33], v50 offset:2048
	s_waitcnt lgkmcnt(1)
	v_mul_f64 v[24:25], v[2:3], v[24:25]
	v_mov_b32_e32 v36, 0x9d8
	v_fma_f64 v[34:35], -v[0:1], v[4:5], v[8:9]
	v_fma_f64 v[28:29], -v[6:7], v[28:29], v[10:11]
	v_mul_f64 v[4:5], v[18:19], v[20:21]
	ds_read2_b64 v[8:11], v37 offset1:1
	ds_read_b128 v[14:17], v50 offset:2368
	ds_read2_b64 v[18:21], v36 offset1:1
	v_fma_f64 v[12:13], s[0:1], v[12:13], -v[24:25]
	global_load_dwordx4 v[59:62], v[48:49], off offset:32
	s_waitcnt lgkmcnt(2)
	v_fma_f64 v[10:11], -v[0:1], v[10:11], v[26:27]
	s_waitcnt lgkmcnt(1)
	v_fma_f64 v[16:17], -v[6:7], v[16:17], v[34:35]
	;; [unrolled: 2-line block ×3, first 2 shown]
	v_fma_f64 v[24:25], -v[0:1], v[22:23], v[12:13]
	v_mov_b32_e32 v12, 0x898
	v_fma_f64 v[8:9], -v[6:7], v[8:9], v[10:11]
	v_fma_f64 v[26:27], -v[4:5], v[14:15], v[16:17]
	v_mul_f64 v[10:11], v[18:19], v[20:21]
	ds_read2_b64 v[12:15], v12 offset1:1
	ds_read_b128 v[16:19], v50 offset:2352
	v_fma_f64 v[24:25], -v[6:7], v[32:33], v[24:25]
	global_load_dwordx4 v[40:43], v[48:49], off offset:16
	v_mov_b32_e32 v20, 0x888
	s_waitcnt lgkmcnt(1)
	v_fma_f64 v[8:9], -v[4:5], v[14:15], v[8:9]
	ds_read2_b64 v[20:23], v20 offset1:1
	s_waitcnt lgkmcnt(1)
	v_fma_f64 v[14:15], -v[10:11], v[18:19], v[26:27]
	v_fma_f64 v[18:19], -v[4:5], v[30:31], v[24:25]
	;; [unrolled: 1-line block ×3, first 2 shown]
	v_mul_f64 v[8:9], v[16:17], v[14:15]
	ds_read_b128 v[12:15], v50 offset:2032
	ds_read_b128 v[28:31], v50 offset:2016
	ds_read2_b64 v[63:66], v50 offset0:199 offset1:239
	s_waitcnt lgkmcnt(2)
	v_fma_f64 v[14:15], -v[10:11], v[14:15], v[18:19]
	global_load_dwordx4 v[16:19], v[48:49], off
	s_waitcnt lgkmcnt(0)
	v_mul_f64 v[73:74], v[2:3], v[65:66]
	v_fma_f64 v[22:23], -v[8:9], v[22:23], v[24:25]
	v_mul_f64 v[63:64], v[2:3], v[63:64]
	v_fma_f64 v[12:13], -v[8:9], v[12:13], v[14:15]
	v_mul_f64 v[14:15], v[20:21], v[22:23]
	ds_read_b128 v[32:35], v50 offset:1744
	ds_read_b128 v[24:27], v50 offset:1728
	;; [unrolled: 1-line block ×4, first 2 shown]
	ds_read2_b64 v[65:68], v50 offset0:119 offset1:159
	s_waitcnt lgkmcnt(4)
	v_mul_f64 v[34:35], v[2:3], v[34:35]
	s_waitcnt lgkmcnt(2)
	v_mul_f64 v[38:39], v[2:3], v[38:39]
	;; [unrolled: 2-line block ×3, first 2 shown]
	v_fma_f64 v[12:13], -v[14:15], v[30:31], v[12:13]
	s_waitcnt vmcnt(5)
	v_fma_f64 v[73:74], s[0:1], v[53:54], -v[73:74]
	s_waitcnt vmcnt(4)
	v_fma_f64 v[75:76], s[0:1], v[57:58], -v[63:64]
	v_fma_f64 v[34:35], s[0:1], v[51:52], -v[34:35]
	;; [unrolled: 1-line block ×3, first 2 shown]
	v_mul_f64 v[38:39], v[2:3], v[65:66]
	s_waitcnt vmcnt(3)
	v_fma_f64 v[67:68], s[0:1], v[46:47], -v[67:68]
	v_mul_f64 v[12:13], v[28:29], v[12:13]
	ds_read_b128 v[69:72], v50 offset:1104
	ds_read_b128 v[28:31], v50 offset:1088
	;; [unrolled: 1-line block ×3, first 2 shown]
	v_fma_f64 v[83:84], -v[0:1], v[32:33], v[34:35]
	s_waitcnt lgkmcnt(2)
	v_mul_f64 v[71:72], v[2:3], v[71:72]
	v_fma_f64 v[77:78], -v[0:1], v[36:37], v[77:78]
	v_fma_f64 v[26:27], -v[6:7], v[26:27], v[83:84]
	v_fma_f64 v[71:72], s[0:1], v[44:45], -v[71:72]
	ds_read_b128 v[44:47], v50 offset:768
	s_waitcnt lgkmcnt(1)
	v_mul_f64 v[53:54], v[2:3], v[53:54]
	s_waitcnt vmcnt(2)
	v_fma_f64 v[79:80], s[0:1], v[61:62], -v[38:39]
	v_fma_f64 v[69:70], -v[0:1], v[69:70], v[71:72]
	v_fma_f64 v[81:82], s[0:1], v[59:60], -v[53:54]
	ds_read2_b64 v[53:56], v50 offset0:39 offset1:79
	s_waitcnt lgkmcnt(0)
	v_mul_f64 v[38:39], v[2:3], v[55:56]
	ds_read_b128 v[55:58], v50 offset:464
	ds_read_b128 v[59:62], v50 offset:448
	v_fma_f64 v[51:52], -v[0:1], v[51:52], v[81:82]
	v_fma_f64 v[30:31], -v[6:7], v[30:31], v[69:70]
	s_waitcnt vmcnt(1)
	v_fma_f64 v[42:43], s[0:1], v[42:43], -v[38:39]
	s_waitcnt lgkmcnt(1)
	v_mul_f64 v[38:39], v[2:3], v[57:58]
	v_fma_f64 v[46:47], -v[6:7], v[46:47], v[51:52]
	v_fma_f64 v[30:31], -v[4:5], v[28:29], v[30:31]
	v_fma_f64 v[57:58], s[0:1], v[40:41], -v[38:39]
	v_mul_f64 v[38:39], v[2:3], v[53:54]
	v_fma_f64 v[55:56], -v[0:1], v[55:56], v[57:58]
	s_waitcnt vmcnt(0)
	v_fma_f64 v[53:54], s[0:1], v[18:19], -v[38:39]
	ds_read_b128 v[38:41], v50 offset:144
	ds_read_b128 v[63:66], v50 offset:128
	ds_read2_b64 v[32:35], v50 offset0:235 offset1:236
	s_waitcnt lgkmcnt(2)
	v_mul_f64 v[18:19], v[2:3], v[40:41]
	v_fma_f64 v[40:41], s[0:1], v[16:17], -v[18:19]
	ds_read2_b64 v[16:19], v50 offset0:237 offset1:238
	s_waitcnt lgkmcnt(0)
	v_fma_f64 v[18:19], -v[0:1], v[18:19], v[73:74]
	v_fma_f64 v[57:58], -v[0:1], v[38:39], v[40:41]
	ds_read2_b64 v[36:39], v50 offset0:197 offset1:198
	v_fma_f64 v[40:41], -v[6:7], v[16:17], v[18:19]
	ds_read2_b64 v[16:19], v50 offset0:157 offset1:158
	v_fma_f64 v[34:35], -v[4:5], v[34:35], v[40:41]
	v_fma_f64 v[40:41], -v[4:5], v[24:25], v[26:27]
	ds_read_b128 v[24:27], v50 offset:1712
	s_waitcnt lgkmcnt(1)
	v_fma_f64 v[18:19], -v[0:1], v[18:19], v[67:68]
	s_waitcnt lgkmcnt(0)
	v_fma_f64 v[26:27], -v[10:11], v[26:27], v[40:41]
	v_fma_f64 v[67:68], -v[6:7], v[16:17], v[18:19]
	ds_read2_b64 v[16:19], v50 offset0:117 offset1:118
	v_fma_f64 v[38:39], -v[0:1], v[38:39], v[75:76]
	v_fma_f64 v[75:76], -v[10:11], v[32:33], v[34:35]
	ds_read2_b64 v[32:35], v50 offset0:75 offset1:76
	s_waitcnt lgkmcnt(1)
	v_fma_f64 v[18:19], -v[0:1], v[18:19], v[79:80]
	v_fma_f64 v[40:41], -v[8:9], v[24:25], v[26:27]
	ds_read2_b64 v[24:27], v50 offset0:231 offset1:232
	v_fma_f64 v[71:72], -v[6:7], v[36:37], v[38:39]
	ds_read2_b64 v[36:39], v50 offset0:155 offset1:156
	;; [unrolled: 2-line block ×3, first 2 shown]
	s_waitcnt lgkmcnt(1)
	v_fma_f64 v[38:39], -v[4:5], v[38:39], v[67:68]
	s_waitcnt lgkmcnt(0)
	v_fma_f64 v[18:19], -v[0:1], v[18:19], v[42:43]
	v_fma_f64 v[38:39], -v[10:11], v[36:37], v[38:39]
	;; [unrolled: 1-line block ×3, first 2 shown]
	ds_read2_b64 v[16:19], v50 offset0:233 offset1:234
	s_waitcnt lgkmcnt(0)
	v_fma_f64 v[18:19], -v[8:9], v[18:19], v[75:76]
	v_fma_f64 v[42:43], -v[14:15], v[16:17], v[18:19]
	ds_read_b128 v[16:19], v50 offset:1696
	s_waitcnt lgkmcnt(0)
	v_fma_f64 v[18:19], -v[14:15], v[18:19], v[40:41]
	v_fma_f64 v[26:27], -v[12:13], v[26:27], v[42:43]
	;; [unrolled: 1-line block ×3, first 2 shown]
	ds_read2_b64 v[16:19], v50 offset0:37 offset1:38
	s_waitcnt lgkmcnt(0)
	v_fma_f64 v[42:43], -v[0:1], v[18:19], v[53:54]
	v_mul_f64 v[18:19], v[24:25], v[26:27]
	ds_read_b128 v[24:27], v50 offset:1680
	v_fma_f64 v[75:76], -v[6:7], v[16:17], v[42:43]
	s_waitcnt lgkmcnt(0)
	v_fma_f64 v[16:17], -v[18:19], v[26:27], v[40:41]
	v_fma_f64 v[26:27], -v[6:7], v[22:23], v[77:78]
	v_mul_f64 v[16:17], v[24:25], v[16:17]
	ds_read2_b64 v[22:25], v50 offset0:195 offset1:196
	ds_read2_b64 v[40:43], v50 offset0:193 offset1:194
	v_fma_f64 v[69:70], -v[4:5], v[20:21], v[26:27]
	v_fma_f64 v[20:21], -v[6:7], v[61:62], v[55:56]
	;; [unrolled: 1-line block ×3, first 2 shown]
	s_waitcnt lgkmcnt(1)
	v_fma_f64 v[24:25], -v[4:5], v[24:25], v[71:72]
	v_fma_f64 v[65:66], -v[4:5], v[44:45], v[46:47]
	ds_read2_b64 v[44:47], v50 offset0:115 offset1:116
	ds_read2_b64 v[55:58], v50 offset0:113 offset1:114
	ds_read_b128 v[51:54], v50 offset:1392
	ds_read_b128 v[26:29], v50 offset:1072
	v_fma_f64 v[67:68], -v[4:5], v[59:60], v[20:21]
	v_fma_f64 v[63:64], -v[4:5], v[63:64], v[61:62]
	ds_read2_b64 v[59:62], v50 offset0:35 offset1:36
	s_waitcnt lgkmcnt(4)
	v_fma_f64 v[46:47], -v[4:5], v[46:47], v[73:74]
	v_fma_f64 v[71:72], -v[10:11], v[22:23], v[24:25]
	;; [unrolled: 1-line block ×3, first 2 shown]
	ds_read_b128 v[20:23], v50 offset:752
	ds_read2_b64 v[34:37], v50 offset0:33 offset1:34
	s_waitcnt lgkmcnt(2)
	v_fma_f64 v[61:62], -v[4:5], v[61:62], v[75:76]
	v_fma_f64 v[53:54], -v[10:11], v[53:54], v[69:70]
	;; [unrolled: 1-line block ×3, first 2 shown]
	ds_read_b128 v[44:47], v50 offset:1056
	v_fma_f64 v[73:74], -v[10:11], v[28:29], v[30:31]
	v_fma_f64 v[32:33], -v[10:11], v[32:33], v[24:25]
	ds_read_b128 v[28:31], v50 offset:736
	s_waitcnt lgkmcnt(3)
	v_fma_f64 v[65:66], -v[10:11], v[22:23], v[65:66]
	ds_read_b128 v[22:25], v50 offset:432
	v_fma_f64 v[75:76], -v[10:11], v[59:60], v[61:62]
	v_fma_f64 v[77:78], -v[8:9], v[51:52], v[53:54]
	ds_read_b128 v[51:54], v50 offset:416
	ds_read_b128 v[59:62], v50 offset:112
	s_waitcnt lgkmcnt(2)
	v_fma_f64 v[67:68], -v[10:11], v[24:25], v[67:68]
	v_fma_f64 v[73:74], -v[8:9], v[26:27], v[73:74]
	ds_read_b128 v[24:27], v50 offset:96
	v_fma_f64 v[42:43], -v[8:9], v[42:43], v[71:72]
	s_waitcnt lgkmcnt(1)
	v_fma_f64 v[61:62], -v[10:11], v[61:62], v[63:64]
	v_fma_f64 v[65:66], -v[8:9], v[20:21], v[65:66]
	;; [unrolled: 1-line block ×4, first 2 shown]
	ds_read2_b64 v[20:23], v50 offset0:153 offset1:154
	v_fma_f64 v[46:47], -v[14:15], v[46:47], v[73:74]
	v_fma_f64 v[42:43], -v[14:15], v[40:41], v[42:43]
	;; [unrolled: 1-line block ×3, first 2 shown]
	ds_read2_b64 v[59:62], v50 offset0:151 offset1:152
	s_waitcnt lgkmcnt(1)
	v_fma_f64 v[22:23], -v[8:9], v[22:23], v[38:39]
	ds_read2_b64 v[38:41], v50 offset0:73 offset1:74
	v_fma_f64 v[71:72], -v[14:15], v[55:56], v[57:58]
	ds_read2_b64 v[55:58], v50 offset0:71 offset1:72
	v_fma_f64 v[30:31], -v[14:15], v[30:31], v[65:66]
	v_fma_f64 v[65:66], -v[12:13], v[44:45], v[46:47]
	s_waitcnt lgkmcnt(1)
	v_fma_f64 v[32:33], -v[8:9], v[40:41], v[32:33]
	v_fma_f64 v[53:54], -v[14:15], v[53:54], v[63:64]
	;; [unrolled: 1-line block ×3, first 2 shown]
	ds_read_b128 v[20:23], v50 offset:1376
	v_fma_f64 v[30:31], -v[12:13], v[28:29], v[30:31]
	s_waitcnt lgkmcnt(0)
	v_fma_f64 v[22:23], -v[14:15], v[22:23], v[77:78]
	v_fma_f64 v[77:78], -v[14:15], v[38:39], v[32:33]
	ds_read2_b64 v[38:41], v50 offset0:191 offset1:192
	v_fma_f64 v[46:47], -v[12:13], v[61:62], v[69:70]
	v_fma_f64 v[61:62], -v[14:15], v[26:27], v[67:68]
	ds_read2_b64 v[26:29], v50 offset0:109 offset1:110
	v_fma_f64 v[67:68], -v[12:13], v[51:52], v[53:54]
	s_waitcnt lgkmcnt(1)
	v_fma_f64 v[40:41], -v[12:13], v[40:41], v[42:43]
	v_fma_f64 v[32:33], -v[12:13], v[20:21], v[22:23]
	ds_read2_b64 v[20:23], v50 offset0:189 offset1:190
	v_fma_f64 v[42:43], -v[8:9], v[36:37], v[75:76]
	v_fma_f64 v[63:64], -v[18:19], v[59:60], v[46:47]
	ds_read2_b64 v[51:54], v50 offset0:149 offset1:150
	v_fma_f64 v[69:70], -v[12:13], v[24:25], v[61:62]
	ds_read2_b64 v[59:62], v50 offset0:147 offset1:148
	v_fma_f64 v[40:41], -v[18:19], v[38:39], v[40:41]
	ds_read_b128 v[36:39], v50 offset:1360
	v_fma_f64 v[57:58], -v[12:13], v[57:58], v[77:78]
	v_fma_f64 v[75:76], -v[14:15], v[34:35], v[42:43]
	ds_read2_b64 v[42:45], v50 offset0:111 offset1:112
	s_waitcnt lgkmcnt(3)
	v_fma_f64 v[53:54], -v[16:17], v[53:54], v[63:64]
	s_waitcnt lgkmcnt(1)
	v_fma_f64 v[73:74], -v[18:19], v[38:39], v[32:33]
	ds_read_b128 v[32:35], v50 offset:1008
	v_fma_f64 v[22:23], -v[16:17], v[22:23], v[40:41]
	ds_read_b128 v[38:41], v50 offset:1344
	v_fma_f64 v[77:78], -v[18:19], v[55:56], v[57:58]
	v_fma_f64 v[36:37], -v[16:17], v[36:37], v[73:74]
	v_mul_f64 v[22:23], v[20:21], v[22:23]
	s_waitcnt lgkmcnt(2)
	v_fma_f64 v[20:21], -v[12:13], v[44:45], v[71:72]
	ds_read_b128 v[44:47], v50 offset:1040
	s_waitcnt lgkmcnt(0)
	v_fma_f64 v[24:25], -v[18:19], v[46:47], v[65:66]
	v_fma_f64 v[36:37], -v[22:23], v[40:41], v[36:37]
	;; [unrolled: 1-line block ×4, first 2 shown]
	ds_read_b128 v[40:43], v50 offset:1024
	v_fma_f64 v[24:25], -v[16:17], v[44:45], v[24:25]
	v_mul_f64 v[20:21], v[38:39], v[36:37]
	ds_read_b128 v[36:39], v50 offset:720
	ds_read_b128 v[63:66], v50 offset:704
	v_fma_f64 v[55:56], -v[16:17], v[28:29], v[71:72]
	ds_read_b128 v[44:47], v50 offset:400
	ds_read2_b64 v[51:54], v50 offset0:31 offset1:32
	s_waitcnt lgkmcnt(3)
	v_fma_f64 v[38:39], -v[18:19], v[38:39], v[30:31]
	ds_read2_b64 v[28:31], v50 offset0:29 offset1:30
	v_fma_f64 v[24:25], -v[22:23], v[42:43], v[24:25]
	v_fma_f64 v[61:62], -v[20:21], v[61:62], v[73:74]
	s_waitcnt lgkmcnt(1)
	v_fma_f64 v[57:58], -v[12:13], v[53:54], v[75:76]
	v_fma_f64 v[71:72], -v[16:17], v[36:37], v[38:39]
	ds_read_b128 v[36:39], v50 offset:384
	v_fma_f64 v[46:47], -v[18:19], v[46:47], v[67:68]
	v_fma_f64 v[67:68], -v[22:23], v[26:27], v[55:56]
	;; [unrolled: 1-line block ×3, first 2 shown]
	v_mul_f64 v[26:27], v[59:60], v[61:62]
	ds_read2_b64 v[53:56], v50 offset0:69 offset1:70
	ds_read2_b64 v[40:43], v50 offset0:107 offset1:108
	v_fma_f64 v[73:74], -v[18:19], v[51:52], v[57:58]
	ds_read2_b64 v[57:60], v50 offset0:67 offset1:68
	v_fma_f64 v[61:62], -v[22:23], v[65:66], v[71:72]
	s_waitcnt lgkmcnt(2)
	v_fma_f64 v[51:52], -v[16:17], v[55:56], v[77:78]
	v_fma_f64 v[55:56], -v[16:17], v[44:45], v[46:47]
	ds_read2_b64 v[44:47], v50 offset0:105 offset1:106
	s_waitcnt lgkmcnt(2)
	v_fma_f64 v[42:43], -v[20:21], v[42:43], v[67:68]
	v_fma_f64 v[24:25], -v[26:27], v[34:35], v[24:25]
	;; [unrolled: 1-line block ×5, first 2 shown]
	ds_read_b128 v[51:54], v50 offset:80
	ds_read_b128 v[61:64], v50 offset:64
	v_fma_f64 v[71:72], -v[26:27], v[40:41], v[42:43]
	v_mul_f64 v[24:25], v[32:33], v[24:25]
	ds_read_b128 v[32:35], v50 offset:688
	ds_read_b128 v[40:43], v50 offset:672
	s_waitcnt lgkmcnt(3)
	v_fma_f64 v[69:70], -v[18:19], v[53:54], v[69:70]
	v_fma_f64 v[38:39], -v[22:23], v[38:39], v[55:56]
	v_fma_f64 v[59:60], -v[20:21], v[59:60], v[65:66]
	s_waitcnt lgkmcnt(1)
	v_fma_f64 v[34:35], -v[26:27], v[34:35], v[67:68]
	v_fma_f64 v[28:29], -v[22:23], v[28:29], v[30:31]
	ds_read_b128 v[53:56], v50 offset:368
	ds_read2_b64 v[65:68], v50 offset0:27 offset1:28
	v_fma_f64 v[46:47], -v[24:25], v[46:47], v[71:72]
	v_fma_f64 v[51:52], -v[16:17], v[51:52], v[69:70]
	;; [unrolled: 1-line block ×5, first 2 shown]
	s_waitcnt lgkmcnt(0)
	v_fma_f64 v[28:29], -v[20:21], v[67:68], v[28:29]
	v_mul_f64 v[30:31], v[44:45], v[46:47]
	ds_read2_b64 v[32:35], v50 offset0:65 offset1:66
	ds_read2_b64 v[36:39], v50 offset0:63 offset1:64
	;; [unrolled: 1-line block ×3, first 2 shown]
	v_fma_f64 v[51:52], -v[22:23], v[63:64], v[51:52]
	v_fma_f64 v[63:64], -v[26:27], v[55:56], v[69:70]
	s_waitcnt lgkmcnt(2)
	v_fma_f64 v[34:35], -v[24:25], v[34:35], v[57:58]
	ds_read_b128 v[55:58], v50 offset:48
	v_fma_f64 v[42:43], -v[30:31], v[42:43], v[59:60]
	v_fma_f64 v[59:60], -v[26:27], v[65:66], v[28:29]
	;; [unrolled: 1-line block ×5, first 2 shown]
	ds_read_b128 v[32:35], v50 offset:352
	v_mul_f64 v[28:29], v[40:41], v[42:43]
	s_waitcnt lgkmcnt(2)
	v_fma_f64 v[42:43], -v[24:25], v[46:47], v[59:60]
	s_waitcnt lgkmcnt(1)
	v_fma_f64 v[40:41], -v[26:27], v[57:58], v[51:52]
	;; [unrolled: 2-line block ×3, first 2 shown]
	v_fma_f64 v[38:39], -v[28:29], v[38:39], v[61:62]
	v_fma_f64 v[57:58], -v[30:31], v[44:45], v[42:43]
	;; [unrolled: 1-line block ×4, first 2 shown]
	v_mul_f64 v[34:35], v[36:37], v[38:39]
	ds_read_b128 v[40:43], v50 offset:32
	ds_read2_b64 v[36:39], v50 offset0:23 offset1:24
	ds_read_b128 v[44:47], v50 offset:336
	ds_read2_b64 v[51:54], v50 offset0:21 offset1:22
	s_waitcnt lgkmcnt(3)
	v_fma_f64 v[42:43], -v[30:31], v[42:43], v[55:56]
	s_waitcnt lgkmcnt(2)
	v_fma_f64 v[38:39], -v[28:29], v[38:39], v[57:58]
	;; [unrolled: 2-line block ×3, first 2 shown]
	v_fma_f64 v[40:41], -v[28:29], v[40:41], v[42:43]
	v_fma_f64 v[42:43], -v[34:35], v[36:37], v[38:39]
	ds_read_b128 v[36:39], v50 offset:16
	v_mul_f64 v[32:33], v[44:45], v[32:33]
	s_waitcnt lgkmcnt(0)
	v_fma_f64 v[38:39], -v[34:35], v[38:39], v[40:41]
	v_fma_f64 v[40:41], -v[32:33], v[53:54], v[42:43]
	;; [unrolled: 1-line block ×3, first 2 shown]
	v_mul_f64 v[38:39], v[51:52], v[40:41]
	ds_read_b128 v[40:43], v50
	global_store_dwordx4 v[48:49], v[0:3], off offset:144
	global_store_dwordx4 v[48:49], v[4:7], off offset:128
	s_waitcnt lgkmcnt(0)
	v_fma_f64 v[36:37], -v[38:39], v[42:43], v[36:37]
	v_mul_f64 v[36:37], v[40:41], v[36:37]
	global_store_dwordx4 v[48:49], v[8:11], off offset:112
	global_store_dwordx4 v[48:49], v[12:15], off offset:96
	;; [unrolled: 1-line block ×7, first 2 shown]
	global_store_dwordx4 v[48:49], v[36:39], off
.LBB90_10:
	s_cmp_gt_i32 s2, -1
	s_cbranch_scc0 .LBB90_29
; %bb.11:
	s_cmp_lt_u32 s2, 15
	s_cbranch_scc1 .LBB90_16
; %bb.12:
	s_mov_b32 s5, 0
	s_mov_b32 s3, s5
	s_lshl_b64 s[6:7], s[2:3], 3
	v_mov_b32_e32 v0, s7
	v_add_co_u32_e32 v26, vcc, s6, v48
	v_addc_co_u32_e32 v27, vcc, v49, v0, vcc
	global_load_dwordx4 v[0:3], v[26:27], off offset:-8
	global_load_dwordx4 v[10:13], v[26:27], off offset:-24
	;; [unrolled: 1-line block ×8, first 2 shown]
	s_cmp_le_i32 s11, s2
	s_waitcnt vmcnt(7)
	v_mul_f64 v[6:7], s[0:1], v[2:3]
	v_mul_f64 v[32:33], s[0:1], v[0:1]
	s_waitcnt vmcnt(6)
	v_mul_f64 v[8:9], s[0:1], v[12:13]
	v_mul_f64 v[10:11], s[0:1], v[10:11]
	;; [unrolled: 3-line block ×8, first 2 shown]
	s_cbranch_scc1 .LBB90_15
; %bb.13:
	s_mul_i32 s3, s2, 0xa0
	s_lshl_b32 s4, s22, 3
	s_add_i32 s3, s3, s4
	s_addk_i32 s3, 0xf698
	s_mov_b32 s4, s11
.LBB90_14:                              ; =>This Inner Loop Header: Depth=1
	s_lshl_b64 s[6:7], s[4:5], 3
	v_mov_b32_e32 v35, s7
	v_add_co_u32_e32 v34, vcc, s6, v48
	v_addc_co_u32_e32 v35, vcc, v49, v35, vcc
	global_load_dwordx2 v[46:47], v[34:35], off
	v_mov_b32_e32 v58, s3
	v_add_u32_e32 v62, 0x800, v58
	v_add_u32_e32 v66, 0x400, v58
	ds_read2_b64 v[34:37], v58 offset0:200 offset1:220
	ds_read2_b64 v[38:41], v58 offset0:160 offset1:180
	;; [unrolled: 1-line block ×5, first 2 shown]
	ds_read2_b64 v[58:61], v58 offset1:20
	ds_read2_b64 v[62:65], v62 offset0:24 offset1:44
	ds_read2_b64 v[66:69], v66 offset0:112 offset1:132
	s_add_i32 s4, s4, -1
	s_add_i32 s3, s3, -8
	s_cmp_gt_i32 s4, s2
	s_waitcnt vmcnt(0) lgkmcnt(1)
	v_fma_f64 v[6:7], -v[46:47], v[64:65], v[6:7]
	v_fma_f64 v[32:33], -v[46:47], v[62:63], v[32:33]
	s_waitcnt lgkmcnt(0)
	v_fma_f64 v[8:9], -v[46:47], v[68:69], v[8:9]
	v_fma_f64 v[10:11], -v[46:47], v[66:67], v[10:11]
	v_fma_f64 v[14:15], -v[46:47], v[36:37], v[14:15]
	v_fma_f64 v[30:31], -v[46:47], v[34:35], v[30:31]
	v_fma_f64 v[16:17], -v[46:47], v[40:41], v[16:17]
	v_fma_f64 v[20:21], -v[46:47], v[38:39], v[20:21]
	v_fma_f64 v[22:23], -v[46:47], v[44:45], v[22:23]
	v_fma_f64 v[28:29], -v[46:47], v[42:43], v[28:29]
	v_fma_f64 v[24:25], -v[46:47], v[52:53], v[24:25]
	v_fma_f64 v[18:19], -v[46:47], v[50:51], v[18:19]
	v_fma_f64 v[12:13], -v[46:47], v[56:57], v[12:13]
	v_fma_f64 v[4:5], -v[46:47], v[54:55], v[4:5]
	v_fma_f64 v[2:3], -v[46:47], v[60:61], v[2:3]
	v_fma_f64 v[0:1], -v[46:47], v[58:59], v[0:1]
	s_cbranch_scc1 .LBB90_14
.LBB90_15:
	s_mul_i32 s3, s2, 0xa8
	v_mov_b32_e32 v34, s3
	ds_read_b64 v[38:39], v34
	s_add_i32 s4, s2, -1
	s_mul_i32 s3, s4, 0xa0
	s_lshl_b32 s5, s4, 3
	s_add_i32 s5, s3, s5
	s_waitcnt lgkmcnt(0)
	v_mul_f64 v[6:7], v[38:39], v[6:7]
	v_mov_b32_e32 v34, s5
	ds_read2_b64 v[34:37], v34 offset1:1
	s_lshl_b32 s20, s2, 3
	s_add_i32 s8, s3, 0xffffff60
	s_add_i32 s9, s8, s20
	s_mov_b32 s5, 0
	s_lshl_b64 s[6:7], s[4:5], 3
	s_waitcnt lgkmcnt(0)
	v_fma_f64 v[32:33], -v[6:7], v[36:37], v[32:33]
	v_mov_b32_e32 v36, s9
	ds_read_b64 v[40:41], v36
	s_add_i32 s4, s2, -2
	s_lshl_b32 s9, s4, 3
	s_add_i32 s8, s8, s9
	v_mov_b32_e32 v36, s8
	s_add_i32 s8, s3, 0xfffffec0
	s_waitcnt lgkmcnt(0)
	v_fma_f64 v[40:41], -v[6:7], v[40:41], v[8:9]
	v_mul_f64 v[8:9], v[34:35], v[32:33]
	s_add_i32 s9, s8, s20
	s_add_i32 s9, s9, -8
	v_mov_b32_e32 v32, s9
	ds_read2_b64 v[36:39], v36 offset1:1
	ds_read2_b64 v[32:35], v32 offset1:1
	s_lshl_b64 s[14:15], s[4:5], 3
	s_add_i32 s4, s2, -3
	s_lshl_b32 s9, s4, 3
	s_add_i32 s8, s8, s9
	s_waitcnt lgkmcnt(1)
	v_fma_f64 v[42:43], -v[8:9], v[38:39], v[40:41]
	v_mov_b32_e32 v38, s8
	s_waitcnt lgkmcnt(0)
	v_fma_f64 v[44:45], -v[6:7], v[34:35], v[10:11]
	s_add_i32 s8, s3, 0xfffffe20
	s_add_i32 s9, s8, s20
	v_mov_b32_e32 v10, s9
	ds_read2_b64 v[38:41], v38 offset1:1
	ds_read_b64 v[46:47], v10
	v_mul_f64 v[10:11], v[36:37], v[42:43]
	s_add_i32 s9, s9, -16
	v_fma_f64 v[32:33], -v[8:9], v[32:33], v[44:45]
	v_mov_b32_e32 v34, s9
	s_waitcnt lgkmcnt(0)
	v_fma_f64 v[14:15], -v[6:7], v[46:47], v[14:15]
	ds_read2_b64 v[34:37], v34 offset1:1
	s_add_i32 s9, s3, 0xfffffd80
	s_add_i32 s18, s9, s20
	s_add_i32 s12, s18, -8
	s_lshl_b64 s[16:17], s[4:5], 3
	v_fma_f64 v[32:33], -v[10:11], v[40:41], v[32:33]
	s_add_i32 s4, s2, -4
	s_waitcnt lgkmcnt(0)
	v_fma_f64 v[14:15], -v[8:9], v[36:37], v[14:15]
	s_add_i32 s21, s3, 0xfffffc40
	s_add_i32 s23, s21, s20
	;; [unrolled: 1-line block ×4, first 2 shown]
	v_fma_f64 v[40:41], -v[10:11], v[34:35], v[14:15]
	v_mul_f64 v[14:15], v[38:39], v[32:33]
	v_mov_b32_e32 v32, s12
	ds_read2_b64 v[32:35], v32 offset1:1
	s_lshl_b32 s12, s4, 3
	s_add_i32 s8, s8, s12
	v_mov_b32_e32 v36, s8
	ds_read2_b64 v[36:39], v36 offset1:1
	s_waitcnt lgkmcnt(1)
	v_fma_f64 v[30:31], -v[6:7], v[34:35], v[30:31]
	s_lshl_b64 s[12:13], s[4:5], 3
	s_add_i32 s4, s2, -5
	s_sub_i32 s8, s18, 24
	s_add_i32 s18, s3, 0xfffffce0
	s_add_i32 s19, s18, s20
	s_waitcnt lgkmcnt(0)
	v_fma_f64 v[42:43], -v[14:15], v[38:39], v[40:41]
	v_mov_b32_e32 v44, s19
	v_fma_f64 v[34:35], -v[8:9], v[32:33], v[30:31]
	v_mov_b32_e32 v30, s8
	s_lshl_b32 s8, s4, 3
	s_add_i32 s8, s9, s8
	v_mov_b32_e32 v38, s8
	ds_read2_b64 v[30:33], v30 offset1:1
	ds_read2_b64 v[38:41], v38 offset1:1
	ds_read_b64 v[44:45], v44
	s_add_i32 s8, s19, -16
	s_sub_i32 s19, s19, 32
	s_waitcnt lgkmcnt(2)
	v_fma_f64 v[46:47], -v[10:11], v[32:33], v[34:35]
	v_mov_b32_e32 v32, s8
	ds_read2_b64 v[32:35], v32 offset1:1
	s_waitcnt lgkmcnt(1)
	v_fma_f64 v[44:45], -v[6:7], v[44:45], v[16:17]
	v_mul_f64 v[16:17], v[36:37], v[42:43]
	s_lshl_b64 s[8:9], s[4:5], 3
	s_add_i32 s4, s2, -6
	global_store_dwordx2 v[26:27], v[6:7], off
	v_fma_f64 v[30:31], -v[14:15], v[30:31], v[46:47]
	v_mov_b32_e32 v54, s9
	s_waitcnt lgkmcnt(0)
	v_fma_f64 v[34:35], -v[8:9], v[34:35], v[44:45]
	v_fma_f64 v[50:51], -v[16:17], v[40:41], v[30:31]
	v_mov_b32_e32 v30, s19
	s_lshl_b32 s19, s4, 3
	v_fma_f64 v[40:41], -v[10:11], v[32:33], v[34:35]
	ds_read2_b64 v[30:33], v30 offset1:1
	s_add_i32 s18, s18, s19
	v_mov_b32_e32 v34, s18
	ds_read2_b64 v[34:37], v34 offset1:1
	s_add_i32 s18, s23, -8
	s_waitcnt lgkmcnt(1)
	v_fma_f64 v[32:33], -v[14:15], v[32:33], v[40:41]
	v_mov_b32_e32 v40, s18
	ds_read2_b64 v[40:43], v40 offset1:1
	s_sub_i32 s18, s23, 24
	v_mov_b32_e32 v44, s18
	ds_read2_b64 v[44:47], v44 offset1:1
	s_add_i32 s18, s25, -16
	s_waitcnt lgkmcnt(1)
	v_fma_f64 v[42:43], -v[6:7], v[42:43], v[20:21]
	v_mul_f64 v[20:21], v[38:39], v[50:51]
	v_fma_f64 v[30:31], -v[16:17], v[30:31], v[32:33]
	s_sub_i32 s23, s23, 40
	v_fma_f64 v[32:33], -v[8:9], v[40:41], v[42:43]
	v_fma_f64 v[36:37], -v[20:21], v[36:37], v[30:31]
	v_mov_b32_e32 v30, s25
	ds_read_b64 v[38:39], v30
	v_mov_b32_e32 v30, s18
	s_lshl_b64 s[18:19], s[4:5], 3
	s_add_i32 s4, s2, -7
	s_waitcnt lgkmcnt(1)
	v_fma_f64 v[40:41], -v[10:11], v[46:47], v[32:33]
	s_waitcnt lgkmcnt(0)
	v_fma_f64 v[38:39], -v[6:7], v[38:39], v[22:23]
	ds_read2_b64 v[30:33], v30 offset1:1
	v_mul_f64 v[22:23], v[34:35], v[36:37]
	v_fma_f64 v[40:41], -v[14:15], v[44:45], v[40:41]
	s_waitcnt lgkmcnt(0)
	v_fma_f64 v[42:43], -v[8:9], v[32:33], v[38:39]
	v_mov_b32_e32 v32, s23
	s_lshl_b32 s23, s4, 3
	ds_read2_b64 v[32:35], v32 offset1:1
	s_add_i32 s21, s21, s23
	v_mov_b32_e32 v36, s21
	s_add_i32 s21, s3, 0xfffffb00
	s_add_i32 s23, s21, s20
	s_add_i32 s26, s23, -8
	v_fma_f64 v[50:51], -v[10:11], v[30:31], v[42:43]
	v_mov_b32_e32 v30, s26
	ds_read2_b64 v[36:39], v36 offset1:1
	s_waitcnt lgkmcnt(1)
	v_fma_f64 v[34:35], -v[16:17], v[34:35], v[40:41]
	ds_read2_b64 v[40:43], v30 offset1:1
	s_sub_i32 s26, s25, 32
	s_sub_i32 s27, s23, 24
	v_mov_b32_e32 v30, s27
	ds_read2_b64 v[44:47], v30 offset1:1
	s_waitcnt lgkmcnt(1)
	v_fma_f64 v[42:43], -v[6:7], v[42:43], v[28:29]
	v_mov_b32_e32 v28, s26
	ds_read2_b64 v[28:31], v28 offset1:1
	s_sub_i32 s25, s25, 48
	v_fma_f64 v[52:53], -v[20:21], v[32:33], v[34:35]
	v_mov_b32_e32 v32, s25
	ds_read2_b64 v[32:35], v32 offset1:1
	s_waitcnt lgkmcnt(1)
	v_fma_f64 v[30:31], -v[14:15], v[30:31], v[50:51]
	v_fma_f64 v[40:41], -v[8:9], v[40:41], v[42:43]
	v_mov_b32_e32 v50, s15
	s_sub_i32 s15, s23, 40
	s_add_i32 s25, s3, 0xfffffa60
	v_fma_f64 v[26:27], -v[22:23], v[38:39], v[52:53]
	v_mov_b32_e32 v42, s7
	v_add_co_u32_e32 v38, vcc, s6, v48
	v_fma_f64 v[28:29], -v[16:17], v[28:29], v[30:31]
	v_fma_f64 v[30:31], -v[10:11], v[46:47], v[40:41]
	s_lshl_b64 s[6:7], s[4:5], 3
	s_add_i32 s4, s2, -8
	v_mul_f64 v[26:27], v[36:37], v[26:27]
	v_addc_co_u32_e32 v39, vcc, v49, v42, vcc
	global_store_dwordx2 v[38:39], v[8:9], off
	s_waitcnt lgkmcnt(0)
	v_fma_f64 v[34:35], -v[20:21], v[34:35], v[28:29]
	v_fma_f64 v[36:37], -v[14:15], v[44:45], v[30:31]
	v_mov_b32_e32 v28, s15
	ds_read2_b64 v[28:31], v28 offset1:1
	s_sub_i32 s15, s23, 56
	s_add_i32 s23, s25, s20
	v_fma_f64 v[44:45], -v[22:23], v[32:33], v[34:35]
	v_mov_b32_e32 v32, s15
	ds_read2_b64 v[32:35], v32 offset1:1
	s_waitcnt lgkmcnt(1)
	v_fma_f64 v[30:31], -v[16:17], v[30:31], v[36:37]
	v_mov_b32_e32 v36, s23
	ds_read_b64 v[36:37], v36
	s_lshl_b32 s15, s4, 3
	s_add_i32 s15, s24, s15
	v_mov_b32_e32 v38, s15
	s_add_i32 s15, s23, -16
	s_waitcnt lgkmcnt(0)
	v_fma_f64 v[24:25], -v[6:7], v[36:37], v[24:25]
	v_fma_f64 v[46:47], -v[20:21], v[28:29], v[30:31]
	v_mov_b32_e32 v28, s15
	ds_read2_b64 v[28:31], v28 offset1:1
	ds_read2_b64 v[36:39], v38 offset1:1
	s_add_i32 s24, s3, 0xfffff9c0
	s_sub_i32 s15, s23, 32
	s_add_i32 s26, s24, s20
	v_mov_b32_e32 v40, s15
	s_add_i32 s15, s26, -8
	s_waitcnt lgkmcnt(1)
	v_fma_f64 v[24:25], -v[8:9], v[30:31], v[24:25]
	v_mov_b32_e32 v30, s15
	s_waitcnt lgkmcnt(0)
	v_fma_f64 v[38:39], -v[26:27], v[38:39], v[44:45]
	v_fma_f64 v[34:35], -v[22:23], v[34:35], v[46:47]
	ds_read2_b64 v[44:47], v30 offset1:1
	s_sub_i32 s15, s26, 24
	ds_read2_b64 v[40:43], v40 offset1:1
	v_fma_f64 v[24:25], -v[10:11], v[28:29], v[24:25]
	s_waitcnt lgkmcnt(1)
	v_fma_f64 v[18:19], -v[6:7], v[46:47], v[18:19]
	v_mov_b32_e32 v28, s15
	ds_read2_b64 v[28:31], v28 offset1:1
	v_add_co_u32_e32 v46, vcc, s14, v48
	s_lshl_b64 s[14:15], s[4:5], 3
	s_add_i32 s4, s2, -9
	s_lshl_b32 s27, s4, 3
	v_fma_f64 v[18:19], -v[8:9], v[44:45], v[18:19]
	s_add_i32 s21, s21, s27
	v_fma_f64 v[52:53], -v[26:27], v[32:33], v[34:35]
	v_mov_b32_e32 v32, s21
	s_sub_i32 s21, s23, 48
	v_addc_co_u32_e32 v47, vcc, v49, v50, vcc
	v_mul_f64 v[50:51], v[36:37], v[38:39]
	s_waitcnt lgkmcnt(0)
	v_fma_f64 v[18:19], -v[10:11], v[30:31], v[18:19]
	v_mov_b32_e32 v36, s21
	ds_read2_b64 v[36:39], v36 offset1:1
	v_fma_f64 v[24:25], -v[14:15], v[42:43], v[24:25]
	s_sub_i32 s21, s23, 64
	v_mov_b32_e32 v45, s17
	s_sub_i32 s17, s26, 40
	v_mov_b32_e32 v30, s21
	v_fma_f64 v[18:19], -v[14:15], v[28:29], v[18:19]
	v_mov_b32_e32 v28, s17
	s_add_i32 s23, s3, 0xfffff920
	v_fma_f64 v[24:25], -v[16:17], v[40:41], v[24:25]
	ds_read2_b64 v[40:43], v30 offset1:1
	ds_read2_b64 v[28:31], v28 offset1:1
	s_add_i32 s27, s23, s20
	s_add_i32 s28, s27, -16
	ds_read2_b64 v[32:35], v32 offset1:1
	s_sub_i32 s17, s26, 56
	s_waitcnt lgkmcnt(1)
	v_fma_f64 v[18:19], -v[16:17], v[30:31], v[18:19]
	v_fma_f64 v[24:25], -v[20:21], v[38:39], v[24:25]
	v_add_co_u32_e32 v44, vcc, s16, v48
	s_waitcnt lgkmcnt(0)
	v_fma_f64 v[38:39], -v[50:51], v[34:35], v[52:53]
	v_mov_b32_e32 v34, s17
	s_lshl_b64 s[16:17], s[4:5], 3
	s_add_i32 s4, s2, -10
	v_fma_f64 v[18:19], -v[20:21], v[28:29], v[18:19]
	v_mov_b32_e32 v28, s27
	ds_read_b64 v[28:29], v28
	v_fma_f64 v[24:25], -v[22:23], v[36:37], v[24:25]
	ds_read2_b64 v[34:37], v34 offset1:1
	s_lshl_b32 s21, s4, 3
	s_add_i32 s21, s25, s21
	s_waitcnt lgkmcnt(1)
	v_fma_f64 v[12:13], -v[6:7], v[28:29], v[12:13]
	v_mov_b32_e32 v28, s28
	ds_read2_b64 v[28:31], v28 offset1:1
	s_sub_i32 s25, s27, 32
	v_fma_f64 v[24:25], -v[26:27], v[42:43], v[24:25]
	v_mul_f64 v[52:53], v[32:33], v[38:39]
	v_mov_b32_e32 v32, s25
	s_waitcnt lgkmcnt(1)
	v_fma_f64 v[18:19], -v[22:23], v[36:37], v[18:19]
	s_waitcnt lgkmcnt(0)
	v_fma_f64 v[12:13], -v[8:9], v[30:31], v[12:13]
	ds_read2_b64 v[36:39], v32 offset1:1
	v_mov_b32_e32 v30, s21
	ds_read2_b64 v[30:33], v30 offset1:1
	v_fma_f64 v[24:25], -v[50:51], v[40:41], v[24:25]
	v_addc_co_u32_e32 v45, vcc, v49, v45, vcc
	s_add_i32 s21, s26, 0xffffffb8
	v_fma_f64 v[12:13], -v[10:11], v[28:29], v[12:13]
	v_mov_b32_e32 v29, s13
	v_add_co_u32_e32 v28, vcc, s12, v48
	s_waitcnt lgkmcnt(0)
	v_fma_f64 v[24:25], -v[52:53], v[32:33], v[24:25]
	v_fma_f64 v[18:19], -v[26:27], v[34:35], v[18:19]
	v_mov_b32_e32 v34, s21
	v_addc_co_u32_e32 v29, vcc, v49, v29, vcc
	v_fma_f64 v[12:13], -v[14:15], v[38:39], v[12:13]
	s_sub_i32 s21, s27, 48
	global_store_dwordx2 v[28:29], v[16:17], off
	v_mov_b32_e32 v28, s21
	v_mul_f64 v[24:25], v[30:31], v[24:25]
	ds_read2_b64 v[28:31], v28 offset1:1
	s_lshl_b64 s[12:13], s[4:5], 3
	s_add_i32 s4, s2, -11
	v_fma_f64 v[12:13], -v[16:17], v[36:37], v[12:13]
	s_sub_i32 s21, s27, 64
	s_lshl_b32 s9, s4, 3
	v_mov_b32_e32 v32, s21
	s_add_i32 s21, s3, 0xfffff880
	s_add_i32 s9, s24, s9
	;; [unrolled: 1-line block ×3, first 2 shown]
	s_add_i32 s25, s24, -8
	ds_read2_b64 v[40:43], v34 offset1:1
	ds_read2_b64 v[32:35], v32 offset1:1
	s_waitcnt lgkmcnt(2)
	v_fma_f64 v[12:13], -v[20:21], v[30:31], v[12:13]
	v_mov_b32_e32 v30, s25
	ds_read2_b64 v[36:39], v30 offset1:1
	s_waitcnt lgkmcnt(2)
	v_fma_f64 v[18:19], -v[50:51], v[42:43], v[18:19]
	v_mov_b32_e32 v30, s9
	s_sub_i32 s9, s24, 24
	v_mov_b32_e32 v31, s9
	s_waitcnt lgkmcnt(0)
	v_fma_f64 v[4:5], -v[6:7], v[38:39], v[4:5]
	v_fma_f64 v[12:13], -v[22:23], v[28:29], v[12:13]
	v_add_co_u32_e32 v28, vcc, s8, v48
	v_fma_f64 v[18:19], -v[52:53], v[40:41], v[18:19]
	ds_read2_b64 v[40:43], v31 offset1:1
	v_addc_co_u32_e32 v29, vcc, v49, v54, vcc
	v_fma_f64 v[4:5], -v[8:9], v[36:37], v[4:5]
	v_fma_f64 v[12:13], -v[26:27], v[34:35], v[12:13]
	global_store_dwordx2 v[28:29], v[20:21], off
	v_mov_b32_e32 v29, s19
	v_add_co_u32_e32 v28, vcc, s18, v48
	v_addc_co_u32_e32 v29, vcc, v49, v29, vcc
	s_waitcnt lgkmcnt(0)
	v_fma_f64 v[4:5], -v[10:11], v[42:43], v[4:5]
	v_fma_f64 v[12:13], -v[50:51], v[32:33], v[12:13]
	s_lshl_b64 s[8:9], s[4:5], 3
	s_add_i32 s4, s27, 0xffffffb0
	global_store_dwordx2 v[28:29], v[22:23], off
	v_mov_b32_e32 v28, s4
	s_sub_i32 s4, s24, 40
	global_store_dwordx2 v[46:47], v[10:11], off
	v_fma_f64 v[4:5], -v[14:15], v[40:41], v[4:5]
	global_store_dwordx2 v[44:45], v[14:15], off
	ds_read2_b64 v[44:47], v30 offset1:1
	ds_read2_b64 v[28:31], v28 offset1:1
	v_mov_b32_e32 v32, s4
	ds_read2_b64 v[32:35], v32 offset1:1
	s_sub_i32 s4, s24, 56
	s_add_i32 s18, s3, 0xfffff7e0
	s_waitcnt lgkmcnt(1)
	v_fma_f64 v[12:13], -v[52:53], v[30:31], v[12:13]
	v_mov_b32_e32 v30, s4
	ds_read2_b64 v[36:39], v30 offset1:1
	s_waitcnt lgkmcnt(1)
	v_fma_f64 v[4:5], -v[16:17], v[34:35], v[4:5]
	s_add_i32 s19, s18, s20
	v_mov_b32_e32 v30, s19
	ds_read_b64 v[30:31], v30
	s_add_i32 s26, s19, -16
	v_fma_f64 v[42:43], -v[24:25], v[28:29], v[12:13]
	s_add_i32 s4, s2, -12
	s_lshl_b32 s25, s4, 3
	v_fma_f64 v[12:13], -v[20:21], v[32:33], v[4:5]
	s_waitcnt lgkmcnt(0)
	v_fma_f64 v[32:33], -v[6:7], v[30:31], v[2:3]
	v_mov_b32_e32 v2, s26
	ds_read2_b64 v[2:5], v2 offset1:1
	s_add_i32 s23, s23, s25
	s_sub_i32 s25, s19, 32
	v_mov_b32_e32 v28, s25
	s_addk_i32 s3, 0xf740
	v_fma_f64 v[18:19], -v[24:25], v[46:47], v[18:19]
	ds_read2_b64 v[28:31], v28 offset1:1
	s_waitcnt lgkmcnt(1)
	v_fma_f64 v[4:5], -v[8:9], v[4:5], v[32:33]
	s_add_i32 s20, s3, s20
	v_mov_b32_e32 v40, s23
	s_add_i32 s23, s20, -8
	v_mov_b32_e32 v32, s23
	ds_read2_b64 v[32:35], v32 offset1:1
	v_mul_f64 v[18:19], v[44:45], v[18:19]
	v_fma_f64 v[12:13], -v[22:23], v[38:39], v[12:13]
	v_fma_f64 v[44:45], -v[10:11], v[2:3], v[4:5]
	s_sub_i32 s23, s20, 24
	s_waitcnt lgkmcnt(0)
	v_fma_f64 v[0:1], -v[6:7], v[34:35], v[0:1]
	v_mov_b32_e32 v2, s23
	s_add_i32 s23, s24, 0xffffffb8
	v_mov_b32_e32 v6, s23
	ds_read2_b64 v[2:5], v2 offset1:1
	v_fma_f64 v[12:13], -v[26:27], v[36:37], v[12:13]
	v_fma_f64 v[30:31], -v[14:15], v[30:31], v[44:45]
	ds_read2_b64 v[34:37], v6 offset1:1
	v_fma_f64 v[0:1], -v[8:9], v[32:33], v[0:1]
	s_add_i32 s23, s24, 0xffffffa8
	v_mov_b32_e32 v6, s23
	s_sub_i32 s23, s19, 48
	v_mov_b32_e32 v44, s7
	s_waitcnt lgkmcnt(0)
	v_fma_f64 v[32:33], -v[50:51], v[36:37], v[12:13]
	v_fma_f64 v[36:37], -v[16:17], v[28:29], v[30:31]
	v_mov_b32_e32 v12, s23
	v_fma_f64 v[0:1], -v[10:11], v[4:5], v[0:1]
	ds_read2_b64 v[28:31], v12 offset1:1
	s_sub_i32 s23, s19, 64
	v_mov_b32_e32 v4, s23
	ds_read2_b64 v[10:13], v4 offset1:1
	s_sub_i32 s7, s20, 40
	s_waitcnt lgkmcnt(1)
	v_fma_f64 v[4:5], -v[20:21], v[30:31], v[36:37]
	v_fma_f64 v[32:33], -v[52:53], v[34:35], v[32:33]
	;; [unrolled: 1-line block ×3, first 2 shown]
	v_mov_b32_e32 v0, s7
	ds_read2_b64 v[0:3], v0 offset1:1
	ds_read2_b64 v[6:9], v6 offset1:1
	s_sub_i32 s7, s20, 56
	s_add_i32 s23, s19, 0xffffffb0
	v_fma_f64 v[4:5], -v[22:23], v[28:29], v[4:5]
	v_mov_b32_e32 v28, s7
	s_waitcnt lgkmcnt(1)
	v_fma_f64 v[2:3], -v[16:17], v[2:3], v[14:15]
	s_waitcnt lgkmcnt(0)
	v_fma_f64 v[8:9], -v[24:25], v[8:9], v[32:33]
	ds_read2_b64 v[28:31], v28 offset1:1
	ds_read2_b64 v[38:41], v40 offset1:1
	v_add_co_u32_e32 v14, vcc, s6, v48
	v_fma_f64 v[4:5], -v[26:27], v[12:13], v[4:5]
	s_lshl_b64 s[6:7], s[4:5], 3
	v_fma_f64 v[12:13], -v[20:21], v[0:1], v[2:3]
	v_fma_f64 v[20:21], -v[18:19], v[6:7], v[8:9]
	v_mov_b32_e32 v0, s23
	ds_read2_b64 v[0:3], v0 offset1:1
	s_add_i32 s4, s2, -13
	v_mov_b32_e32 v32, s15
	v_fma_f64 v[8:9], -v[50:51], v[10:11], v[4:5]
	s_lshl_b32 s15, s4, 3
	s_waitcnt lgkmcnt(2)
	v_fma_f64 v[12:13], -v[22:23], v[30:31], v[12:13]
	s_addk_i32 s19, 0xffa0
	s_waitcnt lgkmcnt(1)
	v_fma_f64 v[36:37], -v[18:19], v[40:41], v[42:43]
	v_mov_b32_e32 v4, s19
	s_add_i32 s15, s21, s15
	ds_read2_b64 v[4:7], v4 offset1:1
	s_waitcnt lgkmcnt(1)
	v_fma_f64 v[2:3], -v[52:53], v[2:3], v[8:9]
	v_mov_b32_e32 v8, s15
	v_fma_f64 v[22:23], -v[26:27], v[28:29], v[12:13]
	s_add_i32 s15, s20, 0xffffffb8
	v_addc_co_u32_e32 v15, vcc, v49, v44, vcc
	v_mov_b32_e32 v12, s15
	global_store_dwordx2 v[14:15], v[26:27], off
	ds_read2_b64 v[12:15], v12 offset1:1
	v_mul_f64 v[16:17], v[38:39], v[36:37]
	ds_read2_b64 v[8:11], v8 offset1:1
	v_fma_f64 v[26:27], -v[24:25], v[0:1], v[2:3]
	s_add_i32 s15, s20, 0xffffffa8
	s_waitcnt lgkmcnt(1)
	v_fma_f64 v[14:15], -v[50:51], v[14:15], v[22:23]
	v_mov_b32_e32 v0, s15
	ds_read2_b64 v[0:3], v0 offset1:1
	v_add_co_u32_e32 v22, vcc, s14, v48
	s_waitcnt lgkmcnt(1)
	v_fma_f64 v[10:11], -v[16:17], v[10:11], v[20:21]
	v_fma_f64 v[6:7], -v[18:19], v[6:7], v[26:27]
	v_addc_co_u32_e32 v23, vcc, v49, v32, vcc
	v_fma_f64 v[12:13], -v[52:53], v[12:13], v[14:15]
	global_store_dwordx2 v[22:23], v[50:51], off
	v_mov_b32_e32 v22, s17
	v_add_co_u32_e32 v14, vcc, s16, v48
	v_mul_f64 v[10:11], v[8:9], v[10:11]
	v_addc_co_u32_e32 v15, vcc, v49, v22, vcc
	s_waitcnt lgkmcnt(0)
	v_fma_f64 v[8:9], -v[24:25], v[2:3], v[12:13]
	s_lshl_b64 s[14:15], s[4:5], 3
	s_add_i32 s4, s2, -14
	global_store_dwordx2 v[14:15], v[52:53], off
	v_mov_b32_e32 v15, s13
	s_lshl_b32 s13, s4, 3
	v_fma_f64 v[12:13], -v[16:17], v[4:5], v[6:7]
	s_add_i32 s13, s18, s13
	v_fma_f64 v[0:1], -v[18:19], v[0:1], v[8:9]
	v_mov_b32_e32 v2, s13
	s_add_i32 s13, s20, 0xffffff98
	v_mov_b32_e32 v6, s13
	ds_read2_b64 v[2:5], v2 offset1:1
	ds_read2_b64 v[6:9], v6 offset1:1
	v_add_co_u32_e32 v14, vcc, s12, v48
	v_addc_co_u32_e32 v15, vcc, v49, v15, vcc
	s_waitcnt lgkmcnt(1)
	v_fma_f64 v[4:5], -v[10:11], v[4:5], v[12:13]
	s_waitcnt lgkmcnt(0)
	v_fma_f64 v[0:1], -v[16:17], v[8:9], v[0:1]
	global_store_dwordx2 v[14:15], v[24:25], off
	v_mov_b32_e32 v14, s9
	v_add_co_u32_e32 v8, vcc, s8, v48
	v_addc_co_u32_e32 v9, vcc, v49, v14, vcc
	s_lshl_b64 s[8:9], s[4:5], 3
	s_add_i32 s4, s2, -15
	global_store_dwordx2 v[8:9], v[18:19], off
	v_mov_b32_e32 v9, s7
	v_mul_f64 v[4:5], v[2:3], v[4:5]
	v_fma_f64 v[6:7], -v[10:11], v[6:7], v[0:1]
	s_lshl_b32 s7, s4, 3
	s_add_i32 s3, s3, s7
	v_mov_b32_e32 v0, s3
	ds_read2_b64 v[0:3], v0 offset1:1
	v_add_co_u32_e32 v8, vcc, s6, v48
	v_addc_co_u32_e32 v9, vcc, v49, v9, vcc
	s_waitcnt lgkmcnt(0)
	v_fma_f64 v[2:3], -v[4:5], v[2:3], v[6:7]
	global_store_dwordx2 v[8:9], v[16:17], off
	v_mov_b32_e32 v8, s15
	v_add_co_u32_e32 v6, vcc, s14, v48
	v_addc_co_u32_e32 v7, vcc, v49, v8, vcc
	global_store_dwordx2 v[6:7], v[10:11], off
	v_mul_f64 v[0:1], v[0:1], v[2:3]
	v_mov_b32_e32 v7, s9
	v_add_co_u32_e32 v6, vcc, s8, v48
	v_addc_co_u32_e32 v7, vcc, v49, v7, vcc
	s_lshl_b64 s[4:5], s[4:5], 3
	v_mov_b32_e32 v3, s5
	v_add_co_u32_e32 v2, vcc, s4, v48
	v_addc_co_u32_e32 v3, vcc, v49, v3, vcc
	s_add_i32 s2, s2, -16
	global_store_dwordx2 v[6:7], v[4:5], off
	global_store_dwordx2 v[2:3], v[0:1], off
.LBB90_16:
	s_cmp_lt_i32 s2, 0
	s_cbranch_scc1 .LBB90_29
; %bb.17:
	s_bitcmp1_b32 s2, 0
	s_cselect_b64 s[4:5], -1, 0
	s_and_b64 vcc, exec, s[4:5]
	s_mov_b32 s4, s2
	s_cbranch_vccnz .LBB90_22
; %bb.18:
	s_mov_b32 s5, 0
	s_mov_b32 s3, s5
	s_lshl_b64 s[6:7], s[2:3], 3
	v_mov_b32_e32 v1, s7
	v_add_co_u32_e32 v0, vcc, s6, v48
	v_addc_co_u32_e32 v1, vcc, v49, v1, vcc
	global_load_dwordx2 v[2:3], v[0:1], off
	s_cmp_le_i32 s11, s2
	s_waitcnt vmcnt(0)
	v_mul_f64 v[2:3], s[0:1], v[2:3]
	s_cbranch_scc1 .LBB90_21
; %bb.19:
	s_mul_i32 s3, s2, 0xa0
	s_lshl_b32 s4, s22, 3
	s_add_i32 s3, s3, s4
	s_add_i32 s3, s3, -8
	s_mov_b32 s4, s11
.LBB90_20:                              ; =>This Inner Loop Header: Depth=1
	s_lshl_b64 s[6:7], s[4:5], 3
	v_mov_b32_e32 v5, s7
	v_add_co_u32_e32 v4, vcc, s6, v48
	v_addc_co_u32_e32 v5, vcc, v49, v5, vcc
	global_load_dwordx2 v[4:5], v[4:5], off
	v_mov_b32_e32 v6, s3
	ds_read_b64 v[6:7], v6
	s_add_i32 s4, s4, -1
	s_add_i32 s3, s3, -8
	s_cmp_gt_i32 s4, s2
	s_waitcnt vmcnt(0) lgkmcnt(0)
	v_fma_f64 v[2:3], -v[4:5], v[6:7], v[2:3]
	s_cbranch_scc1 .LBB90_20
.LBB90_21:
	s_mul_i32 s3, s2, 0xa8
	v_mov_b32_e32 v4, s3
	ds_read_b64 v[4:5], v4
	s_add_i32 s4, s2, -1
	s_waitcnt lgkmcnt(0)
	v_mul_f64 v[2:3], v[4:5], v[2:3]
	global_store_dwordx2 v[0:1], v[2:3], off
.LBB90_22:
	s_cmp_eq_u32 s2, 0
	s_mov_b32 s3, 0
	s_cbranch_scc1 .LBB90_29
; %bb.23:
	s_mul_i32 s2, s4, 0xa0
	s_lshl_b32 s5, s22, 3
	s_add_i32 s2, s2, s5
	s_add_i32 s6, s2, -8
	s_add_i32 s7, s2, 0xffffff58
	s_branch .LBB90_25
.LBB90_24:                              ;   in Loop: Header=BB90_25 Depth=1
	s_add_i32 s2, s5, 0xffffff58
	v_mov_b32_e32 v0, s2
	ds_read_b64 v[0:1], v0
	s_add_i32 s2, s4, -2
	s_addk_i32 s6, 0xfec0
	s_addk_i32 s7, 0xfec0
	s_cmp_lt_i32 s4, 2
	s_waitcnt lgkmcnt(0)
	v_mul_f64 v[0:1], v[0:1], v[4:5]
	s_mov_b32 s4, s2
	global_store_dwordx2 v[2:3], v[0:1], off
	s_cbranch_scc1 .LBB90_29
.LBB90_25:                              ; =>This Loop Header: Depth=1
                                        ;     Child Loop BB90_26 Depth 2
                                        ;     Child Loop BB90_28 Depth 2
	s_mov_b32 s5, s3
	s_lshl_b64 s[8:9], s[4:5], 3
	v_mov_b32_e32 v1, s9
	v_add_co_u32_e32 v0, vcc, s8, v48
	v_addc_co_u32_e32 v1, vcc, v49, v1, vcc
	global_load_dwordx2 v[2:3], v[0:1], off
	s_cmp_le_i32 s11, s4
	s_mov_b32 s5, s6
	s_mov_b32 s2, s11
	s_waitcnt vmcnt(0)
	v_mul_f64 v[4:5], s[0:1], v[2:3]
	s_cbranch_scc1 .LBB90_27
.LBB90_26:                              ;   Parent Loop BB90_25 Depth=1
                                        ; =>  This Inner Loop Header: Depth=2
	s_lshl_b64 s[8:9], s[2:3], 3
	v_mov_b32_e32 v3, s9
	v_add_co_u32_e32 v2, vcc, s8, v48
	v_addc_co_u32_e32 v3, vcc, v49, v3, vcc
	global_load_dwordx2 v[2:3], v[2:3], off
	v_mov_b32_e32 v6, s5
	ds_read_b64 v[6:7], v6
	s_add_i32 s2, s2, -1
	s_add_i32 s5, s5, -8
	s_cmp_gt_i32 s2, s4
	s_waitcnt vmcnt(0) lgkmcnt(0)
	v_fma_f64 v[4:5], -v[2:3], v[6:7], v[4:5]
	s_cbranch_scc1 .LBB90_26
.LBB90_27:                              ;   in Loop: Header=BB90_25 Depth=1
	s_add_i32 s2, s4, -1
	s_lshl_b64 s[8:9], s[2:3], 3
	v_mov_b32_e32 v3, s9
	v_add_co_u32_e32 v2, vcc, s8, v48
	v_addc_co_u32_e32 v3, vcc, v49, v3, vcc
	global_load_dwordx2 v[6:7], v[2:3], off
	s_mul_i32 s5, s4, 0xa8
	v_mov_b32_e32 v8, s5
	ds_read_b64 v[8:9], v8
	s_cmp_le_i32 s22, s4
	s_mov_b32 s8, s7
	s_mov_b32 s2, s22
	s_waitcnt lgkmcnt(0)
	v_mul_f64 v[8:9], v[8:9], v[4:5]
	global_store_dwordx2 v[0:1], v[8:9], off
	s_waitcnt vmcnt(1)
	v_mul_f64 v[4:5], s[0:1], v[6:7]
	s_cbranch_scc1 .LBB90_24
.LBB90_28:                              ;   Parent Loop BB90_25 Depth=1
                                        ; =>  This Inner Loop Header: Depth=2
	s_add_i32 s2, s2, -1
	s_lshl_b64 s[12:13], s[2:3], 3
	v_mov_b32_e32 v1, s13
	v_add_co_u32_e32 v0, vcc, s12, v48
	v_addc_co_u32_e32 v1, vcc, v49, v1, vcc
	global_load_dwordx2 v[0:1], v[0:1], off
	v_mov_b32_e32 v6, s8
	ds_read_b64 v[6:7], v6
	s_add_i32 s8, s8, -8
	s_cmp_gt_i32 s2, s4
	s_waitcnt vmcnt(0) lgkmcnt(0)
	v_fma_f64 v[4:5], -v[0:1], v[6:7], v[4:5]
	s_cbranch_scc1 .LBB90_28
	s_branch .LBB90_24
.LBB90_29:
	s_mov_b64 s[2:3], 0
.LBB90_30:
	s_and_b64 vcc, exec, s[2:3]
	s_cbranch_vccz .LBB90_44
; %bb.31:
	s_cmp_gt_i32 s10, 19
	s_cselect_b64 s[2:3], -1, 0
	s_mov_b32 s4, 0
	s_and_b64 vcc, exec, s[2:3]
	s_cbranch_vccz .LBB90_33
; %bb.32:
	global_load_dwordx4 v[0:3], v[48:49], off
	global_load_dwordx4 v[5:8], v[48:49], off offset:16
	global_load_dwordx4 v[9:12], v[48:49], off offset:32
	;; [unrolled: 1-line block ×9, first 2 shown]
	v_mov_b32_e32 v4, 0
	ds_read_b128 v[41:44], v4
	ds_read_b128 v[50:53], v4 offset:16
	v_mov_b32_e32 v47, 0x888
	s_movk_i32 s4, 0x800
	s_waitcnt vmcnt(9)
	v_mul_f64 v[0:1], s[0:1], v[0:1]
	s_waitcnt lgkmcnt(1)
	v_mul_f64 v[0:1], v[41:42], v[0:1]
	v_mul_f64 v[45:46], v[0:1], v[43:44]
	s_waitcnt lgkmcnt(0)
	v_mul_f64 v[70:71], v[0:1], v[50:51]
	v_mul_f64 v[72:73], v[0:1], v[52:53]
	ds_read_b128 v[41:44], v4 offset:32
	ds_read_b128 v[50:53], v4 offset:48
	;; [unrolled: 1-line block ×6, first 2 shown]
	s_waitcnt lgkmcnt(5)
	v_mul_f64 v[41:42], v[0:1], v[41:42]
	v_mul_f64 v[43:44], v[0:1], v[43:44]
	s_waitcnt lgkmcnt(4)
	v_mul_f64 v[50:51], v[0:1], v[50:51]
	v_mul_f64 v[52:53], v[0:1], v[52:53]
	v_fma_f64 v[2:3], s[0:1], v[2:3], -v[45:46]
	s_waitcnt vmcnt(8)
	v_fma_f64 v[45:46], s[0:1], v[5:6], -v[70:71]
	v_fma_f64 v[74:75], s[0:1], v[7:8], -v[72:73]
	ds_read_b128 v[5:8], v4 offset:128
	ds_read_b128 v[70:73], v4 offset:144
	s_waitcnt vmcnt(7)
	v_fma_f64 v[41:42], s[0:1], v[9:10], -v[41:42]
	v_fma_f64 v[43:44], s[0:1], v[11:12], -v[43:44]
	s_waitcnt vmcnt(6)
	v_fma_f64 v[50:51], s[0:1], v[13:14], -v[50:51]
	v_fma_f64 v[52:53], s[0:1], v[15:16], -v[52:53]
	ds_read2_b64 v[9:12], v4 offset0:21 offset1:22
	ds_read2_b64 v[13:16], v4 offset0:23 offset1:24
	s_waitcnt lgkmcnt(7)
	v_mul_f64 v[54:55], v[0:1], v[54:55]
	v_mul_f64 v[56:57], v[0:1], v[56:57]
	s_waitcnt lgkmcnt(6)
	v_mul_f64 v[58:59], v[0:1], v[58:59]
	s_waitcnt lgkmcnt(1)
	v_mul_f64 v[2:3], v[9:10], v[2:3]
	v_mul_f64 v[60:61], v[0:1], v[60:61]
	;; [unrolled: 1-line block ×10, first 2 shown]
	v_fma_f64 v[45:46], -v[2:3], v[11:12], v[45:46]
	s_waitcnt vmcnt(5)
	v_fma_f64 v[54:55], s[0:1], v[17:18], -v[54:55]
	v_fma_f64 v[56:57], s[0:1], v[19:20], -v[56:57]
	s_waitcnt vmcnt(4)
	v_fma_f64 v[58:59], s[0:1], v[21:22], -v[58:59]
	v_fma_f64 v[60:61], s[0:1], v[23:24], -v[60:61]
	ds_read2_b64 v[17:20], v4 offset0:25 offset1:26
	ds_read2_b64 v[21:24], v4 offset0:27 offset1:28
	s_waitcnt vmcnt(3)
	v_fma_f64 v[62:63], s[0:1], v[25:26], -v[62:63]
	v_fma_f64 v[64:65], s[0:1], v[27:28], -v[64:65]
	ds_read2_b64 v[5:8], v4 offset0:29 offset1:30
	ds_read2_b64 v[25:28], v4 offset0:31 offset1:32
	s_waitcnt vmcnt(2)
	v_fma_f64 v[66:67], s[0:1], v[29:30], -v[66:67]
	v_fma_f64 v[68:69], s[0:1], v[31:32], -v[68:69]
	s_waitcnt vmcnt(1)
	v_fma_f64 v[76:77], s[0:1], v[33:34], -v[76:77]
	v_fma_f64 v[78:79], s[0:1], v[35:36], -v[78:79]
	ds_read2_b64 v[29:32], v4 offset0:33 offset1:34
	ds_read2_b64 v[33:36], v4 offset0:35 offset1:36
	s_waitcnt vmcnt(0)
	v_fma_f64 v[70:71], s[0:1], v[37:38], -v[70:71]
	v_fma_f64 v[72:73], s[0:1], v[39:40], -v[72:73]
	ds_read_b128 v[9:12], v4 offset:336
	ds_read2_b64 v[37:40], v4 offset0:37 offset1:38
	s_waitcnt lgkmcnt(8)
	v_fma_f64 v[74:75], -v[2:3], v[13:14], v[74:75]
	v_fma_f64 v[41:42], -v[2:3], v[15:16], v[41:42]
	s_waitcnt lgkmcnt(7)
	v_fma_f64 v[43:44], -v[2:3], v[17:18], v[43:44]
	s_waitcnt lgkmcnt(1)
	v_mul_f64 v[9:10], v[9:10], v[45:46]
	v_fma_f64 v[50:51], -v[2:3], v[19:20], v[50:51]
	v_fma_f64 v[52:53], -v[2:3], v[21:22], v[52:53]
	;; [unrolled: 1-line block ×4, first 2 shown]
	ds_read_b128 v[13:16], v4 offset:352
	ds_read_b128 v[17:20], v4 offset:368
	v_fma_f64 v[58:59], -v[2:3], v[7:8], v[58:59]
	ds_read_b128 v[5:8], v4 offset:384
	ds_read_b128 v[21:24], v4 offset:400
	v_fma_f64 v[11:12], -v[9:10], v[11:12], v[74:75]
	v_fma_f64 v[60:61], -v[2:3], v[25:26], v[60:61]
	;; [unrolled: 1-line block ×7, first 2 shown]
	ds_read_b128 v[25:28], v4 offset:416
	ds_read_b128 v[29:32], v4 offset:432
	s_waitcnt lgkmcnt(6)
	v_fma_f64 v[76:77], -v[2:3], v[37:38], v[78:79]
	v_fma_f64 v[70:71], -v[2:3], v[39:40], v[70:71]
	ds_read2_b64 v[33:36], v4 offset0:39 offset1:79
	s_waitcnt lgkmcnt(6)
	v_fma_f64 v[74:75], -v[9:10], v[13:14], v[41:42]
	v_fma_f64 v[78:79], -v[9:10], v[15:16], v[43:44]
	ds_read_b128 v[13:16], v4 offset:448
	ds_read_b128 v[37:40], v4 offset:464
	s_waitcnt lgkmcnt(7)
	v_fma_f64 v[50:51], -v[9:10], v[17:18], v[50:51]
	v_fma_f64 v[52:53], -v[9:10], v[19:20], v[52:53]
	s_waitcnt lgkmcnt(6)
	v_fma_f64 v[54:55], -v[9:10], v[5:6], v[54:55]
	v_fma_f64 v[56:57], -v[9:10], v[7:8], v[56:57]
	ds_read2_b64 v[5:8], v4 offset0:63 offset1:64
	ds_read2_b64 v[17:20], v4 offset0:65 offset1:66
	s_waitcnt lgkmcnt(4)
	v_fma_f64 v[33:34], -v[2:3], v[33:34], v[72:73]
	v_fma_f64 v[58:59], -v[9:10], v[21:22], v[58:59]
	;; [unrolled: 1-line block ×3, first 2 shown]
	s_waitcnt lgkmcnt(1)
	v_mul_f64 v[11:12], v[5:6], v[11:12]
	v_fma_f64 v[62:63], -v[9:10], v[25:26], v[62:63]
	v_fma_f64 v[64:65], -v[9:10], v[27:28], v[64:65]
	ds_read2_b64 v[21:24], v4 offset0:67 offset1:68
	ds_read2_b64 v[25:28], v4 offset0:69 offset1:70
	v_fma_f64 v[66:67], -v[9:10], v[29:30], v[66:67]
	v_fma_f64 v[45:46], -v[9:10], v[31:32], v[45:46]
	ds_read2_b64 v[29:32], v4 offset0:71 offset1:72
	ds_read2_b64 v[41:44], v4 offset0:73 offset1:74
	v_fma_f64 v[68:69], -v[9:10], v[13:14], v[68:69]
	v_fma_f64 v[74:75], -v[11:12], v[7:8], v[74:75]
	;; [unrolled: 1-line block ×5, first 2 shown]
	ds_read2_b64 v[13:16], v4 offset0:75 offset1:76
	ds_read2_b64 v[37:40], v4 offset0:77 offset1:78
	s_waitcnt lgkmcnt(6)
	v_fma_f64 v[76:77], -v[11:12], v[17:18], v[78:79]
	v_fma_f64 v[50:51], -v[11:12], v[19:20], v[50:51]
	ds_read_b128 v[5:8], v4 offset:672
	ds_read_b128 v[17:20], v4 offset:688
	s_waitcnt lgkmcnt(7)
	v_fma_f64 v[78:79], -v[11:12], v[21:22], v[52:53]
	v_fma_f64 v[54:55], -v[11:12], v[23:24], v[54:55]
	s_waitcnt lgkmcnt(6)
	v_fma_f64 v[56:57], -v[11:12], v[25:26], v[56:57]
	s_waitcnt lgkmcnt(1)
	v_mul_f64 v[5:6], v[5:6], v[74:75]
	v_fma_f64 v[58:59], -v[11:12], v[27:28], v[58:59]
	v_fma_f64 v[60:61], -v[11:12], v[29:30], v[60:61]
	;; [unrolled: 1-line block ×3, first 2 shown]
	ds_read_b128 v[21:24], v4 offset:704
	ds_read_b128 v[25:28], v4 offset:720
	v_fma_f64 v[64:65], -v[11:12], v[41:42], v[64:65]
	v_fma_f64 v[66:67], -v[11:12], v[43:44], v[66:67]
	ds_read_b128 v[29:32], v4 offset:736
	ds_read_b128 v[41:44], v4 offset:752
	v_fma_f64 v[7:8], -v[5:6], v[7:8], v[76:77]
	v_fma_f64 v[45:46], -v[11:12], v[13:14], v[45:46]
	;; [unrolled: 1-line block ×3, first 2 shown]
	ds_read2_b64 v[13:16], v4 offset0:105 offset1:106
	v_fma_f64 v[72:73], -v[11:12], v[37:38], v[72:73]
	v_fma_f64 v[70:71], -v[11:12], v[39:40], v[70:71]
	ds_read2_b64 v[37:40], v4 offset0:107 offset1:108
	s_waitcnt lgkmcnt(6)
	v_fma_f64 v[76:77], -v[5:6], v[17:18], v[50:51]
	s_waitcnt lgkmcnt(1)
	v_mul_f64 v[7:8], v[13:14], v[7:8]
	v_fma_f64 v[78:79], -v[5:6], v[19:20], v[78:79]
	v_fma_f64 v[74:75], -v[11:12], v[35:36], v[33:34]
	ds_read_b128 v[33:36], v4 offset:768
	ds_read_b128 v[50:53], v4 offset:784
	v_fma_f64 v[54:55], -v[5:6], v[21:22], v[54:55]
	v_fma_f64 v[56:57], -v[5:6], v[23:24], v[56:57]
	ds_read2_b64 v[17:20], v4 offset0:109 offset1:110
	ds_read2_b64 v[21:24], v4 offset0:111 offset1:112
	v_fma_f64 v[58:59], -v[5:6], v[25:26], v[58:59]
	v_fma_f64 v[76:77], -v[7:8], v[15:16], v[76:77]
	;; [unrolled: 1-line block ×3, first 2 shown]
	ds_read_b128 v[13:16], v4 offset:1008
	ds_read2_b64 v[25:28], v4 offset0:117 offset1:118
	s_waitcnt lgkmcnt(6)
	v_fma_f64 v[37:38], -v[7:8], v[37:38], v[78:79]
	v_fma_f64 v[62:63], -v[5:6], v[29:30], v[62:63]
	v_fma_f64 v[64:65], -v[5:6], v[31:32], v[64:65]
	v_fma_f64 v[66:67], -v[5:6], v[41:42], v[66:67]
	v_fma_f64 v[45:46], -v[5:6], v[43:44], v[45:46]
	s_waitcnt lgkmcnt(1)
	v_mul_f64 v[13:14], v[13:14], v[76:77]
	v_fma_f64 v[76:77], -v[7:8], v[39:40], v[54:55]
	v_fma_f64 v[68:69], -v[5:6], v[33:34], v[68:69]
	;; [unrolled: 1-line block ×3, first 2 shown]
	ds_read2_b64 v[29:32], v4 offset0:113 offset1:114
	ds_read2_b64 v[33:36], v4 offset0:115 offset1:116
	v_fma_f64 v[70:71], -v[5:6], v[50:51], v[70:71]
	v_fma_f64 v[74:75], -v[5:6], v[52:53], v[74:75]
	ds_read_b128 v[41:44], v4 offset:1024
	ds_read_b128 v[50:53], v4 offset:1040
	v_fma_f64 v[15:16], -v[13:14], v[15:16], v[37:38]
	ds_read2_b64 v[37:40], v4 offset0:147 offset1:148
	v_fma_f64 v[78:79], -v[7:8], v[17:18], v[56:57]
	v_fma_f64 v[58:59], -v[7:8], v[19:20], v[58:59]
	ds_read2_b64 v[17:20], v4 offset0:149 offset1:150
	v_fma_f64 v[60:61], -v[7:8], v[21:22], v[60:61]
	v_fma_f64 v[62:63], -v[7:8], v[23:24], v[62:63]
	ds_read_b128 v[21:24], v4 offset:1056
	ds_read_b128 v[54:57], v4 offset:1072
	s_waitcnt lgkmcnt(3)
	v_mul_f64 v[15:16], v[37:38], v[15:16]
	v_fma_f64 v[37:38], -v[13:14], v[41:42], v[76:77]
	v_fma_f64 v[76:77], -v[13:14], v[43:44], v[78:79]
	;; [unrolled: 1-line block ×6, first 2 shown]
	ds_read2_b64 v[29:32], v4 offset0:151 offset1:152
	ds_read2_b64 v[33:36], v4 offset0:153 offset1:154
	v_fma_f64 v[58:59], -v[13:14], v[50:51], v[58:59]
	v_fma_f64 v[78:79], -v[15:16], v[39:40], v[37:38]
	ds_read_b128 v[37:40], v4 offset:1344
	ds_read_b128 v[41:44], v4 offset:1360
	s_waitcnt lgkmcnt(6)
	v_fma_f64 v[76:77], -v[15:16], v[17:18], v[76:77]
	v_fma_f64 v[60:61], -v[13:14], v[52:53], v[60:61]
	;; [unrolled: 1-line block ×4, first 2 shown]
	ds_read2_b64 v[25:28], v4 offset0:119 offset1:159
	v_fma_f64 v[19:20], -v[15:16], v[19:20], v[58:59]
	s_waitcnt lgkmcnt(2)
	v_mul_f64 v[17:18], v[37:38], v[78:79]
	v_fma_f64 v[62:63], -v[13:14], v[21:22], v[62:63]
	v_fma_f64 v[64:65], -v[13:14], v[23:24], v[64:65]
	;; [unrolled: 1-line block ×4, first 2 shown]
	ds_read_b128 v[21:24], v4 offset:1088
	ds_read_b128 v[50:53], v4 offset:1104
	s_waitcnt lgkmcnt(2)
	v_fma_f64 v[25:26], -v[7:8], v[25:26], v[74:75]
	v_fma_f64 v[74:75], -v[15:16], v[29:30], v[60:61]
	;; [unrolled: 1-line block ×3, first 2 shown]
	ds_read2_b64 v[37:40], v4 offset0:189 offset1:190
	ds_read2_b64 v[54:57], v4 offset0:191 offset1:192
	v_fma_f64 v[41:42], -v[17:18], v[41:42], v[19:20]
	s_waitcnt lgkmcnt(3)
	v_fma_f64 v[68:69], -v[13:14], v[21:22], v[68:69]
	v_fma_f64 v[72:73], -v[13:14], v[23:24], v[72:73]
	s_waitcnt lgkmcnt(2)
	v_fma_f64 v[70:71], -v[13:14], v[50:51], v[70:71]
	v_fma_f64 v[76:77], -v[13:14], v[52:53], v[25:26]
	;; [unrolled: 1-line block ×3, first 2 shown]
	s_waitcnt lgkmcnt(1)
	v_mul_f64 v[19:20], v[37:38], v[58:59]
	v_fma_f64 v[62:63], -v[17:18], v[43:44], v[74:75]
	ds_read_b128 v[21:24], v4 offset:1376
	ds_read_b128 v[58:61], v4 offset:1392
	ds_read2_b64 v[29:32], v4 offset0:155 offset1:156
	ds_read2_b64 v[50:53], v4 offset0:157 offset1:158
	v_fma_f64 v[64:65], -v[15:16], v[33:34], v[64:65]
	v_fma_f64 v[66:67], -v[15:16], v[35:36], v[66:67]
	;; [unrolled: 1-line block ×3, first 2 shown]
	s_waitcnt lgkmcnt(3)
	v_fma_f64 v[78:79], -v[17:18], v[21:22], v[25:26]
	v_fma_f64 v[74:75], -v[19:20], v[39:40], v[41:42]
	ds_read_b128 v[37:40], v4 offset:1680
	ds_read2_b64 v[41:44], v4 offset0:197 offset1:198
	v_fma_f64 v[54:55], -v[19:20], v[54:55], v[62:63]
	s_waitcnt lgkmcnt(2)
	v_fma_f64 v[62:63], -v[15:16], v[50:51], v[72:73]
	v_fma_f64 v[64:65], -v[17:18], v[23:24], v[64:65]
	;; [unrolled: 1-line block ×5, first 2 shown]
	s_waitcnt lgkmcnt(1)
	v_mul_f64 v[21:22], v[37:38], v[74:75]
	ds_read2_b64 v[29:32], v4 offset0:193 offset1:194
	ds_read2_b64 v[33:36], v4 offset0:195 offset1:196
	;; [unrolled: 1-line block ×3, first 2 shown]
	v_fma_f64 v[70:71], -v[15:16], v[52:53], v[70:71]
	v_fma_f64 v[58:59], -v[17:18], v[58:59], v[66:67]
	s_waitcnt lgkmcnt(2)
	v_fma_f64 v[64:65], -v[19:20], v[29:30], v[64:65]
	v_fma_f64 v[45:46], -v[17:18], v[60:61], v[45:46]
	;; [unrolled: 1-line block ×3, first 2 shown]
	ds_read_b128 v[37:40], v4 offset:1696
	ds_read_b128 v[50:53], v4 offset:1712
	;; [unrolled: 1-line block ×3, first 2 shown]
	ds_read2_b64 v[54:57], v4 offset0:233 offset1:234
	v_fma_f64 v[31:32], -v[19:20], v[31:32], v[58:59]
	s_waitcnt lgkmcnt(3)
	v_fma_f64 v[37:38], -v[21:22], v[37:38], v[72:73]
	ds_read_b128 v[58:61], v4 offset:1424
	s_waitcnt lgkmcnt(2)
	v_fma_f64 v[66:67], -v[17:18], v[27:28], v[68:69]
	v_mul_f64 v[23:24], v[23:24], v[74:75]
	v_fma_f64 v[64:65], -v[21:22], v[39:40], v[64:65]
	v_fma_f64 v[45:46], -v[19:20], v[33:34], v[45:46]
	;; [unrolled: 1-line block ×4, first 2 shown]
	v_mov_b32_e32 v74, 0x898
	s_waitcnt lgkmcnt(0)
	v_fma_f64 v[70:71], -v[17:18], v[58:59], v[70:71]
	v_fma_f64 v[66:67], -v[19:20], v[35:36], v[66:67]
	v_fma_f64 v[68:69], -v[23:24], v[25:26], v[37:38]
	ds_read_b128 v[25:28], v4 offset:2016
	ds_read_b128 v[37:40], v4 offset:2032
	v_fma_f64 v[64:65], -v[23:24], v[54:55], v[64:65]
	v_fma_f64 v[45:46], -v[21:22], v[52:53], v[45:46]
	ds_read_b128 v[29:32], v4 offset:1728
	ds_read_b128 v[33:36], v4 offset:1744
	v_fma_f64 v[72:73], -v[17:18], v[60:61], v[76:77]
	v_fma_f64 v[41:42], -v[19:20], v[41:42], v[62:63]
	s_waitcnt lgkmcnt(3)
	v_mul_f64 v[25:26], v[25:26], v[68:69]
	v_fma_f64 v[68:69], -v[23:24], v[56:57], v[50:51]
	ds_read2_b64 v[50:53], v4 offset0:235 offset1:236
	ds_read2_b64 v[54:57], v4 offset0:237 offset1:238
	s_waitcnt lgkmcnt(1)
	v_fma_f64 v[45:46], -v[23:24], v[50:51], v[45:46]
	v_fma_f64 v[27:28], -v[25:26], v[27:28], v[64:65]
	ds_read2_b64 v[58:61], v47 offset1:1
	ds_read2_b64 v[62:65], v74 offset1:1
	v_fma_f64 v[74:75], -v[21:22], v[29:30], v[66:67]
	v_fma_f64 v[37:38], -v[25:26], v[37:38], v[68:69]
	ds_read2_b64 v[66:69], v4 offset0:199 offset1:239
	v_mov_b32_e32 v47, 0x9e8
	v_fma_f64 v[45:46], -v[25:26], v[39:40], v[45:46]
	s_waitcnt lgkmcnt(2)
	v_mul_f64 v[27:28], v[58:59], v[27:28]
	v_fma_f64 v[58:59], -v[19:20], v[43:44], v[70:71]
	v_fma_f64 v[70:71], -v[21:22], v[31:32], v[41:42]
	;; [unrolled: 1-line block ×3, first 2 shown]
	ds_read_b128 v[29:32], v4 offset:2048
	ds_read_b128 v[41:44], v4 offset:2064
	s_waitcnt lgkmcnt(2)
	v_fma_f64 v[66:67], -v[19:20], v[66:67], v[72:73]
	v_fma_f64 v[60:61], -v[27:28], v[60:61], v[37:38]
	ds_read_b128 v[37:40], v4 offset:2352
	ds_read_b128 v[50:53], v4 offset:2368
	v_fma_f64 v[33:34], -v[21:22], v[33:34], v[58:59]
	v_fma_f64 v[54:55], -v[23:24], v[54:55], v[70:71]
	s_waitcnt lgkmcnt(3)
	v_fma_f64 v[58:59], -v[25:26], v[29:30], v[74:75]
	v_fma_f64 v[45:46], -v[27:28], v[62:63], v[45:46]
	s_waitcnt lgkmcnt(1)
	v_mul_f64 v[29:30], v[37:38], v[60:61]
	v_fma_f64 v[60:61], -v[21:22], v[35:36], v[66:67]
	v_fma_f64 v[56:57], -v[23:24], v[56:57], v[33:34]
	;; [unrolled: 1-line block ×4, first 2 shown]
	v_mov_b32_e32 v37, 0x8a8
	v_mov_b32_e32 v35, 0x9d8
	ds_read2_b64 v[31:34], v37 offset1:1
	v_fma_f64 v[39:40], -v[29:30], v[39:40], v[45:46]
	ds_read2_b64 v[35:38], v35 offset1:1
	v_fma_f64 v[45:46], -v[23:24], v[68:69], v[60:61]
	v_fma_f64 v[56:57], -v[25:26], v[41:42], v[56:57]
	s_waitcnt lgkmcnt(1)
	v_fma_f64 v[54:55], -v[27:28], v[31:32], v[54:55]
	v_fma_f64 v[50:51], -v[29:30], v[50:51], v[58:59]
	v_add_u32_e64 v65, s4, 0
	v_mov_b32_e32 v64, 0xb28
	s_waitcnt lgkmcnt(0)
	v_mul_f64 v[31:32], v[35:36], v[39:40]
	ds_read2_b64 v[39:42], v65 offset0:23 offset1:63
	v_fma_f64 v[58:59], -v[25:26], v[43:44], v[45:46]
	v_fma_f64 v[60:61], -v[27:28], v[33:34], v[56:57]
	;; [unrolled: 1-line block ×3, first 2 shown]
	s_mov_b32 s4, 20
	v_fma_f64 v[37:38], -v[31:32], v[37:38], v[50:51]
	ds_read_b128 v[33:36], v4 offset:2384
	ds_read2_b64 v[43:46], v47 offset1:1
	ds_read_b128 v[50:53], v4 offset:2688
	ds_read2_b64 v[54:57], v64 offset1:1
	s_waitcnt lgkmcnt(4)
	v_fma_f64 v[39:40], -v[27:28], v[39:40], v[58:59]
	s_waitcnt lgkmcnt(3)
	v_fma_f64 v[58:59], -v[29:30], v[33:34], v[60:61]
	;; [unrolled: 2-line block ×3, first 2 shown]
	s_waitcnt lgkmcnt(1)
	v_mul_f64 v[33:34], v[50:51], v[37:38]
	v_fma_f64 v[39:40], -v[29:30], v[35:36], v[39:40]
	v_fma_f64 v[50:51], -v[31:32], v[45:46], v[58:59]
	;; [unrolled: 1-line block ×3, first 2 shown]
	ds_read_b128 v[35:38], v4 offset:2704
	ds_read_b128 v[43:46], v4 offset:3024
	v_fma_f64 v[39:40], -v[31:32], v[41:42], v[39:40]
	s_waitcnt lgkmcnt(1)
	v_fma_f64 v[41:42], -v[33:34], v[35:36], v[50:51]
	v_mul_f64 v[35:36], v[54:55], v[52:53]
	v_fma_f64 v[50:51], -v[33:34], v[37:38], v[39:40]
	ds_read2_b64 v[37:40], v65 offset0:103 offset1:143
	global_store_dwordx4 v[48:49], v[0:3], off
	global_store_dwordx4 v[48:49], v[9:12], off offset:16
	v_fma_f64 v[41:42], -v[35:36], v[56:57], v[41:42]
	s_waitcnt lgkmcnt(0)
	v_fma_f64 v[50:51], -v[35:36], v[37:38], v[50:51]
	v_mul_f64 v[37:38], v[43:44], v[41:42]
	v_fma_f64 v[41:42], -v[37:38], v[45:46], v[50:51]
	v_mul_f64 v[39:40], v[39:40], v[41:42]
	global_store_dwordx4 v[48:49], v[5:8], off offset:32
	global_store_dwordx4 v[48:49], v[13:16], off offset:48
	;; [unrolled: 1-line block ×8, first 2 shown]
.LBB90_33:
	s_cmp_lt_i32 s4, s22
	s_cbranch_scc0 .LBB90_44
; %bb.34:
	s_add_i32 s5, s4, 15
	s_cmp_ge_u32 s5, s22
	s_cbranch_scc1 .LBB90_39
; %bb.35:
	s_lshl_b32 s6, s4, 3
	v_add_co_u32_e32 v12, vcc, s6, v48
	v_addc_co_u32_e32 v13, vcc, 0, v49, vcc
	global_load_dwordx4 v[0:3], v[12:13], off
	global_load_dwordx4 v[6:9], v[12:13], off offset:16
	global_load_dwordx4 v[14:17], v[12:13], off offset:32
	global_load_dwordx4 v[18:21], v[12:13], off offset:48
	global_load_dwordx4 v[22:25], v[12:13], off offset:64
	global_load_dwordx4 v[36:39], v[12:13], off offset:80
	global_load_dwordx4 v[40:43], v[12:13], off offset:96
	global_load_dwordx4 v[44:47], v[12:13], off offset:112
	s_andn2_b64 vcc, exec, s[2:3]
	s_waitcnt vmcnt(7)
	v_mul_f64 v[0:1], s[0:1], v[0:1]
	v_mul_f64 v[4:5], s[0:1], v[2:3]
	s_waitcnt vmcnt(6)
	v_mul_f64 v[2:3], s[0:1], v[6:7]
	v_mul_f64 v[34:35], s[0:1], v[8:9]
	;; [unrolled: 3-line block ×8, first 2 shown]
	s_cbranch_vccnz .LBB90_38
; %bb.36:
	v_mov_b32_e32 v6, v48
	v_mov_b32_e32 v7, v49
	s_mov_b32 s2, s4
.LBB90_37:                              ; =>This Inner Loop Header: Depth=1
	global_load_dwordx2 v[70:71], v[6:7], off
	v_mov_b32_e32 v66, s6
	ds_read_b128 v[36:39], v66
	ds_read_b128 v[40:43], v66 offset:16
	ds_read_b128 v[44:47], v66 offset:32
	ds_read_b128 v[50:53], v66 offset:48
	ds_read_b128 v[54:57], v66 offset:64
	ds_read_b128 v[58:61], v66 offset:80
	ds_read_b128 v[62:65], v66 offset:96
	ds_read_b128 v[66:69], v66 offset:112
	s_add_i32 s2, s2, -1
	s_addk_i32 s6, 0xa0
	v_add_co_u32_e32 v6, vcc, 8, v6
	s_cmp_lg_u32 s2, 0
	v_addc_co_u32_e32 v7, vcc, 0, v7, vcc
	s_waitcnt vmcnt(0) lgkmcnt(7)
	v_fma_f64 v[0:1], -v[70:71], v[36:37], v[0:1]
	v_fma_f64 v[4:5], -v[70:71], v[38:39], v[4:5]
	s_waitcnt lgkmcnt(6)
	v_fma_f64 v[2:3], -v[70:71], v[40:41], v[2:3]
	v_fma_f64 v[34:35], -v[70:71], v[42:43], v[34:35]
	s_waitcnt lgkmcnt(5)
	v_fma_f64 v[32:33], -v[70:71], v[44:45], v[32:33]
	v_fma_f64 v[26:27], -v[70:71], v[46:47], v[26:27]
	s_waitcnt lgkmcnt(4)
	v_fma_f64 v[8:9], -v[70:71], v[50:51], v[8:9]
	v_fma_f64 v[16:17], -v[70:71], v[52:53], v[16:17]
	s_waitcnt lgkmcnt(3)
	v_fma_f64 v[28:29], -v[70:71], v[54:55], v[28:29]
	v_fma_f64 v[30:31], -v[70:71], v[56:57], v[30:31]
	s_waitcnt lgkmcnt(2)
	v_fma_f64 v[22:23], -v[70:71], v[58:59], v[22:23]
	v_fma_f64 v[24:25], -v[70:71], v[60:61], v[24:25]
	s_waitcnt lgkmcnt(1)
	v_fma_f64 v[20:21], -v[70:71], v[62:63], v[20:21]
	v_fma_f64 v[18:19], -v[70:71], v[64:65], v[18:19]
	s_waitcnt lgkmcnt(0)
	v_fma_f64 v[14:15], -v[70:71], v[66:67], v[14:15]
	v_fma_f64 v[10:11], -v[70:71], v[68:69], v[10:11]
	s_cbranch_scc1 .LBB90_37
.LBB90_38:
	s_lshl_b32 s2, s4, 3
	s_mul_i32 s3, s4, 0xa0
	s_add_i32 s2, s2, s3
	v_mov_b32_e32 v36, s2
	ds_read_b128 v[37:40], v36
	ds_read_b128 v[41:44], v36 offset:16
	s_or_b32 s2, s4, 9
	s_mul_i32 s7, s2, 0xa8
	v_mov_b32_e32 v47, s7
	s_waitcnt lgkmcnt(1)
	v_mul_f64 v[0:1], v[37:38], v[0:1]
	s_or_b32 s3, s4, 10
	s_or_b32 s6, s4, 11
	s_mulk_i32 s3, 0xa8
	s_mul_i32 s2, s6, 0xa8
	v_fma_f64 v[45:46], -v[0:1], v[39:40], v[4:5]
	ds_read2_b64 v[37:40], v36 offset0:21 offset1:22
	ds_read2_b64 v[4:7], v36 offset0:23 offset1:24
	s_waitcnt lgkmcnt(2)
	v_fma_f64 v[41:42], -v[0:1], v[41:42], v[2:3]
	v_fma_f64 v[34:35], -v[0:1], v[43:44], v[34:35]
	s_waitcnt lgkmcnt(1)
	v_mul_f64 v[2:3], v[37:38], v[45:46]
	v_fma_f64 v[45:46], -v[2:3], v[39:40], v[41:42]
	ds_read_b128 v[37:40], v36 offset:32
	ds_read_b128 v[41:44], v36 offset:336
	;; [unrolled: 1-line block ×3, first 2 shown]
	ds_read2_b64 v[54:57], v36 offset0:33 offset1:34
	s_waitcnt lgkmcnt(4)
	v_fma_f64 v[76:77], -v[2:3], v[4:5], v[34:35]
	s_waitcnt lgkmcnt(3)
	v_fma_f64 v[74:75], -v[0:1], v[37:38], v[32:33]
	v_fma_f64 v[26:27], -v[0:1], v[39:40], v[26:27]
	s_waitcnt lgkmcnt(2)
	v_mul_f64 v[4:5], v[41:42], v[45:46]
	ds_read2_b64 v[32:35], v36 offset0:63 offset1:64
	ds_read2_b64 v[58:61], v36 offset0:65 offset1:66
	ds_read_b128 v[62:65], v36 offset:352
	ds_read_b128 v[66:69], v36 offset:368
	;; [unrolled: 1-line block ×4, first 2 shown]
	s_waitcnt lgkmcnt(7)
	v_fma_f64 v[8:9], -v[0:1], v[50:51], v[8:9]
	v_fma_f64 v[16:17], -v[0:1], v[52:53], v[16:17]
	v_fma_f64 v[6:7], -v[2:3], v[6:7], v[74:75]
	v_fma_f64 v[45:46], -v[4:5], v[43:44], v[76:77]
	ds_read2_b64 v[41:44], v36 offset0:25 offset1:26
	ds_read2_b64 v[74:77], v36 offset0:27 offset1:28
	ds_read_b128 v[50:53], v36 offset:64
	ds_read_b128 v[78:81], v36 offset:80
	s_waitcnt lgkmcnt(3)
	v_fma_f64 v[41:42], -v[2:3], v[41:42], v[26:27]
	v_fma_f64 v[62:63], -v[4:5], v[62:63], v[6:7]
	;; [unrolled: 1-line block ×3, first 2 shown]
	v_mul_f64 v[6:7], v[32:33], v[45:46]
	s_waitcnt lgkmcnt(1)
	v_fma_f64 v[45:46], -v[0:1], v[50:51], v[28:29]
	v_fma_f64 v[82:83], -v[0:1], v[52:53], v[30:31]
	ds_read2_b64 v[26:29], v36 offset0:105 offset1:106
	ds_read2_b64 v[30:33], v36 offset0:107 offset1:108
	v_fma_f64 v[64:65], -v[4:5], v[64:65], v[41:42]
	ds_read_b128 v[41:44], v36 offset:96
	ds_read_b128 v[50:53], v36 offset:112
	v_fma_f64 v[34:35], -v[6:7], v[34:35], v[62:63]
	s_waitcnt lgkmcnt(4)
	v_fma_f64 v[62:63], -v[0:1], v[78:79], v[22:23]
	v_fma_f64 v[78:79], -v[0:1], v[80:81], v[24:25]
	;; [unrolled: 1-line block ×6, first 2 shown]
	s_waitcnt lgkmcnt(1)
	v_fma_f64 v[74:75], -v[0:1], v[41:42], v[20:21]
	v_mul_f64 v[8:9], v[37:38], v[34:35]
	v_fma_f64 v[34:35], -v[0:1], v[43:44], v[18:19]
	ds_read2_b64 v[16:19], v36 offset0:29 offset1:30
	v_fma_f64 v[24:25], -v[6:7], v[60:61], v[24:25]
	v_fma_f64 v[64:65], -v[4:5], v[68:69], v[22:23]
	ds_read2_b64 v[20:23], v36 offset0:67 offset1:68
	ds_read2_b64 v[41:44], v36 offset0:69 offset1:70
	s_waitcnt lgkmcnt(3)
	v_fma_f64 v[80:81], -v[0:1], v[52:53], v[10:11]
	s_waitcnt lgkmcnt(2)
	v_fma_f64 v[68:69], -v[2:3], v[16:17], v[82:83]
	v_fma_f64 v[66:67], -v[8:9], v[39:40], v[58:59]
	ds_read_b128 v[37:40], v36 offset:384
	ds_read_b128 v[58:61], v36 offset:400
	v_fma_f64 v[82:83], -v[2:3], v[18:19], v[62:63]
	v_fma_f64 v[62:63], -v[8:9], v[70:71], v[24:25]
	s_waitcnt lgkmcnt(3)
	v_fma_f64 v[64:65], -v[6:7], v[20:21], v[64:65]
	s_waitcnt lgkmcnt(1)
	v_fma_f64 v[45:46], -v[4:5], v[37:38], v[45:46]
	v_fma_f64 v[76:77], -v[0:1], v[50:51], v[14:15]
	ds_read2_b64 v[50:53], v36 offset0:31 offset1:32
	v_mul_f64 v[10:11], v[26:27], v[66:67]
	v_fma_f64 v[70:71], -v[4:5], v[39:40], v[68:69]
	s_waitcnt lgkmcnt(1)
	v_fma_f64 v[58:59], -v[4:5], v[58:59], v[82:83]
	ds_read2_b64 v[14:17], v36 offset0:147 offset1:148
	ds_read2_b64 v[18:21], v36 offset0:149 offset1:150
	v_fma_f64 v[72:73], -v[8:9], v[72:73], v[64:65]
	v_fma_f64 v[45:46], -v[6:7], v[22:23], v[45:46]
	ds_read_b128 v[24:27], v36 offset:704
	ds_read_b128 v[37:40], v36 offset:720
	s_waitcnt lgkmcnt(4)
	v_fma_f64 v[78:79], -v[2:3], v[50:51], v[78:79]
	v_fma_f64 v[28:29], -v[10:11], v[28:29], v[62:63]
	ds_read_b128 v[62:65], v36 offset:1008
	ds_read2_b64 v[66:69], v36 offset0:113 offset1:114
	v_fma_f64 v[74:75], -v[2:3], v[52:53], v[74:75]
	v_fma_f64 v[76:77], -v[2:3], v[56:57], v[76:77]
	;; [unrolled: 1-line block ×5, first 2 shown]
	s_waitcnt lgkmcnt(3)
	v_fma_f64 v[24:25], -v[8:9], v[24:25], v[45:46]
	s_waitcnt lgkmcnt(1)
	v_mul_f64 v[22:23], v[62:63], v[28:29]
	v_fma_f64 v[62:63], -v[6:7], v[43:44], v[58:59]
	v_fma_f64 v[70:71], -v[4:5], v[60:61], v[78:79]
	ds_read_b128 v[28:31], v36 offset:1024
	ds_read_b128 v[41:44], v36 offset:1040
	;; [unrolled: 1-line block ×3, first 2 shown]
	v_fma_f64 v[26:27], -v[8:9], v[26:27], v[34:35]
	v_fma_f64 v[78:79], -v[10:11], v[32:33], v[24:25]
	;; [unrolled: 1-line block ×4, first 2 shown]
	ds_read2_b64 v[50:53], v36 offset0:71 offset1:72
	ds_read2_b64 v[32:35], v36 offset0:109 offset1:110
	;; [unrolled: 1-line block ×3, first 2 shown]
	ds_read_b128 v[62:65], v36 offset:432
	v_mul_f64 v[24:25], v[14:15], v[45:46]
	s_waitcnt lgkmcnt(2)
	v_fma_f64 v[34:35], -v[10:11], v[34:35], v[37:38]
	v_fma_f64 v[37:38], -v[6:7], v[50:51], v[70:71]
	;; [unrolled: 1-line block ×6, first 2 shown]
	ds_read2_b64 v[26:29], v36 offset0:73 offset1:74
	s_waitcnt lgkmcnt(1)
	v_fma_f64 v[62:63], -v[4:5], v[62:63], v[76:77]
	v_fma_f64 v[34:35], -v[22:23], v[41:42], v[34:35]
	;; [unrolled: 1-line block ×5, first 2 shown]
	ds_read_b128 v[14:17], v36 offset:1344
	ds_read_b128 v[30:33], v36 offset:1360
	v_fma_f64 v[45:46], -v[6:7], v[52:53], v[45:46]
	ds_read_b128 v[37:40], v36 offset:736
	ds_read_b128 v[50:53], v36 offset:752
	s_waitcnt lgkmcnt(4)
	v_fma_f64 v[74:75], -v[6:7], v[28:29], v[62:63]
	v_fma_f64 v[34:35], -v[24:25], v[20:21], v[34:35]
	v_fma_f64 v[58:59], -v[10:11], v[58:59], v[72:73]
	v_fma_f64 v[41:42], -v[24:25], v[18:19], v[56:57]
	s_waitcnt lgkmcnt(3)
	v_mul_f64 v[14:15], v[14:15], v[70:71]
	v_fma_f64 v[70:71], -v[6:7], v[26:27], v[54:55]
	ds_read2_b64 v[26:29], v36 offset0:35 offset1:75
	s_waitcnt lgkmcnt(2)
	v_fma_f64 v[37:38], -v[8:9], v[37:38], v[45:46]
	ds_read2_b64 v[54:57], v36 offset0:151 offset1:152
	ds_read2_b64 v[18:21], v47 offset1:1
	ds_read_b64 v[72:73], v36 offset:2200
	s_waitcnt lgkmcnt(3)
	v_fma_f64 v[26:27], -v[2:3], v[26:27], v[80:81]
	v_fma_f64 v[45:46], -v[22:23], v[43:44], v[58:59]
	;; [unrolled: 1-line block ×5, first 2 shown]
	ds_read2_b64 v[58:61], v36 offset0:153 offset1:154
	ds_read_b128 v[41:44], v36 offset:1056
	v_fma_f64 v[50:51], -v[8:9], v[50:51], v[74:75]
	v_fma_f64 v[26:27], -v[4:5], v[64:65], v[26:27]
	s_waitcnt lgkmcnt(4)
	v_fma_f64 v[34:35], -v[24:25], v[54:55], v[45:46]
	v_fma_f64 v[45:46], -v[8:9], v[39:40], v[70:71]
	s_waitcnt lgkmcnt(3)
	v_mul_f64 v[16:17], v[18:19], v[16:17]
	ds_read_b128 v[62:65], v36 offset:1072
	s_waitcnt lgkmcnt(1)
	v_fma_f64 v[41:42], -v[22:23], v[41:42], v[37:38]
	v_mov_b32_e32 v78, s3
	v_mov_b32_e32 v79, s2
	v_fma_f64 v[70:71], -v[6:7], v[28:29], v[26:27]
	v_fma_f64 v[34:35], -v[14:15], v[32:33], v[34:35]
	;; [unrolled: 1-line block ×4, first 2 shown]
	ds_read_b128 v[18:21], v78
	ds_read2_b64 v[37:40], v79 offset1:1
	ds_read2_b64 v[26:29], v36 offset0:191 offset1:192
	ds_read2_b64 v[30:33], v36 offset0:193 offset1:194
	v_fma_f64 v[66:67], -v[10:11], v[68:69], v[50:51]
	v_fma_f64 v[68:69], -v[24:25], v[56:57], v[41:42]
	s_mul_i32 s2, s4, 0xa8
	s_waitcnt lgkmcnt(1)
	v_fma_f64 v[26:27], -v[16:17], v[26:27], v[34:35]
	v_fma_f64 v[34:35], -v[8:9], v[52:53], v[70:71]
	;; [unrolled: 1-line block ×3, first 2 shown]
	ds_read2_b64 v[41:44], v36 offset0:115 offset1:155
	ds_read_b128 v[50:53], v36 offset:1376
	v_mul_f64 v[18:19], v[18:19], v[54:55]
	v_fma_f64 v[62:63], -v[22:23], v[62:63], v[66:67]
	ds_read_b128 v[54:57], v36 offset:1392
	s_add_i32 s4, s4, 16
	s_waitcnt lgkmcnt(2)
	v_fma_f64 v[34:35], -v[10:11], v[41:42], v[34:35]
	s_waitcnt lgkmcnt(1)
	v_fma_f64 v[50:51], -v[14:15], v[50:51], v[68:69]
	v_fma_f64 v[41:42], -v[24:25], v[58:59], v[45:46]
	;; [unrolled: 1-line block ×7, first 2 shown]
	ds_read_b128 v[26:29], v36 offset:1696
	ds_read_b128 v[50:53], v36 offset:1712
	v_mul_f64 v[20:21], v[37:38], v[20:21]
	s_waitcnt lgkmcnt(2)
	v_fma_f64 v[37:38], -v[14:15], v[54:55], v[45:46]
	v_fma_f64 v[34:35], -v[24:25], v[43:44], v[34:35]
	s_waitcnt lgkmcnt(1)
	v_fma_f64 v[26:27], -v[18:19], v[26:27], v[58:59]
	v_fma_f64 v[30:31], -v[16:17], v[30:31], v[41:42]
	v_mov_b32_e32 v43, s2
	s_addk_i32 s2, 0x888
	v_fma_f64 v[41:42], -v[16:17], v[32:33], v[37:38]
	v_fma_f64 v[34:35], -v[14:15], v[56:57], v[34:35]
	;; [unrolled: 1-line block ×4, first 2 shown]
	ds_read2_b64 v[26:29], v36 offset0:195 offset1:235
	ds_read_b128 v[30:33], v43 offset:2016
	ds_read2_b64 v[37:40], v36 offset0:233 offset1:234
	ds_read_b128 v[54:57], v36 offset:2032
	s_waitcnt lgkmcnt(4)
	v_fma_f64 v[50:51], -v[18:19], v[50:51], v[41:42]
	ds_read_b128 v[41:44], v43 offset:2352
	s_waitcnt lgkmcnt(4)
	v_fma_f64 v[34:35], -v[16:17], v[26:27], v[34:35]
	s_waitcnt lgkmcnt(3)
	v_mul_f64 v[26:27], v[30:31], v[45:46]
	s_waitcnt lgkmcnt(2)
	v_fma_f64 v[30:31], -v[20:21], v[37:38], v[58:59]
	v_fma_f64 v[36:37], -v[20:21], v[39:40], v[50:51]
	;; [unrolled: 1-line block ×4, first 2 shown]
	v_mov_b32_e32 v30, s2
	ds_read2_b64 v[30:33], v30 offset1:1
	s_mul_i32 s2, s5, 0xa8
	s_waitcnt lgkmcnt(2)
	v_fma_f64 v[36:37], -v[26:27], v[54:55], v[36:37]
	v_fma_f64 v[34:35], -v[20:21], v[28:29], v[34:35]
	v_mov_b32_e32 v28, s2
	ds_read_b64 v[45:46], v28
	s_waitcnt lgkmcnt(1)
	v_mul_f64 v[28:29], v[30:31], v[38:39]
	v_fma_f64 v[30:31], -v[26:27], v[56:57], v[34:35]
	v_fma_f64 v[32:33], -v[28:29], v[32:33], v[36:37]
	;; [unrolled: 1-line block ×3, first 2 shown]
	v_mul_f64 v[30:31], v[41:42], v[32:33]
	v_fma_f64 v[32:33], -v[30:31], v[43:44], v[34:35]
	s_waitcnt lgkmcnt(0)
	v_mul_f64 v[32:33], v[45:46], v[32:33]
	global_store_dwordx4 v[12:13], v[0:3], off
	global_store_dwordx4 v[12:13], v[4:7], off offset:16
	global_store_dwordx4 v[12:13], v[8:11], off offset:32
	;; [unrolled: 1-line block ×7, first 2 shown]
.LBB90_39:
	s_cmp_ge_i32 s4, s22
	s_cbranch_scc1 .LBB90_44
; %bb.40:
	s_lshl_b32 s2, s4, 3
	s_mov_b32 s5, 0
	s_branch .LBB90_42
.LBB90_41:                              ;   in Loop: Header=BB90_42 Depth=1
	s_mul_i32 s3, s4, 0xa8
	v_mov_b32_e32 v4, s3
	ds_read_b64 v[4:5], v4
	s_add_i32 s4, s4, 1
	s_add_i32 s2, s2, 8
	s_cmp_ge_i32 s4, s22
	s_waitcnt lgkmcnt(0)
	v_mul_f64 v[2:3], v[4:5], v[2:3]
	global_store_dwordx2 v[0:1], v[2:3], off
	s_cbranch_scc1 .LBB90_44
.LBB90_42:                              ; =>This Loop Header: Depth=1
                                        ;     Child Loop BB90_43 Depth 2
	s_lshl_b64 s[6:7], s[4:5], 3
	v_mov_b32_e32 v1, s7
	v_add_co_u32_e32 v0, vcc, s6, v48
	v_addc_co_u32_e32 v1, vcc, v49, v1, vcc
	global_load_dwordx2 v[2:3], v[0:1], off
	v_mov_b32_e32 v4, v48
	s_cmp_eq_u32 s4, 0
	v_mov_b32_e32 v5, v49
	s_mov_b32 s3, s2
	s_mov_b32 s6, s4
	s_waitcnt vmcnt(0)
	v_mul_f64 v[2:3], s[0:1], v[2:3]
	s_cbranch_scc1 .LBB90_41
.LBB90_43:                              ;   Parent Loop BB90_42 Depth=1
                                        ; =>  This Inner Loop Header: Depth=2
	global_load_dwordx2 v[6:7], v[4:5], off
	v_mov_b32_e32 v8, s3
	ds_read_b64 v[8:9], v8
	s_add_i32 s6, s6, -1
	s_addk_i32 s3, 0xa0
	v_add_co_u32_e32 v4, vcc, 8, v4
	s_cmp_lg_u32 s6, 0
	v_addc_co_u32_e32 v5, vcc, 0, v5, vcc
	s_waitcnt vmcnt(0) lgkmcnt(0)
	v_fma_f64 v[2:3], -v[6:7], v[8:9], v[2:3]
	s_cbranch_scc1 .LBB90_43
	s_branch .LBB90_41
.LBB90_44:
	s_endpgm
	.section	.rodata,"a",@progbits
	.p2align	6, 0x0
	.amdhsa_kernel _ZL30rocblas_trsm_small_left_deviceILi20ELi20ELb1EddPKdPdEv13rocblas_fill_18rocblas_operation_17rocblas_diagonal_iiT3_T4_lilT5_lili
		.amdhsa_group_segment_fixed_size 3200
		.amdhsa_private_segment_fixed_size 0
		.amdhsa_kernarg_size 360
		.amdhsa_user_sgpr_count 6
		.amdhsa_user_sgpr_private_segment_buffer 1
		.amdhsa_user_sgpr_dispatch_ptr 0
		.amdhsa_user_sgpr_queue_ptr 0
		.amdhsa_user_sgpr_kernarg_segment_ptr 1
		.amdhsa_user_sgpr_dispatch_id 0
		.amdhsa_user_sgpr_flat_scratch_init 0
		.amdhsa_user_sgpr_private_segment_size 0
		.amdhsa_uses_dynamic_stack 0
		.amdhsa_system_sgpr_private_segment_wavefront_offset 0
		.amdhsa_system_sgpr_workgroup_id_x 1
		.amdhsa_system_sgpr_workgroup_id_y 0
		.amdhsa_system_sgpr_workgroup_id_z 1
		.amdhsa_system_sgpr_workgroup_info 0
		.amdhsa_system_vgpr_workitem_id 0
		.amdhsa_next_free_vgpr 85
		.amdhsa_next_free_sgpr 98
		.amdhsa_reserve_vcc 1
		.amdhsa_reserve_flat_scratch 0
		.amdhsa_float_round_mode_32 0
		.amdhsa_float_round_mode_16_64 0
		.amdhsa_float_denorm_mode_32 3
		.amdhsa_float_denorm_mode_16_64 3
		.amdhsa_dx10_clamp 1
		.amdhsa_ieee_mode 1
		.amdhsa_fp16_overflow 0
		.amdhsa_exception_fp_ieee_invalid_op 0
		.amdhsa_exception_fp_denorm_src 0
		.amdhsa_exception_fp_ieee_div_zero 0
		.amdhsa_exception_fp_ieee_overflow 0
		.amdhsa_exception_fp_ieee_underflow 0
		.amdhsa_exception_fp_ieee_inexact 0
		.amdhsa_exception_int_div_zero 0
	.end_amdhsa_kernel
	.section	.text._ZL30rocblas_trsm_small_left_deviceILi20ELi20ELb1EddPKdPdEv13rocblas_fill_18rocblas_operation_17rocblas_diagonal_iiT3_T4_lilT5_lili,"axG",@progbits,_ZL30rocblas_trsm_small_left_deviceILi20ELi20ELb1EddPKdPdEv13rocblas_fill_18rocblas_operation_17rocblas_diagonal_iiT3_T4_lilT5_lili,comdat
.Lfunc_end90:
	.size	_ZL30rocblas_trsm_small_left_deviceILi20ELi20ELb1EddPKdPdEv13rocblas_fill_18rocblas_operation_17rocblas_diagonal_iiT3_T4_lilT5_lili, .Lfunc_end90-_ZL30rocblas_trsm_small_left_deviceILi20ELi20ELb1EddPKdPdEv13rocblas_fill_18rocblas_operation_17rocblas_diagonal_iiT3_T4_lilT5_lili
                                        ; -- End function
	.set _ZL30rocblas_trsm_small_left_deviceILi20ELi20ELb1EddPKdPdEv13rocblas_fill_18rocblas_operation_17rocblas_diagonal_iiT3_T4_lilT5_lili.num_vgpr, 85
	.set _ZL30rocblas_trsm_small_left_deviceILi20ELi20ELb1EddPKdPdEv13rocblas_fill_18rocblas_operation_17rocblas_diagonal_iiT3_T4_lilT5_lili.num_agpr, 0
	.set _ZL30rocblas_trsm_small_left_deviceILi20ELi20ELb1EddPKdPdEv13rocblas_fill_18rocblas_operation_17rocblas_diagonal_iiT3_T4_lilT5_lili.numbered_sgpr, 29
	.set _ZL30rocblas_trsm_small_left_deviceILi20ELi20ELb1EddPKdPdEv13rocblas_fill_18rocblas_operation_17rocblas_diagonal_iiT3_T4_lilT5_lili.num_named_barrier, 0
	.set _ZL30rocblas_trsm_small_left_deviceILi20ELi20ELb1EddPKdPdEv13rocblas_fill_18rocblas_operation_17rocblas_diagonal_iiT3_T4_lilT5_lili.private_seg_size, 0
	.set _ZL30rocblas_trsm_small_left_deviceILi20ELi20ELb1EddPKdPdEv13rocblas_fill_18rocblas_operation_17rocblas_diagonal_iiT3_T4_lilT5_lili.uses_vcc, 1
	.set _ZL30rocblas_trsm_small_left_deviceILi20ELi20ELb1EddPKdPdEv13rocblas_fill_18rocblas_operation_17rocblas_diagonal_iiT3_T4_lilT5_lili.uses_flat_scratch, 0
	.set _ZL30rocblas_trsm_small_left_deviceILi20ELi20ELb1EddPKdPdEv13rocblas_fill_18rocblas_operation_17rocblas_diagonal_iiT3_T4_lilT5_lili.has_dyn_sized_stack, 0
	.set _ZL30rocblas_trsm_small_left_deviceILi20ELi20ELb1EddPKdPdEv13rocblas_fill_18rocblas_operation_17rocblas_diagonal_iiT3_T4_lilT5_lili.has_recursion, 0
	.set _ZL30rocblas_trsm_small_left_deviceILi20ELi20ELb1EddPKdPdEv13rocblas_fill_18rocblas_operation_17rocblas_diagonal_iiT3_T4_lilT5_lili.has_indirect_call, 0
	.section	.AMDGPU.csdata,"",@progbits
; Kernel info:
; codeLenInByte = 13896
; TotalNumSgprs: 33
; NumVgprs: 85
; ScratchSize: 0
; MemoryBound: 1
; FloatMode: 240
; IeeeMode: 1
; LDSByteSize: 3200 bytes/workgroup (compile time only)
; SGPRBlocks: 12
; VGPRBlocks: 21
; NumSGPRsForWavesPerEU: 102
; NumVGPRsForWavesPerEU: 85
; Occupancy: 2
; WaveLimiterHint : 1
; COMPUTE_PGM_RSRC2:SCRATCH_EN: 0
; COMPUTE_PGM_RSRC2:USER_SGPR: 6
; COMPUTE_PGM_RSRC2:TRAP_HANDLER: 0
; COMPUTE_PGM_RSRC2:TGID_X_EN: 1
; COMPUTE_PGM_RSRC2:TGID_Y_EN: 0
; COMPUTE_PGM_RSRC2:TGID_Z_EN: 1
; COMPUTE_PGM_RSRC2:TIDIG_COMP_CNT: 0
	.section	.text._ZL31rocblas_trsm_small_right_deviceIddPKdPdLi20EEv13rocblas_fill_18rocblas_operation_17rocblas_diagonal_iiT0_T1_lilT2_lili,"axG",@progbits,_ZL31rocblas_trsm_small_right_deviceIddPKdPdLi20EEv13rocblas_fill_18rocblas_operation_17rocblas_diagonal_iiT0_T1_lilT2_lili,comdat
	.globl	_ZL31rocblas_trsm_small_right_deviceIddPKdPdLi20EEv13rocblas_fill_18rocblas_operation_17rocblas_diagonal_iiT0_T1_lilT2_lili ; -- Begin function _ZL31rocblas_trsm_small_right_deviceIddPKdPdLi20EEv13rocblas_fill_18rocblas_operation_17rocblas_diagonal_iiT0_T1_lilT2_lili
	.p2align	8
	.type	_ZL31rocblas_trsm_small_right_deviceIddPKdPdLi20EEv13rocblas_fill_18rocblas_operation_17rocblas_diagonal_iiT0_T1_lilT2_lili,@function
_ZL31rocblas_trsm_small_right_deviceIddPKdPdLi20EEv13rocblas_fill_18rocblas_operation_17rocblas_diagonal_iiT0_T1_lilT2_lili: ; @_ZL31rocblas_trsm_small_right_deviceIddPKdPdLi20EEv13rocblas_fill_18rocblas_operation_17rocblas_diagonal_iiT0_T1_lilT2_lili
; %bb.0:
	s_load_dwordx4 s[8:11], s[4:5], 0x0
	s_load_dword s22, s[4:5], 0x10
	s_load_dwordx4 s[12:15], s[4:5], 0x18
	s_load_dwordx2 s[20:21], s[4:5], 0x28
	s_load_dwordx4 s[0:3], s[4:5], 0x38
	s_load_dwordx2 s[16:17], s[4:5], 0x48
	s_waitcnt lgkmcnt(0)
	s_min_i32 s23, s22, 20
	v_cmp_gt_i32_e32 vcc, s23, v0
	s_and_saveexec_b64 s[18:19], vcc
	s_cbranch_execz .LBB91_5
; %bb.1:
	s_load_dword s24, s[4:5], 0x30
	s_mul_i32 s1, s1, s7
	s_mul_hi_u32 s25, s0, s7
	s_mul_i32 s0, s0, s7
	s_add_i32 s1, s25, s1
	s_waitcnt lgkmcnt(0)
	s_ashr_i32 s25, s24, 31
	s_lshl_b64 s[0:1], s[0:1], 3
	s_add_u32 s14, s14, s0
	s_addc_u32 s15, s15, s1
	s_lshl_b64 s[0:1], s[20:21], 3
	s_add_u32 s0, s14, s0
	s_addc_u32 s1, s15, s1
	v_lshlrev_b32_e32 v3, 3, v0
	v_mov_b32_e32 v2, s1
	v_add_co_u32_e32 v1, vcc, s0, v3
	s_lshl_b64 s[0:1], s[24:25], 3
	v_addc_co_u32_e32 v2, vcc, 0, v2, vcc
	v_mov_b32_e32 v4, s1
	v_mov_b32_e32 v5, v3
	s_mov_b32 s1, s23
.LBB91_2:                               ; =>This Inner Loop Header: Depth=1
	global_load_dwordx2 v[6:7], v[1:2], off
	v_add_co_u32_e32 v1, vcc, s0, v1
	s_add_i32 s1, s1, -1
	v_addc_co_u32_e32 v2, vcc, v2, v4, vcc
	s_cmp_eq_u32 s1, 0
	s_waitcnt vmcnt(0)
	ds_write_b64 v5, v[6:7]
	v_add_u32_e32 v5, 0xa0, v5
	s_cbranch_scc0 .LBB91_2
; %bb.3:
	s_cmpk_eq_i32 s10, 0x84
	s_cbranch_scc0 .LBB91_5
; %bb.4:
	s_movk_i32 s0, 0xa0
	v_mad_u32_u24 v3, v0, s0, v3
	v_mov_b32_e32 v1, 0
	v_mov_b32_e32 v2, 0x3ff00000
	ds_write_b64 v3, v[1:2]
.LBB91_5:
	s_or_b64 exec, exec, s[18:19]
	s_load_dword s0, s[4:5], 0x68
	s_load_dwordx2 s[14:15], s[4:5], 0x58
	s_load_dword s10, s[4:5], 0x50
	s_waitcnt lgkmcnt(0)
	s_mul_i32 s1, s15, s7
	s_mul_hi_u32 s5, s14, s7
	s_mul_i32 s4, s14, s7
	s_add_i32 s5, s5, s1
	s_lshl_b64 s[4:5], s[4:5], 3
	s_add_u32 s1, s2, s4
	s_addc_u32 s4, s3, s5
	s_lshl_b64 s[2:3], s[16:17], 3
	s_add_u32 s1, s1, s2
	s_addc_u32 s2, s4, s3
	s_mul_i32 s3, s6, 0xffffffec
	s_add_i32 s0, s0, -1
	s_add_i32 s3, s11, s3
	s_cmp_ge_u32 s6, s0
	s_cselect_b32 s0, s3, 20
	s_mul_hi_i32 s3, s6, 0xa0
	s_mulk_i32 s6, 0xa0
	s_add_u32 s14, s1, s6
	s_addc_u32 s15, s2, s3
	v_cmp_gt_i32_e64 s[0:1], s0, v0
	s_and_saveexec_b64 s[2:3], s[0:1]
	s_cbranch_execz .LBB91_9
; %bb.6:
	s_cmp_lt_i32 s22, 1
	s_cbranch_scc1 .LBB91_9
; %bb.7:
	s_ashr_i32 s11, s10, 31
	v_lshlrev_b32_e32 v3, 3, v0
	v_mov_b32_e32 v2, s15
	v_add_co_u32_e32 v1, vcc, s14, v3
	s_lshl_b64 s[4:5], s[10:11], 3
	v_addc_co_u32_e32 v2, vcc, 0, v2, vcc
	v_add_u32_e32 v3, 0xc80, v3
	v_mov_b32_e32 v4, s5
	s_mov_b32 s5, s22
.LBB91_8:                               ; =>This Inner Loop Header: Depth=1
	global_load_dwordx2 v[5:6], v[1:2], off
	s_add_i32 s5, s5, -1
	v_add_co_u32_e32 v1, vcc, s4, v1
	v_addc_co_u32_e32 v2, vcc, v2, v4, vcc
	s_cmp_lg_u32 s5, 0
	s_waitcnt vmcnt(0)
	v_mul_f64 v[5:6], s[12:13], v[5:6]
	ds_write_b64 v3, v[5:6]
	v_add_u32_e32 v3, 0xa0, v3
	s_cbranch_scc1 .LBB91_8
.LBB91_9:
	s_or_b64 exec, exec, s[2:3]
	s_cmpk_eq_i32 s9, 0x6f
	s_cselect_b64 s[2:3], -1, 0
	s_cmpk_lg_i32 s8, 0x79
	s_cselect_b64 s[4:5], -1, 0
	s_cmpk_eq_i32 s8, 0x79
	s_cselect_b64 s[6:7], -1, 0
	s_and_b64 s[6:7], s[6:7], s[2:3]
	s_andn2_b64 vcc, exec, s[6:7]
	s_mov_b64 s[6:7], -1
	s_waitcnt lgkmcnt(0)
	; wave barrier
	s_cbranch_vccz .LBB91_66
; %bb.10:
	s_cmpk_lg_i32 s8, 0x7a
	s_cselect_b64 s[12:13], -1, 0
	s_xor_b64 s[2:3], s[2:3], -1
	s_add_i32 s8, s23, -1
	s_or_b64 s[12:13], s[12:13], s[2:3]
	v_mov_b32_e32 v1, 0xc80
	s_cmp_gt_i32 s22, 3
	v_lshl_add_u32 v9, v0, 3, v1
	s_cselect_b64 s[2:3], -1, 0
	s_and_b64 vcc, exec, s[12:13]
	s_cbranch_vccz .LBB91_45
; %bb.11:
	s_andn2_b64 vcc, exec, s[4:5]
	s_mov_b64 s[4:5], -1
	s_cbranch_vccnz .LBB91_24
; %bb.12:
	s_andn2_b64 vcc, exec, s[2:3]
	s_mov_b32 s6, 0
	s_cbranch_vccnz .LBB91_18
; %bb.13:
	v_mov_b32_e32 v1, 0xc80
	v_lshl_add_u32 v10, v0, 3, v1
	s_mov_b32 s4, 0
	s_mov_b32 s5, 0
.LBB91_14:                              ; =>This Loop Header: Depth=1
                                        ;     Child Loop BB91_15 Depth 2
	s_or_b32 s7, s5, 3
	s_mul_i32 s6, s5, 0xa0
	v_add_u32_e32 v11, s6, v9
	s_mulk_i32 s7, 0xa0
	ds_read2_b64 v[1:4], v11 offset1:20
	v_add_u32_e32 v12, s7, v9
	ds_read_b64 v[7:8], v11 offset:320
	ds_read_b64 v[5:6], v12
	s_cmp_eq_u32 s5, 0
	v_mov_b32_e32 v13, v10
	s_mov_b32 s7, s4
	s_mov_b32 s9, s5
	s_cbranch_scc1 .LBB91_16
.LBB91_15:                              ;   Parent Loop BB91_14 Depth=1
                                        ; =>  This Inner Loop Header: Depth=2
	v_mov_b32_e32 v18, s7
	ds_read_b64 v[22:23], v13
	ds_read_b128 v[14:17], v18
	ds_read_b128 v[18:21], v18 offset:16
	s_add_i32 s9, s9, -1
	s_addk_i32 s7, 0xa0
	s_cmp_eq_u32 s9, 0
	s_waitcnt lgkmcnt(1)
	v_fma_f64 v[1:2], -v[22:23], v[14:15], v[1:2]
	v_fma_f64 v[3:4], -v[22:23], v[16:17], v[3:4]
	s_waitcnt lgkmcnt(0)
	v_fma_f64 v[7:8], -v[22:23], v[18:19], v[7:8]
	v_fma_f64 v[5:6], -v[22:23], v[20:21], v[5:6]
	v_add_u32_e32 v13, 0xa0, v13
	s_cbranch_scc0 .LBB91_15
.LBB91_16:                              ;   in Loop: Header=BB91_14 Depth=1
	s_lshl_b32 s9, s5, 3
	s_add_i32 s11, s9, s6
	v_mov_b32_e32 v33, s11
	ds_read_b128 v[13:16], v33
	ds_read_b128 v[17:20], v33 offset:16
	s_addk_i32 s11, 0xa8
	s_add_i32 s4, s4, 32
	s_waitcnt lgkmcnt(1)
	v_div_scale_f64 v[21:22], s[6:7], v[13:14], v[13:14], v[1:2]
	v_rcp_f64_e32 v[23:24], v[21:22]
	v_fma_f64 v[25:26], -v[21:22], v[23:24], 1.0
	v_fma_f64 v[23:24], v[23:24], v[25:26], v[23:24]
	v_div_scale_f64 v[25:26], vcc, v[1:2], v[13:14], v[1:2]
	v_fma_f64 v[27:28], -v[21:22], v[23:24], 1.0
	v_fma_f64 v[23:24], v[23:24], v[27:28], v[23:24]
	v_mul_f64 v[27:28], v[25:26], v[23:24]
	v_fma_f64 v[21:22], -v[21:22], v[27:28], v[25:26]
	v_div_fmas_f64 v[21:22], v[21:22], v[23:24], v[27:28]
	v_div_fixup_f64 v[21:22], v[21:22], v[13:14], v[1:2]
	v_fma_f64 v[23:24], -v[21:22], v[15:16], v[3:4]
	ds_read2_b64 v[1:4], v33 offset0:21 offset1:22
	ds_read_b128 v[13:16], v33 offset:336
	s_waitcnt lgkmcnt(2)
	v_fma_f64 v[7:8], -v[21:22], v[17:18], v[7:8]
	v_fma_f64 v[5:6], -v[21:22], v[19:20], v[5:6]
	s_waitcnt lgkmcnt(1)
	v_div_scale_f64 v[25:26], s[6:7], v[1:2], v[1:2], v[23:24]
	v_rcp_f64_e32 v[27:28], v[25:26]
	v_fma_f64 v[29:30], -v[25:26], v[27:28], 1.0
	v_fma_f64 v[27:28], v[27:28], v[29:30], v[27:28]
	v_div_scale_f64 v[29:30], vcc, v[23:24], v[1:2], v[23:24]
	v_fma_f64 v[31:32], -v[25:26], v[27:28], 1.0
	v_fma_f64 v[27:28], v[27:28], v[31:32], v[27:28]
	v_mul_f64 v[31:32], v[29:30], v[27:28]
	v_fma_f64 v[25:26], -v[25:26], v[31:32], v[29:30]
	v_div_fmas_f64 v[25:26], v[25:26], v[27:28], v[31:32]
	v_div_fixup_f64 v[1:2], v[25:26], v[1:2], v[23:24]
	v_fma_f64 v[3:4], -v[1:2], v[3:4], v[7:8]
	s_waitcnt lgkmcnt(0)
	v_div_scale_f64 v[7:8], s[6:7], v[13:14], v[13:14], v[3:4]
	s_or_b32 s6, s9, 8
	s_sub_i32 s6, s11, s6
	s_add_i32 s6, s6, s9
	v_rcp_f64_e32 v[17:18], v[7:8]
	v_fma_f64 v[23:24], -v[7:8], v[17:18], 1.0
	v_fma_f64 v[17:18], v[17:18], v[23:24], v[17:18]
	v_div_scale_f64 v[23:24], vcc, v[3:4], v[13:14], v[3:4]
	v_fma_f64 v[25:26], -v[7:8], v[17:18], 1.0
	v_fma_f64 v[17:18], v[17:18], v[25:26], v[17:18]
	v_mul_f64 v[25:26], v[23:24], v[17:18]
	v_fma_f64 v[7:8], -v[7:8], v[25:26], v[23:24]
	v_div_fmas_f64 v[7:8], v[7:8], v[17:18], v[25:26]
	v_mov_b32_e32 v17, s6
	ds_read_b64 v[17:18], v17 offset:24
	ds_read_b64 v[19:20], v33 offset:504
	s_waitcnt lgkmcnt(1)
	v_fma_f64 v[5:6], -v[1:2], v[17:18], v[5:6]
	v_div_fixup_f64 v[3:4], v[7:8], v[13:14], v[3:4]
	ds_write2_b64 v11, v[21:22], v[1:2] offset1:20
	ds_write_b64 v11, v[3:4] offset:320
	v_fma_f64 v[5:6], -v[3:4], v[15:16], v[5:6]
	s_waitcnt lgkmcnt(2)
	v_div_scale_f64 v[7:8], s[6:7], v[19:20], v[19:20], v[5:6]
	v_div_scale_f64 v[17:18], vcc, v[5:6], v[19:20], v[5:6]
	s_add_i32 s6, s5, 4
	s_add_i32 s5, s5, 7
	s_cmp_ge_i32 s5, s23
	v_rcp_f64_e32 v[13:14], v[7:8]
	v_fma_f64 v[15:16], -v[7:8], v[13:14], 1.0
	v_fma_f64 v[13:14], v[13:14], v[15:16], v[13:14]
	v_fma_f64 v[15:16], -v[7:8], v[13:14], 1.0
	v_fma_f64 v[13:14], v[13:14], v[15:16], v[13:14]
	v_mul_f64 v[15:16], v[17:18], v[13:14]
	v_fma_f64 v[7:8], -v[7:8], v[15:16], v[17:18]
	v_div_fmas_f64 v[7:8], v[7:8], v[13:14], v[15:16]
	v_div_fixup_f64 v[5:6], v[7:8], v[19:20], v[5:6]
	ds_write_b64 v12, v[5:6]
	s_cbranch_scc1 .LBB91_18
; %bb.17:                               ;   in Loop: Header=BB91_14 Depth=1
	s_mov_b32 s5, s6
	s_branch .LBB91_14
.LBB91_18:
	s_cmp_ge_i32 s6, s23
	s_cbranch_scc1 .LBB91_23
; %bb.19:
	v_mov_b32_e32 v1, 0xc80
	s_lshl_b32 s4, s6, 3
	v_lshl_add_u32 v3, v0, 3, v1
	s_branch .LBB91_21
.LBB91_20:                              ;   in Loop: Header=BB91_21 Depth=1
	s_lshl_b32 s7, s6, 3
	s_add_i32 s5, s7, s5
	v_mov_b32_e32 v5, s5
	ds_read_b64 v[5:6], v5
	s_add_i32 s6, s6, 1
	s_add_i32 s4, s4, 8
	s_cmp_ge_i32 s6, s23
	s_waitcnt lgkmcnt(0)
	v_div_scale_f64 v[7:8], s[12:13], v[5:6], v[5:6], v[1:2]
	v_div_scale_f64 v[14:15], vcc, v[1:2], v[5:6], v[1:2]
	v_rcp_f64_e32 v[10:11], v[7:8]
	v_fma_f64 v[12:13], -v[7:8], v[10:11], 1.0
	v_fma_f64 v[10:11], v[10:11], v[12:13], v[10:11]
	v_fma_f64 v[12:13], -v[7:8], v[10:11], 1.0
	v_fma_f64 v[10:11], v[10:11], v[12:13], v[10:11]
	v_mul_f64 v[12:13], v[14:15], v[10:11]
	v_fma_f64 v[7:8], -v[7:8], v[12:13], v[14:15]
	v_div_fmas_f64 v[7:8], v[7:8], v[10:11], v[12:13]
	v_div_fixup_f64 v[1:2], v[7:8], v[5:6], v[1:2]
	ds_write_b64 v4, v[1:2]
	s_cbranch_scc1 .LBB91_23
.LBB91_21:                              ; =>This Loop Header: Depth=1
                                        ;     Child Loop BB91_22 Depth 2
	s_mul_i32 s5, s6, 0xa0
	v_add_u32_e32 v4, s5, v9
	ds_read_b64 v[1:2], v4
	s_cmp_eq_u32 s6, 0
	v_mov_b32_e32 v5, v3
	s_mov_b32 s7, s4
	s_mov_b32 s9, s6
	s_cbranch_scc1 .LBB91_20
.LBB91_22:                              ;   Parent Loop BB91_21 Depth=1
                                        ; =>  This Inner Loop Header: Depth=2
	v_mov_b32_e32 v8, s7
	ds_read_b64 v[6:7], v5
	ds_read_b64 v[10:11], v8
	s_add_i32 s9, s9, -1
	s_addk_i32 s7, 0xa0
	s_cmp_eq_u32 s9, 0
	v_add_u32_e32 v5, 0xa0, v5
	s_waitcnt lgkmcnt(0)
	v_fma_f64 v[1:2], -v[6:7], v[10:11], v[1:2]
	s_cbranch_scc0 .LBB91_22
	s_branch .LBB91_20
.LBB91_23:
	s_mov_b64 s[4:5], 0
.LBB91_24:
	s_and_b64 vcc, exec, s[4:5]
	s_cbranch_vccz .LBB91_44
; %bb.25:
	s_andn2_b64 vcc, exec, s[2:3]
	s_mov_b32 s6, s8
	s_cbranch_vccnz .LBB91_31
; %bb.26:
	s_mul_i32 s5, s23, 0xa0
	s_mul_i32 s4, s23, 0xa8
	v_lshl_add_u32 v1, v0, 3, s5
	s_addk_i32 s4, 0xff40
	v_add_u32_e32 v10, 0xbe0, v1
	s_mov_b32 s5, s8
.LBB91_27:                              ; =>This Loop Header: Depth=1
                                        ;     Child Loop BB91_28 Depth 2
	s_mul_i32 s6, s5, 0xa0
	v_add_u32_e32 v11, s6, v9
	s_add_i32 s7, s6, 0xfffffe20
	v_add_u32_e32 v13, 0xffffff60, v11
	v_add_u32_e32 v14, 0xfffffec0, v11
	;; [unrolled: 1-line block ×3, first 2 shown]
	ds_read_b64 v[7:8], v11
	ds_read_b64 v[5:6], v13
	;; [unrolled: 1-line block ×4, first 2 shown]
	s_cmp_le_i32 s8, s5
	v_mov_b32_e32 v15, v10
	s_mov_b32 s9, s4
	s_mov_b32 s11, s8
	s_cbranch_scc1 .LBB91_29
.LBB91_28:                              ;   Parent Loop BB91_27 Depth=1
                                        ; =>  This Inner Loop Header: Depth=2
	v_mov_b32_e32 v20, s9
	ds_read_b64 v[24:25], v15
	ds_read2_b64 v[16:19], v20 offset0:2 offset1:3
	ds_read2_b64 v[20:23], v20 offset1:1
	s_add_i32 s11, s11, -1
	s_addk_i32 s9, 0xff60
	s_cmp_le_i32 s11, s5
	s_waitcnt lgkmcnt(1)
	v_fma_f64 v[7:8], -v[24:25], v[18:19], v[7:8]
	v_fma_f64 v[5:6], -v[24:25], v[16:17], v[5:6]
	s_waitcnt lgkmcnt(0)
	v_fma_f64 v[3:4], -v[24:25], v[22:23], v[3:4]
	v_fma_f64 v[1:2], -v[24:25], v[20:21], v[1:2]
	v_add_u32_e32 v15, 0xffffff60, v15
	s_cbranch_scc0 .LBB91_28
.LBB91_29:                              ;   in Loop: Header=BB91_27 Depth=1
	s_lshl_b32 s11, s5, 3
	s_add_i32 s16, s11, s6
	s_add_i32 s12, s16, -8
	v_mov_b32_e32 v15, s12
	ds_read2_b64 v[15:18], v15 offset1:1
	s_add_i32 s12, s16, 0xffffff58
	v_mov_b32_e32 v19, s12
	ds_read_b64 v[19:20], v19
	s_add_i32 s9, s5, -3
	s_waitcnt lgkmcnt(1)
	v_div_scale_f64 v[21:22], s[12:13], v[17:18], v[17:18], v[7:8]
	s_lshl_b32 s9, s9, 3
	s_add_i32 s6, s6, s9
	s_add_i32 s9, s6, 0xffffff60
	s_addk_i32 s6, 0xfec0
	s_add_i32 s11, s11, s7
	s_sub_i32 s4, s4, 32
	v_rcp_f64_e32 v[23:24], v[21:22]
	v_fma_f64 v[25:26], -v[21:22], v[23:24], 1.0
	v_fma_f64 v[23:24], v[23:24], v[25:26], v[23:24]
	v_div_scale_f64 v[25:26], vcc, v[7:8], v[17:18], v[7:8]
	v_fma_f64 v[27:28], -v[21:22], v[23:24], 1.0
	v_fma_f64 v[23:24], v[23:24], v[27:28], v[23:24]
	v_mul_f64 v[27:28], v[25:26], v[23:24]
	v_fma_f64 v[21:22], -v[21:22], v[27:28], v[25:26]
	v_div_fmas_f64 v[21:22], v[21:22], v[23:24], v[27:28]
	v_div_fixup_f64 v[21:22], v[21:22], v[17:18], v[7:8]
	v_fma_f64 v[23:24], -v[21:22], v[15:16], v[5:6]
	s_waitcnt lgkmcnt(0)
	v_div_scale_f64 v[5:6], s[12:13], v[19:20], v[19:20], v[23:24]
	s_sub_i32 s12, s16, 24
	v_rcp_f64_e32 v[7:8], v[5:6]
	v_fma_f64 v[15:16], -v[5:6], v[7:8], 1.0
	v_fma_f64 v[7:8], v[7:8], v[15:16], v[7:8]
	v_div_scale_f64 v[15:16], vcc, v[23:24], v[19:20], v[23:24]
	v_fma_f64 v[17:18], -v[5:6], v[7:8], 1.0
	v_fma_f64 v[7:8], v[7:8], v[17:18], v[7:8]
	v_mul_f64 v[17:18], v[15:16], v[7:8]
	v_fma_f64 v[5:6], -v[5:6], v[17:18], v[15:16]
	v_mov_b32_e32 v15, s9
	v_div_fmas_f64 v[25:26], v[5:6], v[7:8], v[17:18]
	v_mov_b32_e32 v5, s12
	ds_read2_b64 v[5:8], v5 offset1:1
	ds_read2_b64 v[15:18], v15 offset1:1
	s_waitcnt lgkmcnt(1)
	v_fma_f64 v[3:4], -v[21:22], v[7:8], v[3:4]
	v_fma_f64 v[1:2], -v[21:22], v[5:6], v[1:2]
	v_div_fixup_f64 v[7:8], v[25:26], v[19:20], v[23:24]
	s_waitcnt lgkmcnt(0)
	v_fma_f64 v[3:4], -v[7:8], v[17:18], v[3:4]
	v_mov_b32_e32 v17, s6
	ds_read2_b64 v[17:20], v17 offset1:1
	s_sub_i32 s6, s11, 24
	v_mov_b32_e32 v23, s6
	ds_read_b64 v[23:24], v23
	v_fma_f64 v[1:2], -v[7:8], v[15:16], v[1:2]
	s_waitcnt lgkmcnt(1)
	v_div_scale_f64 v[25:26], s[6:7], v[19:20], v[19:20], v[3:4]
	v_rcp_f64_e32 v[27:28], v[25:26]
	v_fma_f64 v[29:30], -v[25:26], v[27:28], 1.0
	v_fma_f64 v[27:28], v[27:28], v[29:30], v[27:28]
	v_div_scale_f64 v[29:30], vcc, v[3:4], v[19:20], v[3:4]
	v_fma_f64 v[31:32], -v[25:26], v[27:28], 1.0
	v_fma_f64 v[27:28], v[27:28], v[31:32], v[27:28]
	v_mul_f64 v[31:32], v[29:30], v[27:28]
	v_fma_f64 v[25:26], -v[25:26], v[31:32], v[29:30]
	v_div_fmas_f64 v[25:26], v[25:26], v[27:28], v[31:32]
	v_div_fixup_f64 v[3:4], v[25:26], v[19:20], v[3:4]
	ds_write_b64 v11, v[21:22]
	ds_write_b64 v13, v[7:8]
	;; [unrolled: 1-line block ×3, first 2 shown]
	v_fma_f64 v[1:2], -v[3:4], v[17:18], v[1:2]
	s_waitcnt lgkmcnt(3)
	v_div_scale_f64 v[5:6], s[6:7], v[23:24], v[23:24], v[1:2]
	v_div_scale_f64 v[19:20], vcc, v[1:2], v[23:24], v[1:2]
	s_add_i32 s6, s5, -4
	s_cmp_lt_i32 s5, 7
	v_rcp_f64_e32 v[15:16], v[5:6]
	v_fma_f64 v[17:18], -v[5:6], v[15:16], 1.0
	v_fma_f64 v[15:16], v[15:16], v[17:18], v[15:16]
	v_fma_f64 v[17:18], -v[5:6], v[15:16], 1.0
	v_fma_f64 v[15:16], v[15:16], v[17:18], v[15:16]
	v_mul_f64 v[17:18], v[19:20], v[15:16]
	v_fma_f64 v[5:6], -v[5:6], v[17:18], v[19:20]
	v_div_fmas_f64 v[5:6], v[5:6], v[15:16], v[17:18]
	v_div_fixup_f64 v[1:2], v[5:6], v[23:24], v[1:2]
	ds_write_b64 v12, v[1:2]
	s_cbranch_scc1 .LBB91_31
; %bb.30:                               ;   in Loop: Header=BB91_27 Depth=1
	s_mov_b32 s5, s6
	s_branch .LBB91_27
.LBB91_31:
	s_cmp_lt_i32 s6, 0
	s_cbranch_scc1 .LBB91_44
; %bb.32:
	s_bitcmp1_b32 s6, 0
	s_cselect_b64 s[4:5], -1, 0
	s_and_b64 vcc, exec, s[4:5]
	s_mov_b32 s4, s6
	s_cbranch_vccnz .LBB91_37
; %bb.33:
	s_mul_i32 s4, s6, 0xa0
	v_add_u32_e32 v3, s4, v9
	ds_read_b64 v[1:2], v3
	s_cmp_le_i32 s8, s6
	s_cbranch_scc1 .LBB91_36
; %bb.34:
	s_mul_i32 s7, s23, 0xa0
	s_lshl_b32 s5, s6, 3
	s_add_i32 s5, s7, s5
	v_lshl_add_u32 v4, v0, 3, s7
	s_addk_i32 s5, 0xff60
	v_add_u32_e32 v4, 0xbe0, v4
	s_mov_b32 s7, s8
.LBB91_35:                              ; =>This Inner Loop Header: Depth=1
	v_mov_b32_e32 v7, s5
	ds_read_b64 v[5:6], v4
	ds_read_b64 v[7:8], v7
	s_add_i32 s7, s7, -1
	s_addk_i32 s5, 0xff60
	s_cmp_gt_u32 s7, s6
	v_add_u32_e32 v4, 0xffffff60, v4
	s_waitcnt lgkmcnt(0)
	v_fma_f64 v[1:2], -v[5:6], v[7:8], v[1:2]
	s_cbranch_scc1 .LBB91_35
.LBB91_36:
	s_lshl_b32 s5, s6, 3
	s_add_i32 s4, s5, s4
	v_mov_b32_e32 v4, s4
	ds_read_b64 v[4:5], v4
	s_waitcnt lgkmcnt(0)
	v_div_scale_f64 v[6:7], s[4:5], v[4:5], v[4:5], v[1:2]
	s_add_i32 s4, s6, -1
	v_rcp_f64_e32 v[10:11], v[6:7]
	v_fma_f64 v[12:13], -v[6:7], v[10:11], 1.0
	v_fma_f64 v[10:11], v[10:11], v[12:13], v[10:11]
	v_div_scale_f64 v[12:13], vcc, v[1:2], v[4:5], v[1:2]
	v_fma_f64 v[14:15], -v[6:7], v[10:11], 1.0
	v_fma_f64 v[10:11], v[10:11], v[14:15], v[10:11]
	v_mul_f64 v[14:15], v[12:13], v[10:11]
	v_fma_f64 v[6:7], -v[6:7], v[14:15], v[12:13]
	v_div_fmas_f64 v[6:7], v[6:7], v[10:11], v[14:15]
	v_div_fixup_f64 v[1:2], v[6:7], v[4:5], v[1:2]
	ds_write_b64 v3, v[1:2]
.LBB91_37:
	s_cmp_eq_u32 s6, 0
	s_cbranch_scc1 .LBB91_44
; %bb.38:
	s_mul_i32 s6, s23, 0xa0
	s_lshl_b32 s5, s4, 3
	s_add_i32 s7, s6, s5
	v_lshl_add_u32 v1, v0, 3, s6
	s_add_i32 s5, s7, 0xffffff60
	v_add_u32_e32 v5, 0xbe0, v1
	s_add_i32 s6, s7, 0xffffff58
	s_branch .LBB91_40
.LBB91_39:                              ;   in Loop: Header=BB91_40 Depth=1
	s_mul_i32 s11, s9, 0xa0
	s_add_i32 s7, s7, s11
	s_add_i32 s7, s7, -8
	v_mov_b32_e32 v3, s7
	ds_read_b64 v[3:4], v3
	s_add_i32 s4, s4, -2
	s_add_i32 s5, s5, -16
	;; [unrolled: 1-line block ×3, first 2 shown]
	s_cmp_eq_u32 s9, 0
	s_waitcnt lgkmcnt(0)
	v_div_scale_f64 v[10:11], s[12:13], v[3:4], v[3:4], v[1:2]
	v_div_scale_f64 v[16:17], vcc, v[1:2], v[3:4], v[1:2]
	v_rcp_f64_e32 v[12:13], v[10:11]
	v_fma_f64 v[14:15], -v[10:11], v[12:13], 1.0
	v_fma_f64 v[12:13], v[12:13], v[14:15], v[12:13]
	v_fma_f64 v[14:15], -v[10:11], v[12:13], 1.0
	v_fma_f64 v[12:13], v[12:13], v[14:15], v[12:13]
	v_mul_f64 v[14:15], v[16:17], v[12:13]
	v_fma_f64 v[10:11], -v[10:11], v[14:15], v[16:17]
	v_div_fmas_f64 v[10:11], v[10:11], v[12:13], v[14:15]
	v_div_fixup_f64 v[1:2], v[10:11], v[3:4], v[1:2]
	ds_write_b64 v7, v[1:2]
	s_cbranch_scc1 .LBB91_44
.LBB91_40:                              ; =>This Loop Header: Depth=1
                                        ;     Child Loop BB91_41 Depth 2
                                        ;     Child Loop BB91_43 Depth 2
	s_mul_i32 s9, s4, 0xa0
	v_add_u32_e32 v6, s9, v9
	ds_read_b64 v[3:4], v6
	s_cmp_le_i32 s8, s4
	v_mov_b32_e32 v1, v5
	s_mov_b32 s7, s5
	s_mov_b32 s11, s8
	s_cbranch_scc1 .LBB91_42
.LBB91_41:                              ;   Parent Loop BB91_40 Depth=1
                                        ; =>  This Inner Loop Header: Depth=2
	v_mov_b32_e32 v2, s7
	ds_read_b64 v[7:8], v1
	ds_read_b64 v[10:11], v2
	s_add_i32 s11, s11, -1
	s_addk_i32 s7, 0xff60
	s_cmp_le_u32 s11, s4
	v_add_u32_e32 v1, 0xffffff60, v1
	s_waitcnt lgkmcnt(0)
	v_fma_f64 v[3:4], -v[7:8], v[10:11], v[3:4]
	s_cbranch_scc0 .LBB91_41
.LBB91_42:                              ;   in Loop: Header=BB91_40 Depth=1
	s_lshl_b32 s7, s4, 3
	s_add_i32 s11, s7, s9
	v_mov_b32_e32 v1, s11
	ds_read_b64 v[10:11], v1
	s_addk_i32 s9, 0xff60
	v_add_u32_e32 v7, s9, v9
	ds_read_b64 v[1:2], v7
	s_add_i32 s9, s4, -1
	s_waitcnt lgkmcnt(1)
	v_div_scale_f64 v[12:13], s[12:13], v[10:11], v[10:11], v[3:4]
	s_mov_b32 s11, s6
	s_cmp_le_i32 s23, s4
	s_mov_b32 s12, s8
	v_rcp_f64_e32 v[14:15], v[12:13]
	v_fma_f64 v[16:17], -v[12:13], v[14:15], 1.0
	v_fma_f64 v[14:15], v[14:15], v[16:17], v[14:15]
	v_div_scale_f64 v[16:17], vcc, v[3:4], v[10:11], v[3:4]
	v_fma_f64 v[18:19], -v[12:13], v[14:15], 1.0
	v_fma_f64 v[14:15], v[14:15], v[18:19], v[14:15]
	v_mul_f64 v[18:19], v[16:17], v[14:15]
	v_fma_f64 v[12:13], -v[12:13], v[18:19], v[16:17]
	v_div_fmas_f64 v[12:13], v[12:13], v[14:15], v[18:19]
	v_div_fixup_f64 v[10:11], v[12:13], v[10:11], v[3:4]
	v_mov_b32_e32 v3, v5
	ds_write_b64 v6, v[10:11]
	s_cbranch_scc1 .LBB91_39
.LBB91_43:                              ;   Parent Loop BB91_40 Depth=1
                                        ; =>  This Inner Loop Header: Depth=2
	v_mov_b32_e32 v4, s11
	ds_read_b64 v[10:11], v3
	ds_read_b64 v[12:13], v4
	s_add_i32 s12, s12, -1
	s_addk_i32 s11, 0xff60
	s_cmp_gt_u32 s12, s9
	v_add_u32_e32 v3, 0xffffff60, v3
	s_waitcnt lgkmcnt(0)
	v_fma_f64 v[1:2], -v[10:11], v[12:13], v[1:2]
	s_cbranch_scc1 .LBB91_43
	s_branch .LBB91_39
.LBB91_44:
	s_mov_b64 s[6:7], 0
.LBB91_45:
	s_andn2_b64 vcc, exec, s[6:7]
	s_cbranch_vccnz .LBB91_65
; %bb.46:
	s_andn2_b64 vcc, exec, s[2:3]
	s_mov_b32 s4, s8
	s_cbranch_vccnz .LBB91_52
; %bb.47:
	s_mul_i32 s2, s23, 0xa0
	v_lshl_add_u32 v1, v0, 3, s2
	s_mul_i32 s2, s23, 0xa8
	v_add_u32_e32 v10, 0xbe0, v1
	s_addk_i32 s2, 0xfd78
	s_mov_b32 s3, s8
.LBB91_48:                              ; =>This Loop Header: Depth=1
                                        ;     Child Loop BB91_49 Depth 2
	s_mul_i32 s4, s3, 20
	v_lshl_add_u32 v12, s4, 3, v9
	v_add_u32_e32 v13, 0xffffff60, v12
	v_add_u32_e32 v14, 0xfffffec0, v12
	;; [unrolled: 1-line block ×3, first 2 shown]
	ds_read_b64 v[7:8], v12
	ds_read_b64 v[5:6], v13
	;; [unrolled: 1-line block ×4, first 2 shown]
	s_cmp_le_i32 s8, s3
	s_mov_b32 s5, s2
	v_mov_b32_e32 v15, v10
	s_mov_b32 s6, s8
	s_cbranch_scc1 .LBB91_50
.LBB91_49:                              ;   Parent Loop BB91_48 Depth=1
                                        ; =>  This Inner Loop Header: Depth=2
	v_mov_b32_e32 v20, s5
	ds_read_b64 v[24:25], v15
	ds_read2_b64 v[16:19], v20 offset0:40 offset1:60
	ds_read2_b64 v[20:23], v20 offset1:20
	s_add_i32 s6, s6, -1
	s_add_i32 s5, s5, -8
	s_cmp_le_i32 s6, s3
	s_waitcnt lgkmcnt(1)
	v_fma_f64 v[7:8], -v[24:25], v[18:19], v[7:8]
	v_fma_f64 v[5:6], -v[24:25], v[16:17], v[5:6]
	s_waitcnt lgkmcnt(0)
	v_fma_f64 v[3:4], -v[24:25], v[22:23], v[3:4]
	v_fma_f64 v[1:2], -v[24:25], v[20:21], v[1:2]
	v_add_u32_e32 v15, 0xffffff60, v15
	s_cbranch_scc0 .LBB91_49
.LBB91_50:                              ;   in Loop: Header=BB91_48 Depth=1
	s_mul_i32 s5, s3, 0xa8
	v_mov_b32_e32 v15, s5
	ds_read_b64 v[19:20], v15
	s_lshl_b32 s4, s4, 3
	s_lshl_b32 s5, s3, 3
	s_add_i32 s6, s4, s5
	s_add_i32 s4, s6, 0xffffff58
	v_mov_b32_e32 v15, s4
	s_waitcnt lgkmcnt(0)
	v_div_scale_f64 v[21:22], s[4:5], v[19:20], v[19:20], v[7:8]
	ds_read2_b64 v[15:18], v15 offset1:1
	s_addk_i32 s2, 0xfd80
	v_rcp_f64_e32 v[23:24], v[21:22]
	v_fma_f64 v[25:26], -v[21:22], v[23:24], 1.0
	v_fma_f64 v[23:24], v[23:24], v[25:26], v[23:24]
	v_div_scale_f64 v[25:26], vcc, v[7:8], v[19:20], v[7:8]
	v_fma_f64 v[27:28], -v[21:22], v[23:24], 1.0
	v_fma_f64 v[23:24], v[23:24], v[27:28], v[23:24]
	v_mul_f64 v[27:28], v[25:26], v[23:24]
	v_fma_f64 v[21:22], -v[21:22], v[27:28], v[25:26]
	v_div_fmas_f64 v[21:22], v[21:22], v[23:24], v[27:28]
	v_div_fixup_f64 v[23:24], v[21:22], v[19:20], v[7:8]
	s_waitcnt lgkmcnt(0)
	v_fma_f64 v[17:18], -v[23:24], v[17:18], v[5:6]
	v_div_scale_f64 v[5:6], s[4:5], v[15:16], v[15:16], v[17:18]
	s_add_i32 s4, s6, 0xfffffec0
	v_rcp_f64_e32 v[7:8], v[5:6]
	v_fma_f64 v[19:20], -v[5:6], v[7:8], 1.0
	v_fma_f64 v[7:8], v[7:8], v[19:20], v[7:8]
	v_div_scale_f64 v[19:20], vcc, v[17:18], v[15:16], v[17:18]
	v_fma_f64 v[21:22], -v[5:6], v[7:8], 1.0
	v_fma_f64 v[7:8], v[7:8], v[21:22], v[7:8]
	v_mul_f64 v[21:22], v[19:20], v[7:8]
	v_fma_f64 v[5:6], -v[5:6], v[21:22], v[19:20]
	v_div_fmas_f64 v[19:20], v[5:6], v[7:8], v[21:22]
	v_mov_b32_e32 v5, s4
	ds_read_b64 v[21:22], v5
	s_add_i32 s4, s6, 0xfffffeb0
	v_mov_b32_e32 v5, s4
	ds_read2_b64 v[5:8], v5 offset1:1
	s_waitcnt lgkmcnt(1)
	v_fma_f64 v[3:4], -v[23:24], v[21:22], v[3:4]
	v_div_fixup_f64 v[25:26], v[19:20], v[15:16], v[17:18]
	s_waitcnt lgkmcnt(0)
	v_fma_f64 v[3:4], -v[25:26], v[7:8], v[3:4]
	v_div_scale_f64 v[7:8], s[4:5], v[5:6], v[5:6], v[3:4]
	s_add_i32 s4, s6, 0xfffffe18
	v_rcp_f64_e32 v[15:16], v[7:8]
	v_fma_f64 v[17:18], -v[7:8], v[15:16], 1.0
	v_fma_f64 v[15:16], v[15:16], v[17:18], v[15:16]
	v_div_scale_f64 v[17:18], vcc, v[3:4], v[5:6], v[3:4]
	v_fma_f64 v[19:20], -v[7:8], v[15:16], 1.0
	v_fma_f64 v[15:16], v[15:16], v[19:20], v[15:16]
	v_mul_f64 v[19:20], v[17:18], v[15:16]
	v_fma_f64 v[7:8], -v[7:8], v[19:20], v[17:18]
	v_div_fmas_f64 v[7:8], v[7:8], v[15:16], v[19:20]
	v_mov_b32_e32 v15, s4
	ds_read2_b64 v[15:18], v15 offset1:1
	s_add_i32 s4, s6, 0xfffffe08
	v_mov_b32_e32 v19, s4
	ds_read2_b64 v[19:22], v19 offset1:1
	s_waitcnt lgkmcnt(1)
	v_fma_f64 v[1:2], -v[23:24], v[17:18], v[1:2]
	v_fma_f64 v[1:2], -v[25:26], v[15:16], v[1:2]
	v_div_fixup_f64 v[3:4], v[7:8], v[5:6], v[3:4]
	ds_write_b64 v12, v[23:24]
	ds_write_b64 v13, v[25:26]
	;; [unrolled: 1-line block ×3, first 2 shown]
	s_waitcnt lgkmcnt(3)
	v_fma_f64 v[1:2], -v[3:4], v[21:22], v[1:2]
	v_div_scale_f64 v[5:6], s[4:5], v[19:20], v[19:20], v[1:2]
	v_div_scale_f64 v[17:18], vcc, v[1:2], v[19:20], v[1:2]
	s_add_i32 s4, s3, -4
	s_cmp_lt_i32 s3, 7
	v_rcp_f64_e32 v[7:8], v[5:6]
	v_fma_f64 v[15:16], -v[5:6], v[7:8], 1.0
	v_fma_f64 v[7:8], v[7:8], v[15:16], v[7:8]
	v_fma_f64 v[15:16], -v[5:6], v[7:8], 1.0
	v_fma_f64 v[7:8], v[7:8], v[15:16], v[7:8]
	v_mul_f64 v[15:16], v[17:18], v[7:8]
	v_fma_f64 v[5:6], -v[5:6], v[15:16], v[17:18]
	v_div_fmas_f64 v[5:6], v[5:6], v[7:8], v[15:16]
	v_div_fixup_f64 v[1:2], v[5:6], v[19:20], v[1:2]
	ds_write_b64 v11, v[1:2]
	s_cbranch_scc1 .LBB91_52
; %bb.51:                               ;   in Loop: Header=BB91_48 Depth=1
	s_mov_b32 s3, s4
	s_branch .LBB91_48
.LBB91_52:
	s_cmp_lt_i32 s4, 0
	s_cbranch_scc1 .LBB91_65
; %bb.53:
	s_bitcmp1_b32 s4, 0
	s_cselect_b64 s[2:3], -1, 0
	s_and_b64 vcc, exec, s[2:3]
	s_mov_b32 s2, s4
	s_cbranch_vccnz .LBB91_58
; %bb.54:
	s_mul_i32 s2, s4, 0xa0
	v_add_u32_e32 v3, s2, v9
	ds_read_b64 v[1:2], v3
	s_cmp_le_i32 s8, s4
	s_cbranch_scc1 .LBB91_57
; %bb.55:
	s_lshl_b32 s3, s23, 3
	s_add_i32 s2, s2, s3
	s_mul_i32 s3, s23, 0xa0
	v_lshl_add_u32 v4, v0, 3, s3
	s_add_i32 s2, s2, -8
	v_add_u32_e32 v4, 0xbe0, v4
	s_mov_b32 s3, s8
.LBB91_56:                              ; =>This Inner Loop Header: Depth=1
	v_mov_b32_e32 v7, s2
	ds_read_b64 v[5:6], v4
	ds_read_b64 v[7:8], v7
	s_add_i32 s3, s3, -1
	s_add_i32 s2, s2, -8
	s_cmp_gt_u32 s3, s4
	v_add_u32_e32 v4, 0xffffff60, v4
	s_waitcnt lgkmcnt(0)
	v_fma_f64 v[1:2], -v[5:6], v[7:8], v[1:2]
	s_cbranch_scc1 .LBB91_56
.LBB91_57:
	s_mul_i32 s2, s4, 0xa8
	v_mov_b32_e32 v4, s2
	ds_read_b64 v[4:5], v4
	s_waitcnt lgkmcnt(0)
	v_div_scale_f64 v[6:7], s[2:3], v[4:5], v[4:5], v[1:2]
	s_add_i32 s2, s4, -1
	v_rcp_f64_e32 v[10:11], v[6:7]
	v_fma_f64 v[12:13], -v[6:7], v[10:11], 1.0
	v_fma_f64 v[10:11], v[10:11], v[12:13], v[10:11]
	v_div_scale_f64 v[12:13], vcc, v[1:2], v[4:5], v[1:2]
	v_fma_f64 v[14:15], -v[6:7], v[10:11], 1.0
	v_fma_f64 v[10:11], v[10:11], v[14:15], v[10:11]
	v_mul_f64 v[14:15], v[12:13], v[10:11]
	v_fma_f64 v[6:7], -v[6:7], v[14:15], v[12:13]
	v_div_fmas_f64 v[6:7], v[6:7], v[10:11], v[14:15]
	v_div_fixup_f64 v[1:2], v[6:7], v[4:5], v[1:2]
	ds_write_b64 v3, v[1:2]
.LBB91_58:
	s_cmp_eq_u32 s4, 0
	s_cbranch_scc1 .LBB91_65
; %bb.59:
	s_mul_i32 s3, s23, 0xa0
	v_lshl_add_u32 v1, v0, 3, s3
	s_mul_i32 s3, s2, 0xa0
	s_lshl_b32 s4, s23, 3
	s_add_i32 s4, s3, s4
	v_add_u32_e32 v5, 0xbe0, v1
	s_add_i32 s3, s4, -8
	s_addk_i32 s4, 0xff58
	s_branch .LBB91_61
.LBB91_60:                              ;   in Loop: Header=BB91_61 Depth=1
	s_addk_i32 s5, 0xff58
	v_mov_b32_e32 v3, s5
	ds_read_b64 v[3:4], v3
	s_add_i32 s2, s2, -2
	s_addk_i32 s3, 0xfec0
	s_addk_i32 s4, 0xfec0
	s_cmp_eq_u32 s6, 0
	s_waitcnt lgkmcnt(0)
	v_div_scale_f64 v[10:11], s[12:13], v[3:4], v[3:4], v[1:2]
	v_div_scale_f64 v[16:17], vcc, v[1:2], v[3:4], v[1:2]
	v_rcp_f64_e32 v[12:13], v[10:11]
	v_fma_f64 v[14:15], -v[10:11], v[12:13], 1.0
	v_fma_f64 v[12:13], v[12:13], v[14:15], v[12:13]
	v_fma_f64 v[14:15], -v[10:11], v[12:13], 1.0
	v_fma_f64 v[12:13], v[12:13], v[14:15], v[12:13]
	v_mul_f64 v[14:15], v[16:17], v[12:13]
	v_fma_f64 v[10:11], -v[10:11], v[14:15], v[16:17]
	v_div_fmas_f64 v[10:11], v[10:11], v[12:13], v[14:15]
	v_div_fixup_f64 v[1:2], v[10:11], v[3:4], v[1:2]
	ds_write_b64 v7, v[1:2]
	s_cbranch_scc1 .LBB91_65
.LBB91_61:                              ; =>This Loop Header: Depth=1
                                        ;     Child Loop BB91_62 Depth 2
                                        ;     Child Loop BB91_64 Depth 2
	s_mul_i32 s5, s2, 0xa0
	v_add_u32_e32 v6, s5, v9
	ds_read_b64 v[3:4], v6
	s_cmp_le_i32 s8, s2
	s_mov_b32 s5, s3
	v_mov_b32_e32 v1, v5
	s_mov_b32 s6, s8
	s_cbranch_scc1 .LBB91_63
.LBB91_62:                              ;   Parent Loop BB91_61 Depth=1
                                        ; =>  This Inner Loop Header: Depth=2
	v_mov_b32_e32 v2, s5
	ds_read_b64 v[7:8], v1
	ds_read_b64 v[10:11], v2
	s_add_i32 s6, s6, -1
	s_add_i32 s5, s5, -8
	s_cmp_le_u32 s6, s2
	v_add_u32_e32 v1, 0xffffff60, v1
	s_waitcnt lgkmcnt(0)
	v_fma_f64 v[3:4], -v[7:8], v[10:11], v[3:4]
	s_cbranch_scc0 .LBB91_62
.LBB91_63:                              ;   in Loop: Header=BB91_61 Depth=1
	s_mul_i32 s5, s2, 0xa8
	v_mov_b32_e32 v1, s5
	ds_read_b64 v[10:11], v1
	v_add_u32_e32 v7, 0xffffff60, v6
	ds_read_b64 v[1:2], v7
	s_mov_b32 s9, s8
	s_waitcnt lgkmcnt(1)
	v_div_scale_f64 v[12:13], s[6:7], v[10:11], v[10:11], v[3:4]
	s_add_i32 s6, s2, -1
	s_mov_b32 s7, s4
	s_cmp_le_i32 s23, s2
	v_rcp_f64_e32 v[14:15], v[12:13]
	v_fma_f64 v[16:17], -v[12:13], v[14:15], 1.0
	v_fma_f64 v[14:15], v[14:15], v[16:17], v[14:15]
	v_div_scale_f64 v[16:17], vcc, v[3:4], v[10:11], v[3:4]
	v_fma_f64 v[18:19], -v[12:13], v[14:15], 1.0
	v_fma_f64 v[14:15], v[14:15], v[18:19], v[14:15]
	v_mul_f64 v[18:19], v[16:17], v[14:15]
	v_fma_f64 v[12:13], -v[12:13], v[18:19], v[16:17]
	v_div_fmas_f64 v[12:13], v[12:13], v[14:15], v[18:19]
	v_div_fixup_f64 v[10:11], v[12:13], v[10:11], v[3:4]
	v_mov_b32_e32 v3, v5
	ds_write_b64 v6, v[10:11]
	s_cbranch_scc1 .LBB91_60
.LBB91_64:                              ;   Parent Loop BB91_61 Depth=1
                                        ; =>  This Inner Loop Header: Depth=2
	v_mov_b32_e32 v4, s7
	ds_read_b64 v[10:11], v3
	ds_read_b64 v[12:13], v4
	s_add_i32 s9, s9, -1
	s_add_i32 s7, s7, -8
	s_cmp_gt_u32 s9, s6
	v_add_u32_e32 v3, 0xffffff60, v3
	s_waitcnt lgkmcnt(0)
	v_fma_f64 v[1:2], -v[10:11], v[12:13], v[1:2]
	s_cbranch_scc1 .LBB91_64
	s_branch .LBB91_60
.LBB91_65:
	s_mov_b64 s[6:7], 0
.LBB91_66:
	s_andn2_b64 vcc, exec, s[6:7]
	s_cbranch_vccnz .LBB91_78
; %bb.67:
	v_mov_b32_e32 v1, 0xc80
	v_lshl_add_u32 v9, v0, 3, v1
	s_cmp_lt_i32 s22, 4
	s_mov_b32 s4, 0
	s_cbranch_scc1 .LBB91_73
; %bb.68:
	s_mov_b32 s2, 0
	s_mov_b32 s3, 0
.LBB91_69:                              ; =>This Loop Header: Depth=1
                                        ;     Child Loop BB91_70 Depth 2
	s_mul_i32 s4, s3, 20
	v_lshl_add_u32 v10, s4, 3, v9
	ds_read2_b64 v[5:8], v10 offset1:20
	ds_read2_b64 v[1:4], v10 offset0:40 offset1:60
	s_cmp_eq_u32 s3, 0
	s_mov_b32 s5, s2
	v_mov_b32_e32 v11, v9
	s_mov_b32 s6, s3
	s_cbranch_scc1 .LBB91_71
.LBB91_70:                              ;   Parent Loop BB91_69 Depth=1
                                        ; =>  This Inner Loop Header: Depth=2
	v_mov_b32_e32 v16, s5
	ds_read_b64 v[20:21], v11
	ds_read2_b64 v[12:15], v16 offset1:20
	ds_read2_b64 v[16:19], v16 offset0:40 offset1:60
	s_add_i32 s6, s6, -1
	s_add_i32 s5, s5, 8
	s_cmp_eq_u32 s6, 0
	s_waitcnt lgkmcnt(1)
	v_fma_f64 v[5:6], -v[20:21], v[12:13], v[5:6]
	v_fma_f64 v[7:8], -v[20:21], v[14:15], v[7:8]
	s_waitcnt lgkmcnt(0)
	v_fma_f64 v[1:2], -v[20:21], v[16:17], v[1:2]
	v_fma_f64 v[3:4], -v[20:21], v[18:19], v[3:4]
	v_add_u32_e32 v11, 0xa0, v11
	s_cbranch_scc0 .LBB91_70
.LBB91_71:                              ;   in Loop: Header=BB91_69 Depth=1
	s_mul_i32 s5, s3, 0xa8
	v_mov_b32_e32 v11, s5
	ds_read_b64 v[15:16], v11
	s_lshl_b32 s4, s4, 3
	s_lshl_b32 s5, s3, 3
	s_add_i32 s4, s4, s5
	v_mov_b32_e32 v25, s4
	s_waitcnt lgkmcnt(0)
	v_div_scale_f64 v[17:18], s[4:5], v[15:16], v[15:16], v[5:6]
	ds_read_b128 v[11:14], v25 offset:160
	s_addk_i32 s2, 0x280
	v_rcp_f64_e32 v[19:20], v[17:18]
	v_fma_f64 v[21:22], -v[17:18], v[19:20], 1.0
	v_fma_f64 v[19:20], v[19:20], v[21:22], v[19:20]
	v_div_scale_f64 v[21:22], vcc, v[5:6], v[15:16], v[5:6]
	v_fma_f64 v[23:24], -v[17:18], v[19:20], 1.0
	v_fma_f64 v[19:20], v[19:20], v[23:24], v[19:20]
	v_mul_f64 v[23:24], v[21:22], v[19:20]
	v_fma_f64 v[17:18], -v[17:18], v[23:24], v[21:22]
	v_div_fmas_f64 v[17:18], v[17:18], v[19:20], v[23:24]
	v_div_fixup_f64 v[15:16], v[17:18], v[15:16], v[5:6]
	s_waitcnt lgkmcnt(0)
	v_fma_f64 v[11:12], -v[15:16], v[11:12], v[7:8]
	v_div_scale_f64 v[5:6], s[4:5], v[13:14], v[13:14], v[11:12]
	v_rcp_f64_e32 v[7:8], v[5:6]
	v_fma_f64 v[17:18], -v[5:6], v[7:8], 1.0
	v_fma_f64 v[7:8], v[7:8], v[17:18], v[7:8]
	v_div_scale_f64 v[17:18], vcc, v[11:12], v[13:14], v[11:12]
	v_fma_f64 v[19:20], -v[5:6], v[7:8], 1.0
	v_fma_f64 v[7:8], v[7:8], v[19:20], v[7:8]
	v_mul_f64 v[19:20], v[17:18], v[7:8]
	v_fma_f64 v[5:6], -v[5:6], v[19:20], v[17:18]
	v_div_fmas_f64 v[17:18], v[5:6], v[7:8], v[19:20]
	ds_read_b128 v[5:8], v25 offset:320
	ds_read_b64 v[19:20], v25 offset:336
	s_waitcnt lgkmcnt(1)
	v_fma_f64 v[1:2], -v[15:16], v[5:6], v[1:2]
	v_div_fixup_f64 v[17:18], v[17:18], v[13:14], v[11:12]
	v_fma_f64 v[1:2], -v[17:18], v[7:8], v[1:2]
	s_waitcnt lgkmcnt(0)
	v_div_scale_f64 v[5:6], s[4:5], v[19:20], v[19:20], v[1:2]
	v_rcp_f64_e32 v[7:8], v[5:6]
	v_fma_f64 v[11:12], -v[5:6], v[7:8], 1.0
	v_fma_f64 v[7:8], v[7:8], v[11:12], v[7:8]
	v_div_scale_f64 v[11:12], vcc, v[1:2], v[19:20], v[1:2]
	v_fma_f64 v[13:14], -v[5:6], v[7:8], 1.0
	v_fma_f64 v[7:8], v[7:8], v[13:14], v[7:8]
	v_mul_f64 v[13:14], v[11:12], v[7:8]
	v_fma_f64 v[5:6], -v[5:6], v[13:14], v[11:12]
	v_div_fmas_f64 v[21:22], v[5:6], v[7:8], v[13:14]
	ds_read_b128 v[5:8], v25 offset:480
	ds_read_b128 v[11:14], v25 offset:496
	ds_write2_b64 v10, v[15:16], v[17:18] offset1:20
	s_waitcnt lgkmcnt(2)
	v_fma_f64 v[3:4], -v[15:16], v[5:6], v[3:4]
	v_fma_f64 v[3:4], -v[17:18], v[7:8], v[3:4]
	v_div_fixup_f64 v[1:2], v[21:22], v[19:20], v[1:2]
	s_waitcnt lgkmcnt(1)
	v_fma_f64 v[3:4], -v[1:2], v[11:12], v[3:4]
	v_div_scale_f64 v[5:6], s[4:5], v[13:14], v[13:14], v[3:4]
	v_div_scale_f64 v[19:20], vcc, v[3:4], v[13:14], v[3:4]
	s_add_i32 s4, s3, 4
	s_add_i32 s3, s3, 7
	s_cmp_ge_i32 s3, s23
	v_rcp_f64_e32 v[7:8], v[5:6]
	v_fma_f64 v[11:12], -v[5:6], v[7:8], 1.0
	v_fma_f64 v[7:8], v[7:8], v[11:12], v[7:8]
	v_fma_f64 v[11:12], -v[5:6], v[7:8], 1.0
	v_fma_f64 v[7:8], v[7:8], v[11:12], v[7:8]
	v_mul_f64 v[11:12], v[19:20], v[7:8]
	v_fma_f64 v[5:6], -v[5:6], v[11:12], v[19:20]
	v_div_fmas_f64 v[5:6], v[5:6], v[7:8], v[11:12]
	v_div_fixup_f64 v[3:4], v[5:6], v[13:14], v[3:4]
	ds_write2_b64 v10, v[1:2], v[3:4] offset0:40 offset1:60
	s_cbranch_scc1 .LBB91_73
; %bb.72:                               ;   in Loop: Header=BB91_69 Depth=1
	s_mov_b32 s3, s4
	s_branch .LBB91_69
.LBB91_73:
	s_cmp_ge_i32 s4, s23
	s_cbranch_scc1 .LBB91_78
; %bb.74:
	v_mov_b32_e32 v1, 0xc80
	v_lshl_add_u32 v3, v0, 3, v1
	s_mul_i32 s2, s4, 0xa0
	s_branch .LBB91_76
.LBB91_75:                              ;   in Loop: Header=BB91_76 Depth=1
	s_mul_i32 s3, s4, 0xa8
	v_mov_b32_e32 v5, s3
	ds_read_b64 v[5:6], v5
	s_add_i32 s4, s4, 1
	s_addk_i32 s2, 0xa0
	s_cmp_ge_i32 s4, s23
	s_waitcnt lgkmcnt(0)
	v_div_scale_f64 v[7:8], s[6:7], v[5:6], v[5:6], v[1:2]
	v_div_scale_f64 v[14:15], vcc, v[1:2], v[5:6], v[1:2]
	v_rcp_f64_e32 v[10:11], v[7:8]
	v_fma_f64 v[12:13], -v[7:8], v[10:11], 1.0
	v_fma_f64 v[10:11], v[10:11], v[12:13], v[10:11]
	v_fma_f64 v[12:13], -v[7:8], v[10:11], 1.0
	v_fma_f64 v[10:11], v[10:11], v[12:13], v[10:11]
	v_mul_f64 v[12:13], v[14:15], v[10:11]
	v_fma_f64 v[7:8], -v[7:8], v[12:13], v[14:15]
	v_div_fmas_f64 v[7:8], v[7:8], v[10:11], v[12:13]
	v_div_fixup_f64 v[1:2], v[7:8], v[5:6], v[1:2]
	ds_write_b64 v4, v[1:2]
	s_cbranch_scc1 .LBB91_78
.LBB91_76:                              ; =>This Loop Header: Depth=1
                                        ;     Child Loop BB91_77 Depth 2
	s_mul_i32 s3, s4, 0xa0
	v_add_u32_e32 v4, s3, v9
	ds_read_b64 v[1:2], v4
	s_cmp_eq_u32 s4, 0
	s_mov_b32 s3, s2
	v_mov_b32_e32 v5, v3
	s_mov_b32 s5, s4
	s_cbranch_scc1 .LBB91_75
.LBB91_77:                              ;   Parent Loop BB91_76 Depth=1
                                        ; =>  This Inner Loop Header: Depth=2
	v_mov_b32_e32 v8, s3
	ds_read_b64 v[6:7], v5
	ds_read_b64 v[10:11], v8
	s_add_i32 s5, s5, -1
	s_add_i32 s3, s3, 8
	s_cmp_eq_u32 s5, 0
	v_add_u32_e32 v5, 0xa0, v5
	s_waitcnt lgkmcnt(0)
	v_fma_f64 v[1:2], -v[6:7], v[10:11], v[1:2]
	s_cbranch_scc0 .LBB91_77
	s_branch .LBB91_75
.LBB91_78:
	s_and_saveexec_b64 s[2:3], s[0:1]
	s_cbranch_execz .LBB91_82
; %bb.79:
	s_cmp_lt_i32 s22, 1
	s_cbranch_scc1 .LBB91_82
; %bb.80:
	s_ashr_i32 s11, s10, 31
	v_lshlrev_b32_e32 v2, 3, v0
	v_mov_b32_e32 v1, s15
	v_add_co_u32_e32 v0, vcc, s14, v2
	s_lshl_b64 s[0:1], s[10:11], 3
	v_addc_co_u32_e32 v1, vcc, 0, v1, vcc
	v_add_u32_e32 v2, 0xc80, v2
	v_mov_b32_e32 v3, s1
.LBB91_81:                              ; =>This Inner Loop Header: Depth=1
	ds_read_b64 v[4:5], v2
	s_add_i32 s22, s22, -1
	v_add_u32_e32 v2, 0xa0, v2
	s_cmp_lg_u32 s22, 0
	s_waitcnt lgkmcnt(0)
	global_store_dwordx2 v[0:1], v[4:5], off
	v_add_co_u32_e32 v0, vcc, s0, v0
	v_addc_co_u32_e32 v1, vcc, v1, v3, vcc
	s_cbranch_scc1 .LBB91_81
.LBB91_82:
	s_endpgm
	.section	.rodata,"a",@progbits
	.p2align	6, 0x0
	.amdhsa_kernel _ZL31rocblas_trsm_small_right_deviceIddPKdPdLi20EEv13rocblas_fill_18rocblas_operation_17rocblas_diagonal_iiT0_T1_lilT2_lili
		.amdhsa_group_segment_fixed_size 6400
		.amdhsa_private_segment_fixed_size 0
		.amdhsa_kernarg_size 360
		.amdhsa_user_sgpr_count 6
		.amdhsa_user_sgpr_private_segment_buffer 1
		.amdhsa_user_sgpr_dispatch_ptr 0
		.amdhsa_user_sgpr_queue_ptr 0
		.amdhsa_user_sgpr_kernarg_segment_ptr 1
		.amdhsa_user_sgpr_dispatch_id 0
		.amdhsa_user_sgpr_flat_scratch_init 0
		.amdhsa_user_sgpr_private_segment_size 0
		.amdhsa_uses_dynamic_stack 0
		.amdhsa_system_sgpr_private_segment_wavefront_offset 0
		.amdhsa_system_sgpr_workgroup_id_x 1
		.amdhsa_system_sgpr_workgroup_id_y 0
		.amdhsa_system_sgpr_workgroup_id_z 1
		.amdhsa_system_sgpr_workgroup_info 0
		.amdhsa_system_vgpr_workitem_id 0
		.amdhsa_next_free_vgpr 65
		.amdhsa_next_free_sgpr 98
		.amdhsa_reserve_vcc 1
		.amdhsa_reserve_flat_scratch 0
		.amdhsa_float_round_mode_32 0
		.amdhsa_float_round_mode_16_64 0
		.amdhsa_float_denorm_mode_32 3
		.amdhsa_float_denorm_mode_16_64 3
		.amdhsa_dx10_clamp 1
		.amdhsa_ieee_mode 1
		.amdhsa_fp16_overflow 0
		.amdhsa_exception_fp_ieee_invalid_op 0
		.amdhsa_exception_fp_denorm_src 0
		.amdhsa_exception_fp_ieee_div_zero 0
		.amdhsa_exception_fp_ieee_overflow 0
		.amdhsa_exception_fp_ieee_underflow 0
		.amdhsa_exception_fp_ieee_inexact 0
		.amdhsa_exception_int_div_zero 0
	.end_amdhsa_kernel
	.section	.text._ZL31rocblas_trsm_small_right_deviceIddPKdPdLi20EEv13rocblas_fill_18rocblas_operation_17rocblas_diagonal_iiT0_T1_lilT2_lili,"axG",@progbits,_ZL31rocblas_trsm_small_right_deviceIddPKdPdLi20EEv13rocblas_fill_18rocblas_operation_17rocblas_diagonal_iiT0_T1_lilT2_lili,comdat
.Lfunc_end91:
	.size	_ZL31rocblas_trsm_small_right_deviceIddPKdPdLi20EEv13rocblas_fill_18rocblas_operation_17rocblas_diagonal_iiT0_T1_lilT2_lili, .Lfunc_end91-_ZL31rocblas_trsm_small_right_deviceIddPKdPdLi20EEv13rocblas_fill_18rocblas_operation_17rocblas_diagonal_iiT0_T1_lilT2_lili
                                        ; -- End function
	.set _ZL31rocblas_trsm_small_right_deviceIddPKdPdLi20EEv13rocblas_fill_18rocblas_operation_17rocblas_diagonal_iiT0_T1_lilT2_lili.num_vgpr, 34
	.set _ZL31rocblas_trsm_small_right_deviceIddPKdPdLi20EEv13rocblas_fill_18rocblas_operation_17rocblas_diagonal_iiT0_T1_lilT2_lili.num_agpr, 0
	.set _ZL31rocblas_trsm_small_right_deviceIddPKdPdLi20EEv13rocblas_fill_18rocblas_operation_17rocblas_diagonal_iiT0_T1_lilT2_lili.numbered_sgpr, 26
	.set _ZL31rocblas_trsm_small_right_deviceIddPKdPdLi20EEv13rocblas_fill_18rocblas_operation_17rocblas_diagonal_iiT0_T1_lilT2_lili.num_named_barrier, 0
	.set _ZL31rocblas_trsm_small_right_deviceIddPKdPdLi20EEv13rocblas_fill_18rocblas_operation_17rocblas_diagonal_iiT0_T1_lilT2_lili.private_seg_size, 0
	.set _ZL31rocblas_trsm_small_right_deviceIddPKdPdLi20EEv13rocblas_fill_18rocblas_operation_17rocblas_diagonal_iiT0_T1_lilT2_lili.uses_vcc, 1
	.set _ZL31rocblas_trsm_small_right_deviceIddPKdPdLi20EEv13rocblas_fill_18rocblas_operation_17rocblas_diagonal_iiT0_T1_lilT2_lili.uses_flat_scratch, 0
	.set _ZL31rocblas_trsm_small_right_deviceIddPKdPdLi20EEv13rocblas_fill_18rocblas_operation_17rocblas_diagonal_iiT0_T1_lilT2_lili.has_dyn_sized_stack, 0
	.set _ZL31rocblas_trsm_small_right_deviceIddPKdPdLi20EEv13rocblas_fill_18rocblas_operation_17rocblas_diagonal_iiT0_T1_lilT2_lili.has_recursion, 0
	.set _ZL31rocblas_trsm_small_right_deviceIddPKdPdLi20EEv13rocblas_fill_18rocblas_operation_17rocblas_diagonal_iiT0_T1_lilT2_lili.has_indirect_call, 0
	.section	.AMDGPU.csdata,"",@progbits
; Kernel info:
; codeLenInByte = 5924
; TotalNumSgprs: 30
; NumVgprs: 34
; ScratchSize: 0
; MemoryBound: 0
; FloatMode: 240
; IeeeMode: 1
; LDSByteSize: 6400 bytes/workgroup (compile time only)
; SGPRBlocks: 12
; VGPRBlocks: 16
; NumSGPRsForWavesPerEU: 102
; NumVGPRsForWavesPerEU: 65
; Occupancy: 3
; WaveLimiterHint : 0
; COMPUTE_PGM_RSRC2:SCRATCH_EN: 0
; COMPUTE_PGM_RSRC2:USER_SGPR: 6
; COMPUTE_PGM_RSRC2:TRAP_HANDLER: 0
; COMPUTE_PGM_RSRC2:TGID_X_EN: 1
; COMPUTE_PGM_RSRC2:TGID_Y_EN: 0
; COMPUTE_PGM_RSRC2:TGID_Z_EN: 1
; COMPUTE_PGM_RSRC2:TIDIG_COMP_CNT: 0
	.section	.text._ZL38rocblas_trsm_small_left_device_sharedBILi24ELi24ELb0EddPKdPdEv13rocblas_fill_18rocblas_operation_17rocblas_diagonal_iiT3_T4_lilT5_lili,"axG",@progbits,_ZL38rocblas_trsm_small_left_device_sharedBILi24ELi24ELb0EddPKdPdEv13rocblas_fill_18rocblas_operation_17rocblas_diagonal_iiT3_T4_lilT5_lili,comdat
	.globl	_ZL38rocblas_trsm_small_left_device_sharedBILi24ELi24ELb0EddPKdPdEv13rocblas_fill_18rocblas_operation_17rocblas_diagonal_iiT3_T4_lilT5_lili ; -- Begin function _ZL38rocblas_trsm_small_left_device_sharedBILi24ELi24ELb0EddPKdPdEv13rocblas_fill_18rocblas_operation_17rocblas_diagonal_iiT3_T4_lilT5_lili
	.p2align	8
	.type	_ZL38rocblas_trsm_small_left_device_sharedBILi24ELi24ELb0EddPKdPdEv13rocblas_fill_18rocblas_operation_17rocblas_diagonal_iiT3_T4_lilT5_lili,@function
_ZL38rocblas_trsm_small_left_device_sharedBILi24ELi24ELb0EddPKdPdEv13rocblas_fill_18rocblas_operation_17rocblas_diagonal_iiT3_T4_lilT5_lili: ; @_ZL38rocblas_trsm_small_left_device_sharedBILi24ELi24ELb0EddPKdPdEv13rocblas_fill_18rocblas_operation_17rocblas_diagonal_iiT3_T4_lilT5_lili
; %bb.0:
	s_load_dwordx4 s[8:11], s[4:5], 0x4
	s_load_dwordx4 s[12:15], s[4:5], 0x18
	s_load_dwordx2 s[20:21], s[4:5], 0x28
	s_load_dwordx4 s[0:3], s[4:5], 0x38
	s_load_dwordx2 s[16:17], s[4:5], 0x48
	s_waitcnt lgkmcnt(0)
	s_min_i32 s22, s10, 24
	v_cmp_gt_i32_e32 vcc, s22, v0
	s_and_saveexec_b64 s[18:19], vcc
	s_cbranch_execz .LBB92_6
; %bb.1:
	s_load_dword s24, s[4:5], 0x30
	s_mul_i32 s1, s1, s7
	s_mul_hi_u32 s23, s0, s7
	s_mul_i32 s0, s0, s7
	s_add_i32 s1, s23, s1
	s_waitcnt lgkmcnt(0)
	s_ashr_i32 s25, s24, 31
	s_lshl_b64 s[0:1], s[0:1], 3
	s_add_u32 s14, s14, s0
	s_addc_u32 s15, s15, s1
	s_lshl_b64 s[0:1], s[20:21], 3
	s_add_u32 s0, s14, s0
	s_addc_u32 s1, s15, s1
	v_lshlrev_b32_e32 v3, 3, v0
	v_mov_b32_e32 v2, s1
	v_add_co_u32_e32 v1, vcc, s0, v3
	s_lshl_b64 s[0:1], s[24:25], 3
	v_addc_co_u32_e32 v2, vcc, 0, v2, vcc
	v_mov_b32_e32 v4, s1
	v_mov_b32_e32 v5, v3
	s_mov_b32 s1, s22
.LBB92_2:                               ; =>This Inner Loop Header: Depth=1
	global_load_dwordx2 v[6:7], v[1:2], off
	v_add_co_u32_e32 v1, vcc, s0, v1
	s_add_i32 s1, s1, -1
	v_addc_co_u32_e32 v2, vcc, v2, v4, vcc
	s_cmp_eq_u32 s1, 0
	s_waitcnt vmcnt(0)
	ds_write_b64 v5, v[6:7]
	v_add_u32_e32 v5, 0xc0, v5
	s_cbranch_scc0 .LBB92_2
; %bb.3:
	v_mul_u32_u24_e32 v4, 0xc0, v0
	v_mov_b32_e32 v1, 0
	s_cmpk_lg_i32 s9, 0x84
	v_mov_b32_e32 v2, 0x3ff00000
	v_add_u32_e32 v3, v3, v4
	s_cbranch_scc0 .LBB92_5
; %bb.4:
	ds_read_b64 v[1:2], v3
	s_waitcnt lgkmcnt(0)
	v_div_scale_f64 v[4:5], s[0:1], v[1:2], v[1:2], 1.0
	v_div_scale_f64 v[10:11], vcc, 1.0, v[1:2], 1.0
	v_rcp_f64_e32 v[6:7], v[4:5]
	v_fma_f64 v[8:9], -v[4:5], v[6:7], 1.0
	v_fma_f64 v[6:7], v[6:7], v[8:9], v[6:7]
	v_fma_f64 v[8:9], -v[4:5], v[6:7], 1.0
	v_fma_f64 v[6:7], v[6:7], v[8:9], v[6:7]
	v_mul_f64 v[8:9], v[10:11], v[6:7]
	v_fma_f64 v[4:5], -v[4:5], v[8:9], v[10:11]
	v_div_fmas_f64 v[4:5], v[4:5], v[6:7], v[8:9]
	v_div_fixup_f64 v[1:2], v[4:5], v[1:2], 1.0
.LBB92_5:
	ds_write_b64 v3, v[1:2]
.LBB92_6:
	s_or_b64 exec, exec, s[18:19]
	s_load_dword s0, s[4:5], 0x68
	s_load_dwordx2 s[14:15], s[4:5], 0x58
	s_load_dword s9, s[4:5], 0x50
	s_waitcnt lgkmcnt(0)
	s_mul_i32 s1, s15, s7
	s_mul_hi_u32 s5, s14, s7
	s_mul_i32 s4, s14, s7
	s_add_i32 s5, s5, s1
	s_lshl_b64 s[4:5], s[4:5], 3
	s_add_u32 s1, s2, s4
	s_addc_u32 s4, s3, s5
	s_lshl_b64 s[2:3], s[16:17], 3
	s_add_u32 s2, s1, s2
	s_mul_i32 s1, s6, 0xffffffe8
	s_addc_u32 s3, s4, s3
	s_add_i32 s0, s0, -1
	s_add_i32 s1, s11, s1
	s_cmp_ge_u32 s6, s0
	s_mul_i32 s6, s6, 24
	s_cselect_b32 s4, s1, 24
	s_mul_hi_i32 s1, s9, s6
	s_mul_i32 s0, s9, s6
	s_lshl_b64 s[0:1], s[0:1], 3
	s_add_u32 s6, s2, s0
	s_addc_u32 s7, s3, s1
	s_cmp_gt_i32 s10, 0
	v_cmp_gt_i32_e64 s[0:1], s4, v0
	s_cselect_b64 s[2:3], -1, 0
	s_and_b64 s[14:15], s[0:1], s[2:3]
	s_and_saveexec_b64 s[4:5], s[14:15]
	s_cbranch_execz .LBB92_9
; %bb.7:
	v_mad_i64_i32 v[1:2], s[14:15], s9, v0, 0
	v_mov_b32_e32 v3, s7
	s_mov_b32 s11, s22
	v_lshlrev_b64 v[1:2], 3, v[1:2]
	v_add_co_u32_e32 v1, vcc, s6, v1
	v_addc_co_u32_e32 v2, vcc, v3, v2, vcc
	v_mov_b32_e32 v3, 0x1200
	v_lshl_or_b32 v3, v0, 3, v3
.LBB92_8:                               ; =>This Inner Loop Header: Depth=1
	global_load_dwordx2 v[4:5], v[1:2], off
	s_add_i32 s11, s11, -1
	v_add_co_u32_e32 v1, vcc, 8, v1
	v_addc_co_u32_e32 v2, vcc, 0, v2, vcc
	s_cmp_lg_u32 s11, 0
	s_waitcnt vmcnt(0)
	v_mul_f64 v[4:5], s[12:13], v[4:5]
	ds_write_b64 v3, v[4:5]
	v_add_u32_e32 v3, 0xc0, v3
	s_cbranch_scc1 .LBB92_8
.LBB92_9:
	s_or_b64 exec, exec, s[4:5]
	v_mov_b32_e32 v1, 0x1200
	s_cmpk_eq_i32 s8, 0x6f
	v_lshl_or_b32 v53, v0, 3, v1
	s_mov_b64 s[4:5], -1
	s_waitcnt lgkmcnt(0)
	; wave barrier
	s_cbranch_scc1 .LBB92_24
; %bb.10:
	s_cmp_gt_i32 s10, 23
	s_cselect_b64 s[4:5], -1, 0
	s_mov_b32 s8, 0
	s_and_b64 vcc, exec, s[4:5]
	s_cbranch_vccz .LBB92_12
; %bb.11:
	v_mov_b32_e32 v33, 0
	ds_read2_b64 v[1:4], v53 offset1:24
	ds_read2_b64 v[7:10], v33 offset1:50
	ds_read_b128 v[11:14], v33 offset:192
	ds_read_b128 v[15:18], v33 offset:384
	v_add_u32_e32 v34, 0x400, v53
	v_add_u32_e32 v35, 0x800, v53
	s_movk_i32 s8, 0x800
	s_waitcnt lgkmcnt(2)
	v_mul_f64 v[5:6], v[7:8], v[1:2]
	v_add_u32_e64 v52, s8, 0
	s_movk_i32 s8, 0xc00
	s_waitcnt lgkmcnt(1)
	v_fma_f64 v[7:8], -v[5:6], v[11:12], v[3:4]
	ds_read2_b64 v[1:4], v53 offset0:48 offset1:72
	ds_read2_b64 v[19:22], v53 offset0:96 offset1:120
	;; [unrolled: 1-line block ×4, first 2 shown]
	s_waitcnt lgkmcnt(3)
	v_fma_f64 v[1:2], -v[5:6], v[15:16], v[1:2]
	v_mul_f64 v[7:8], v[13:14], v[7:8]
	ds_read_b128 v[11:14], v33 offset:576
	ds_read2_b64 v[36:39], v34 offset0:112 offset1:136
	ds_read2_b64 v[40:43], v35 offset0:32 offset1:56
	ds_read_b128 v[44:47], v33 offset:592
	s_waitcnt lgkmcnt(3)
	v_fma_f64 v[11:12], -v[5:6], v[11:12], v[3:4]
	v_fma_f64 v[31:32], -v[7:8], v[17:18], v[1:2]
	ds_read_b128 v[15:18], v33 offset:768
	ds_read2_b64 v[48:51], v35 offset0:80 offset1:104
	ds_read2_b64 v[1:4], v35 offset0:128 offset1:152
	ds_read_b128 v[54:57], v33 offset:784
	ds_read2_b64 v[58:61], v33 offset0:100 offset1:150
	s_waitcnt lgkmcnt(4)
	v_fma_f64 v[15:16], -v[5:6], v[15:16], v[19:20]
	v_fma_f64 v[19:20], -v[7:8], v[13:14], v[11:12]
	ds_read_b128 v[11:14], v33 offset:960
	ds_read_b128 v[62:65], v33 offset:976
	;; [unrolled: 1-line block ×6, first 2 shown]
	v_mul_f64 v[9:10], v[9:10], v[31:32]
	s_waitcnt lgkmcnt(5)
	v_fma_f64 v[11:12], -v[5:6], v[11:12], v[21:22]
	v_fma_f64 v[31:32], -v[7:8], v[17:18], v[15:16]
	s_waitcnt lgkmcnt(2)
	v_fma_f64 v[23:24], -v[5:6], v[70:71], v[23:24]
	v_fma_f64 v[44:45], -v[9:10], v[44:45], v[19:20]
	;; [unrolled: 1-line block ×4, first 2 shown]
	ds_read_b128 v[15:18], v33 offset:1344
	ds_read_b128 v[19:22], v33 offset:1360
	;; [unrolled: 1-line block ×4, first 2 shown]
	v_fma_f64 v[102:103], -v[7:8], v[72:73], v[23:24]
	s_waitcnt lgkmcnt(3)
	v_fma_f64 v[15:16], -v[5:6], v[15:16], v[25:26]
	v_mul_f64 v[11:12], v[46:47], v[44:45]
	v_fma_f64 v[13:14], -v[9:10], v[62:63], v[13:14]
	ds_read_b128 v[44:47], v33 offset:1536
	ds_read_b128 v[90:93], v33 offset:1552
	;; [unrolled: 1-line block ×4, first 2 shown]
	s_waitcnt lgkmcnt(3)
	v_fma_f64 v[27:28], -v[5:6], v[44:45], v[27:28]
	v_fma_f64 v[44:45], -v[7:8], v[17:18], v[15:16]
	;; [unrolled: 1-line block ×5, first 2 shown]
	ds_read2_b64 v[23:26], v33 offset0:200 offset1:250
	ds_read_b128 v[54:57], v33 offset:1728
	ds_read_b128 v[70:73], v33 offset:1744
	;; [unrolled: 1-line block ×6, first 2 shown]
	v_fma_f64 v[19:20], -v[9:10], v[19:20], v[44:45]
	s_waitcnt lgkmcnt(0)
	v_fma_f64 v[36:37], -v[5:6], v[15:16], v[36:37]
	v_mul_f64 v[13:14], v[58:59], v[31:32]
	v_fma_f64 v[31:32], -v[5:6], v[54:55], v[29:30]
	v_fma_f64 v[54:55], -v[7:8], v[46:47], v[27:28]
	;; [unrolled: 1-line block ×3, first 2 shown]
	ds_read_b128 v[27:30], v33 offset:1936
	ds_read_b128 v[44:47], v33 offset:1952
	ds_read_b128 v[74:77], v33 offset:2112
	v_fma_f64 v[17:18], -v[7:8], v[17:18], v[36:37]
	v_fma_f64 v[66:67], -v[13:14], v[66:67], v[110:111]
	;; [unrolled: 1-line block ×6, first 2 shown]
	ds_read_b128 v[19:22], v33 offset:2128
	ds_read_b128 v[54:57], v33 offset:2304
	s_waitcnt lgkmcnt(4)
	v_fma_f64 v[27:28], -v[9:10], v[27:28], v[17:18]
	v_mul_f64 v[15:16], v[68:69], v[66:67]
	s_waitcnt lgkmcnt(2)
	v_fma_f64 v[66:67], -v[5:6], v[74:75], v[38:39]
	v_fma_f64 v[31:32], -v[9:10], v[70:71], v[31:32]
	;; [unrolled: 1-line block ×4, first 2 shown]
	s_waitcnt lgkmcnt(0)
	v_fma_f64 v[40:41], -v[5:6], v[54:55], v[40:41]
	ds_read_b128 v[36:39], v33 offset:2320
	v_add_u32_e32 v92, 0x1000, v53
	v_fma_f64 v[58:59], -v[15:16], v[80:81], v[58:59]
	v_fma_f64 v[54:55], -v[7:8], v[76:77], v[66:67]
	;; [unrolled: 1-line block ×6, first 2 shown]
	v_mul_f64 v[17:18], v[60:61], v[58:59]
	ds_read_b128 v[58:61], v33 offset:1968
	ds_read_b128 v[66:69], v33 offset:1984
	;; [unrolled: 1-line block ×3, first 2 shown]
	v_fma_f64 v[19:20], -v[9:10], v[19:20], v[54:55]
	v_fma_f64 v[54:55], -v[11:12], v[29:30], v[27:28]
	;; [unrolled: 1-line block ×4, first 2 shown]
	s_waitcnt lgkmcnt(0)
	v_fma_f64 v[70:71], -v[5:6], v[70:71], v[42:43]
	v_fma_f64 v[36:37], -v[9:10], v[36:37], v[40:41]
	;; [unrolled: 1-line block ×3, first 2 shown]
	ds_read_b128 v[27:30], v33 offset:2512
	v_fma_f64 v[21:22], -v[11:12], v[21:22], v[19:20]
	v_fma_f64 v[44:45], -v[13:14], v[44:45], v[54:55]
	;; [unrolled: 1-line block ×6, first 2 shown]
	v_mul_f64 v[19:20], v[88:89], v[62:63]
	ds_read_b128 v[40:43], v33 offset:2144
	ds_read_b128 v[54:57], v33 offset:2160
	ds_read_b128 v[62:65], v33 offset:2336
	s_waitcnt lgkmcnt(2)
	v_fma_f64 v[21:22], -v[13:14], v[40:41], v[21:22]
	v_fma_f64 v[40:41], -v[15:16], v[46:47], v[44:45]
	;; [unrolled: 1-line block ×5, first 2 shown]
	ds_read_b128 v[36:39], v33 offset:2352
	ds_read_b128 v[44:47], v33 offset:2688
	s_waitcnt lgkmcnt(2)
	v_fma_f64 v[62:63], -v[13:14], v[62:63], v[72:73]
	v_fma_f64 v[78:79], -v[15:16], v[42:43], v[21:22]
	;; [unrolled: 1-line block ×4, first 2 shown]
	v_mul_f64 v[21:22], v[23:24], v[74:75]
	s_waitcnt lgkmcnt(0)
	v_fma_f64 v[23:24], -v[5:6], v[44:45], v[48:49]
	v_fma_f64 v[44:45], -v[11:12], v[29:30], v[27:28]
	ds_read_b128 v[40:43], v33 offset:2176
	ds_read_b128 v[70:73], v33 offset:2192
	;; [unrolled: 1-line block ×3, first 2 shown]
	v_fma_f64 v[48:49], -v[15:16], v[64:65], v[62:63]
	v_fma_f64 v[54:55], -v[17:18], v[54:55], v[78:79]
	;; [unrolled: 1-line block ×3, first 2 shown]
	ds_read_b128 v[27:30], v33 offset:2544
	ds_read_b128 v[58:61], v33 offset:2880
	v_fma_f64 v[31:32], -v[21:22], v[106:107], v[31:32]
	v_fma_f64 v[78:79], -v[7:8], v[46:47], v[23:24]
	s_waitcnt lgkmcnt(2)
	v_fma_f64 v[74:75], -v[13:14], v[74:75], v[44:45]
	v_fma_f64 v[36:37], -v[17:18], v[36:37], v[48:49]
	;; [unrolled: 1-line block ×4, first 2 shown]
	ds_read_b128 v[44:47], v33 offset:2704
	ds_read_b128 v[54:57], v33 offset:2720
	;; [unrolled: 1-line block ×3, first 2 shown]
	v_mul_f64 v[23:24], v[108:109], v[31:32]
	s_waitcnt lgkmcnt(3)
	v_fma_f64 v[31:32], -v[5:6], v[58:59], v[50:51]
	v_fma_f64 v[58:59], -v[15:16], v[76:77], v[74:75]
	s_waitcnt lgkmcnt(2)
	v_fma_f64 v[44:45], -v[9:10], v[44:45], v[78:79]
	v_fma_f64 v[74:75], -v[19:20], v[38:39], v[36:37]
	;; [unrolled: 1-line block ×3, first 2 shown]
	ds_read_b128 v[36:39], v33 offset:2368
	ds_read_b128 v[48:51], v33 offset:2384
	v_fma_f64 v[66:67], -v[23:24], v[68:69], v[66:67]
	v_fma_f64 v[31:32], -v[7:8], v[60:61], v[31:32]
	;; [unrolled: 1-line block ×4, first 2 shown]
	s_waitcnt lgkmcnt(1)
	v_fma_f64 v[36:37], -v[21:22], v[36:37], v[74:75]
	v_fma_f64 v[74:75], -v[23:24], v[42:43], v[40:41]
	ds_read_b128 v[40:43], v33 offset:2560
	ds_read_b128 v[44:47], v33 offset:2576
	v_mul_f64 v[25:26], v[25:26], v[66:67]
	v_fma_f64 v[31:32], -v[9:10], v[62:63], v[31:32]
	v_fma_f64 v[66:67], -v[19:20], v[29:30], v[27:28]
	ds_read_b128 v[27:30], v33 offset:3072
	ds_read_b128 v[58:61], v33 offset:3088
	v_fma_f64 v[62:63], -v[23:24], v[38:39], v[36:37]
	v_fma_f64 v[54:55], -v[13:14], v[54:55], v[68:69]
	s_waitcnt lgkmcnt(1)
	v_fma_f64 v[27:28], -v[5:6], v[27:28], v[1:2]
	v_fma_f64 v[70:71], -v[25:26], v[70:71], v[74:75]
	;; [unrolled: 1-line block ×4, first 2 shown]
	ds_read_b128 v[36:39], v33 offset:2736
	ds_read_b128 v[66:69], v33 offset:2752
	v_fma_f64 v[48:49], -v[25:26], v[48:49], v[62:63]
	v_fma_f64 v[64:65], -v[15:16], v[56:57], v[54:55]
	;; [unrolled: 1-line block ×3, first 2 shown]
	ds_read_b128 v[27:30], v33 offset:2912
	v_mul_f64 v[1:2], v[72:73], v[70:71]
	v_fma_f64 v[70:71], -v[23:24], v[42:43], v[40:41]
	ds_read_b128 v[40:43], v33 offset:2928
	ds_read_b128 v[54:57], v33 offset:3264
	s_waitcnt lgkmcnt(2)
	v_fma_f64 v[27:28], -v[13:14], v[27:28], v[31:32]
	v_fma_f64 v[36:37], -v[17:18], v[36:37], v[64:65]
	;; [unrolled: 1-line block ×3, first 2 shown]
	s_waitcnt lgkmcnt(0)
	v_fma_f64 v[54:55], -v[5:6], v[54:55], v[3:4]
	v_fma_f64 v[31:32], -v[1:2], v[50:51], v[48:49]
	;; [unrolled: 1-line block ×3, first 2 shown]
	ds_read2_b64 v[48:51], v52 offset0:44 offset1:94
	ds_read_b128 v[62:65], v33 offset:3280
	v_fma_f64 v[72:73], -v[15:16], v[29:30], v[27:28]
	v_fma_f64 v[70:71], -v[19:20], v[38:39], v[36:37]
	;; [unrolled: 1-line block ×3, first 2 shown]
	ds_read_b128 v[36:39], v33 offset:3104
	s_waitcnt lgkmcnt(2)
	v_mul_f64 v[3:4], v[48:49], v[31:32]
	v_fma_f64 v[31:32], -v[1:2], v[46:47], v[44:45]
	v_fma_f64 v[48:49], -v[7:8], v[56:57], v[54:55]
	ds_read_b128 v[27:30], v33 offset:2592
	v_fma_f64 v[40:41], -v[17:18], v[40:41], v[72:73]
	ds_read_b128 v[44:47], v33 offset:3120
	s_waitcnt lgkmcnt(2)
	v_fma_f64 v[36:37], -v[13:14], v[36:37], v[58:59]
	v_fma_f64 v[60:61], -v[21:22], v[66:67], v[70:71]
	ds_read2_b64 v[54:57], v35 offset0:176 offset1:200
	v_fma_f64 v[70:71], -v[19:20], v[42:43], v[40:41]
	ds_read_b128 v[40:43], v33 offset:2944
	s_waitcnt lgkmcnt(3)
	v_fma_f64 v[27:28], -v[3:4], v[27:28], v[31:32]
	v_fma_f64 v[31:32], -v[9:10], v[62:63], v[48:49]
	;; [unrolled: 1-line block ×4, first 2 shown]
	ds_read_b128 v[36:39], v33 offset:2768
	ds_read_b128 v[58:61], v33 offset:2784
	ds_read_b128 v[66:69], v33 offset:2960
	s_waitcnt lgkmcnt(3)
	v_fma_f64 v[40:41], -v[21:22], v[40:41], v[70:71]
	ds_read_b128 v[70:73], v33 offset:3296
	v_mul_f64 v[27:28], v[29:30], v[27:28]
	v_fma_f64 v[31:32], -v[11:12], v[64:65], v[31:32]
	ds_read_b128 v[62:65], v33 offset:3456
	v_fma_f64 v[44:45], -v[17:18], v[44:45], v[74:75]
	s_waitcnt lgkmcnt(4)
	v_fma_f64 v[36:37], -v[25:26], v[36:37], v[48:49]
	ds_read_b128 v[74:77], v33 offset:3312
	v_fma_f64 v[40:41], -v[23:24], v[42:43], v[40:41]
	s_waitcnt lgkmcnt(1)
	v_fma_f64 v[48:49], -v[5:6], v[62:63], v[54:55]
	v_fma_f64 v[54:55], -v[13:14], v[70:71], v[31:32]
	ds_read_b128 v[29:32], v33 offset:3136
	v_fma_f64 v[44:45], -v[19:20], v[46:47], v[44:45]
	v_fma_f64 v[62:63], -v[1:2], v[38:39], v[36:37]
	ds_read_b128 v[36:39], v33 offset:3472
	v_fma_f64 v[48:49], -v[7:8], v[64:65], v[48:49]
	v_fma_f64 v[64:65], -v[25:26], v[66:67], v[40:41]
	v_fma_f64 v[54:55], -v[15:16], v[72:73], v[54:55]
	ds_read_b128 v[40:43], v33 offset:3152
	s_waitcnt lgkmcnt(2)
	v_fma_f64 v[29:30], -v[21:22], v[29:30], v[44:45]
	ds_read_b128 v[44:47], v33 offset:3488
	ds_read_b128 v[70:73], v33 offset:3664
	s_waitcnt lgkmcnt(3)
	v_fma_f64 v[36:37], -v[9:10], v[36:37], v[48:49]
	v_fma_f64 v[48:49], -v[3:4], v[58:59], v[62:63]
	;; [unrolled: 1-line block ×5, first 2 shown]
	ds_read_b128 v[29:32], v33 offset:2976
	v_fma_f64 v[66:67], -v[11:12], v[38:39], v[36:37]
	v_fma_f64 v[48:49], -v[27:28], v[60:61], v[48:49]
	;; [unrolled: 1-line block ×3, first 2 shown]
	ds_read_b128 v[36:39], v33 offset:2992
	s_waitcnt lgkmcnt(1)
	v_fma_f64 v[74:75], -v[3:4], v[29:30], v[58:59]
	ds_read_b128 v[58:61], v33 offset:3328
	v_fma_f64 v[40:41], -v[25:26], v[40:41], v[62:63]
	ds_read_b128 v[62:65], v33 offset:3648
	;; [unrolled: 2-line block ×3, first 2 shown]
	s_waitcnt lgkmcnt(2)
	v_fma_f64 v[54:55], -v[21:22], v[58:59], v[54:55]
	v_mul_f64 v[29:30], v[50:51], v[48:49]
	s_waitcnt lgkmcnt(1)
	v_fma_f64 v[56:57], -v[5:6], v[62:63], v[56:57]
	v_fma_f64 v[31:32], -v[27:28], v[31:32], v[74:75]
	;; [unrolled: 1-line block ×3, first 2 shown]
	ds_read_b128 v[40:43], v33 offset:3504
	ds_read_b128 v[48:51], v33 offset:3520
	v_fma_f64 v[58:59], -v[15:16], v[46:47], v[44:45]
	v_fma_f64 v[60:61], -v[23:24], v[60:61], v[54:55]
	ds_read_b128 v[44:47], v33 offset:3168
	v_fma_f64 v[64:65], -v[7:8], v[64:65], v[56:57]
	v_fma_f64 v[31:32], -v[29:30], v[36:37], v[31:32]
	ds_read_b128 v[54:57], v33 offset:3184
	s_waitcnt lgkmcnt(3)
	v_fma_f64 v[36:37], -v[17:18], v[40:41], v[58:59]
	s_waitcnt lgkmcnt(1)
	v_fma_f64 v[40:41], -v[3:4], v[44:45], v[62:63]
	v_fma_f64 v[44:45], -v[25:26], v[66:67], v[60:61]
	;; [unrolled: 1-line block ×3, first 2 shown]
	ds_read_b128 v[58:61], v33 offset:3392
	ds_read2_b64 v[62:65], v35 offset0:224 offset1:248
	v_mul_f64 v[31:32], v[38:39], v[31:32]
	v_fma_f64 v[70:71], -v[19:20], v[42:43], v[36:37]
	v_fma_f64 v[74:75], -v[27:28], v[46:47], v[40:41]
	;; [unrolled: 1-line block ×4, first 2 shown]
	ds_read_b128 v[36:39], v33 offset:3840
	ds_read_b128 v[40:43], v33 offset:3360
	;; [unrolled: 1-line block ×4, first 2 shown]
	s_waitcnt lgkmcnt(3)
	v_fma_f64 v[36:37], -v[5:6], v[36:37], v[62:63]
	v_fma_f64 v[48:49], -v[21:22], v[48:49], v[70:71]
	;; [unrolled: 1-line block ×3, first 2 shown]
	s_waitcnt lgkmcnt(2)
	v_fma_f64 v[40:41], -v[3:4], v[40:41], v[78:79]
	s_waitcnt lgkmcnt(1)
	v_fma_f64 v[44:45], -v[13:14], v[44:45], v[76:77]
	ds_read_b128 v[74:77], v33 offset:3376
	ds_read_b128 v[70:73], v33 offset:3696
	v_fma_f64 v[48:49], -v[23:24], v[50:51], v[48:49]
	v_fma_f64 v[50:51], -v[7:8], v[38:39], v[36:37]
	;; [unrolled: 1-line block ×3, first 2 shown]
	ds_read_b128 v[36:39], v33 offset:3536
	v_fma_f64 v[62:63], -v[15:16], v[46:47], v[44:45]
	ds_read2_b64 v[44:47], v52 offset0:144 offset1:194
	v_fma_f64 v[82:83], -v[27:28], v[42:43], v[40:41]
	ds_read_b128 v[40:43], v33 offset:3552
	s_waitcnt lgkmcnt(2)
	v_fma_f64 v[36:37], -v[25:26], v[36:37], v[48:49]
	ds_read2_b64 v[54:57], v92 offset0:16 offset1:40
	s_waitcnt lgkmcnt(2)
	v_mul_f64 v[86:87], v[44:45], v[78:79]
	ds_read_b128 v[78:81], v33 offset:4048
	v_fma_f64 v[66:67], -v[9:10], v[66:67], v[50:51]
	ds_read_b128 v[48:51], v33 offset:4032
	v_fma_f64 v[62:63], -v[17:18], v[70:71], v[62:63]
	v_fma_f64 v[70:71], -v[29:30], v[74:75], v[82:83]
	;; [unrolled: 1-line block ×3, first 2 shown]
	s_waitcnt lgkmcnt(0)
	v_fma_f64 v[44:45], -v[5:6], v[48:49], v[64:65]
	v_fma_f64 v[74:75], -v[11:12], v[68:69], v[66:67]
	;; [unrolled: 1-line block ×3, first 2 shown]
	ds_read_b128 v[36:39], v33 offset:3872
	ds_read_b128 v[62:65], v33 offset:4224
	;; [unrolled: 1-line block ×3, first 2 shown]
	v_fma_f64 v[88:89], -v[31:32], v[76:77], v[70:71]
	v_fma_f64 v[40:41], -v[3:4], v[40:41], v[82:83]
	;; [unrolled: 1-line block ×3, first 2 shown]
	s_waitcnt lgkmcnt(1)
	v_fma_f64 v[54:55], -v[5:6], v[62:63], v[54:55]
	v_fma_f64 v[36:37], -v[13:14], v[36:37], v[74:75]
	ds_read_b128 v[74:77], v33 offset:4416
	s_waitcnt lgkmcnt(1)
	v_fma_f64 v[66:67], -v[21:22], v[66:67], v[84:85]
	ds_read_b128 v[48:51], v33 offset:3888
	ds_read_b128 v[70:73], v33 offset:3728
	v_fma_f64 v[58:59], -v[86:87], v[58:59], v[88:89]
	v_fma_f64 v[44:45], -v[9:10], v[78:79], v[44:45]
	;; [unrolled: 1-line block ×4, first 2 shown]
	s_waitcnt lgkmcnt(2)
	v_fma_f64 v[74:75], -v[5:6], v[74:75], v[56:57]
	ds_read_b128 v[36:39], v33 offset:4240
	ds_read_b128 v[62:65], v33 offset:4432
	v_fma_f64 v[84:85], -v[23:24], v[68:69], v[66:67]
	ds_read_b128 v[54:57], v33 offset:4064
	ds_read_b128 v[66:69], v33 offset:4256
	v_fma_f64 v[44:45], -v[11:12], v[80:81], v[44:45]
	s_waitcnt lgkmcnt(3)
	v_fma_f64 v[36:37], -v[9:10], v[36:37], v[82:83]
	v_fma_f64 v[48:49], -v[17:18], v[48:49], v[78:79]
	;; [unrolled: 1-line block ×3, first 2 shown]
	ds_read_b128 v[74:77], v33 offset:4080
	v_fma_f64 v[70:71], -v[25:26], v[70:71], v[84:85]
	s_waitcnt lgkmcnt(2)
	v_fma_f64 v[44:45], -v[13:14], v[54:55], v[44:45]
	v_fma_f64 v[80:81], -v[11:12], v[38:39], v[36:37]
	v_fma_f64 v[54:55], -v[27:28], v[42:43], v[40:41]
	v_fma_f64 v[62:63], -v[9:10], v[62:63], v[78:79]
	v_fma_f64 v[78:79], -v[19:20], v[50:51], v[48:49]
	ds_read_b128 v[36:39], v33 offset:3568
	ds_read_b128 v[40:43], v33 offset:3584
	;; [unrolled: 1-line block ×3, first 2 shown]
	v_fma_f64 v[88:89], -v[1:2], v[72:73], v[70:71]
	v_fma_f64 v[44:45], -v[15:16], v[56:57], v[44:45]
	s_waitcnt lgkmcnt(4)
	v_fma_f64 v[66:67], -v[13:14], v[66:67], v[80:81]
	s_waitcnt lgkmcnt(2)
	v_fma_f64 v[36:37], -v[29:30], v[36:37], v[54:55]
	v_fma_f64 v[82:83], -v[11:12], v[64:65], v[62:63]
	ds_read_b128 v[54:57], v33 offset:3920
	s_waitcnt lgkmcnt(1)
	v_fma_f64 v[48:49], -v[21:22], v[48:49], v[78:79]
	ds_read_b128 v[62:65], v33 offset:4448
	ds_read_b128 v[70:73], v33 offset:3744
	;; [unrolled: 1-line block ×3, first 2 shown]
	v_fma_f64 v[44:45], -v[17:18], v[74:75], v[44:45]
	v_fma_f64 v[74:75], -v[15:16], v[68:69], v[66:67]
	ds_read_b128 v[66:69], v33 offset:4464
	s_waitcnt lgkmcnt(3)
	v_fma_f64 v[62:63], -v[13:14], v[62:63], v[82:83]
	ds_read_b128 v[82:85], v33 offset:4272
	v_fma_f64 v[90:91], -v[23:24], v[50:51], v[48:49]
	ds_read_b128 v[48:51], v33 offset:4288
	s_waitcnt lgkmcnt(4)
	v_fma_f64 v[70:71], -v[3:4], v[70:71], v[88:89]
	v_fma_f64 v[44:45], -v[19:20], v[76:77], v[44:45]
	s_waitcnt lgkmcnt(1)
	v_fma_f64 v[82:83], -v[17:18], v[82:83], v[74:75]
	ds_read_b128 v[74:77], v33 offset:4096
	v_fma_f64 v[62:63], -v[15:16], v[64:65], v[62:63]
	v_fma_f64 v[64:65], -v[31:32], v[38:39], v[36:37]
	ds_read_b128 v[36:39], v33 offset:4112
	v_fma_f64 v[54:55], -v[25:26], v[54:55], v[90:91]
	v_fma_f64 v[70:71], -v[27:28], v[72:73], v[70:71]
	s_waitcnt lgkmcnt(1)
	v_fma_f64 v[44:45], -v[21:22], v[74:75], v[44:45]
	v_fma_f64 v[74:75], -v[19:20], v[84:85], v[82:83]
	v_mul_f64 v[82:83], v[60:61], v[58:59]
	ds_read_b128 v[58:61], v33 offset:3952
	v_fma_f64 v[40:41], -v[86:87], v[40:41], v[64:65]
	v_fma_f64 v[70:71], -v[29:30], v[78:79], v[70:71]
	;; [unrolled: 1-line block ×5, first 2 shown]
	s_waitcnt lgkmcnt(1)
	v_fma_f64 v[36:37], -v[25:26], v[36:37], v[44:45]
	v_fma_f64 v[44:45], -v[82:83], v[42:43], v[40:41]
	ds_read_b128 v[40:43], v33 offset:4496
	v_fma_f64 v[62:63], -v[17:18], v[66:67], v[62:63]
	v_fma_f64 v[66:67], -v[1:2], v[56:57], v[54:55]
	ds_read_b128 v[54:57], v33 offset:3936
	v_fma_f64 v[70:71], -v[1:2], v[38:39], v[36:37]
	ds_read_b128 v[36:39], v33 offset:4320
	;; [unrolled: 2-line block ×3, first 2 shown]
	s_waitcnt lgkmcnt(2)
	v_fma_f64 v[54:55], -v[3:4], v[54:55], v[66:67]
	v_fma_f64 v[66:67], -v[23:24], v[50:51], v[48:49]
	ds_read_b128 v[48:51], v33 offset:4304
	s_waitcnt lgkmcnt(1)
	v_fma_f64 v[62:63], -v[21:22], v[62:63], v[68:69]
	v_fma_f64 v[68:69], -v[27:28], v[56:57], v[54:55]
	s_waitcnt lgkmcnt(0)
	v_fma_f64 v[48:49], -v[25:26], v[48:49], v[66:67]
	ds_read_b128 v[54:57], v33 offset:4128
	v_fma_f64 v[76:77], -v[23:24], v[64:65], v[62:63]
	ds_read_b128 v[62:65], v33 offset:3776
	v_fma_f64 v[58:59], -v[29:30], v[58:59], v[68:69]
	ds_read_b128 v[66:69], v33 offset:4144
	s_waitcnt lgkmcnt(2)
	v_fma_f64 v[54:55], -v[3:4], v[54:55], v[70:71]
	v_fma_f64 v[48:49], -v[1:2], v[50:51], v[48:49]
	ds_read_b128 v[70:73], v33 offset:3792
	s_waitcnt lgkmcnt(2)
	v_fma_f64 v[50:51], -v[86:87], v[62:63], v[74:75]
	v_fma_f64 v[40:41], -v[25:26], v[40:41], v[76:77]
	v_mul_f64 v[62:63], v[46:47], v[44:45]
	v_fma_f64 v[58:59], -v[31:32], v[60:61], v[58:59]
	ds_read_b128 v[44:47], v33 offset:3968
	v_fma_f64 v[54:55], -v[27:28], v[56:57], v[54:55]
	v_fma_f64 v[36:37], -v[3:4], v[36:37], v[48:49]
	;; [unrolled: 1-line block ×4, first 2 shown]
	ds_read_b128 v[48:51], v33 offset:4512
	ds_read_b128 v[40:43], v33 offset:3984
	s_waitcnt lgkmcnt(2)
	v_fma_f64 v[44:45], -v[86:87], v[44:45], v[58:59]
	v_fma_f64 v[58:59], -v[29:30], v[66:67], v[54:55]
	;; [unrolled: 1-line block ×3, first 2 shown]
	ds_read_b128 v[36:39], v33 offset:4528
	v_fma_f64 v[66:67], -v[62:63], v[70:71], v[60:61]
	s_waitcnt lgkmcnt(2)
	v_fma_f64 v[48:49], -v[3:4], v[48:49], v[56:57]
	ds_read_b128 v[54:57], v33 offset:4336
	v_fma_f64 v[70:71], -v[82:83], v[46:47], v[44:45]
	v_fma_f64 v[68:69], -v[31:32], v[68:69], v[58:59]
	ds_read_b128 v[44:47], v33 offset:4352
	s_waitcnt lgkmcnt(1)
	v_fma_f64 v[54:55], -v[29:30], v[54:55], v[64:65]
	ds_read_b128 v[58:61], v33 offset:4160
	v_fma_f64 v[64:65], -v[27:28], v[50:51], v[48:49]
	ds_read_b128 v[48:51], v33 offset:4176
	v_mul_f64 v[66:67], v[72:73], v[66:67]
	v_fma_f64 v[40:41], -v[62:63], v[40:41], v[70:71]
	s_waitcnt lgkmcnt(1)
	v_fma_f64 v[58:59], -v[86:87], v[58:59], v[68:69]
	v_fma_f64 v[54:55], -v[31:32], v[56:57], v[54:55]
	;; [unrolled: 1-line block ×6, first 2 shown]
	v_add_u32_e64 v40, s8, 0
	v_fma_f64 v[54:55], -v[31:32], v[38:39], v[36:37]
	ds_read_b128 v[36:39], v33 offset:4544
	ds_read2_b64 v[40:43], v40 offset0:116 offset1:166
	s_mov_b32 s8, 24
	s_waitcnt lgkmcnt(2)
	v_fma_f64 v[48:49], -v[62:63], v[48:49], v[56:57]
	v_fma_f64 v[60:61], -v[82:83], v[46:47], v[44:45]
	ds_read_b128 v[44:47], v33 offset:4560
	s_waitcnt lgkmcnt(2)
	v_fma_f64 v[36:37], -v[86:87], v[36:37], v[54:55]
	ds_read_b128 v[54:57], v33 offset:4368
	s_waitcnt lgkmcnt(2)
	v_mul_f64 v[40:41], v[40:41], v[58:59]
	v_fma_f64 v[64:65], -v[66:67], v[50:51], v[48:49]
	ds_read_b128 v[48:51], v33 offset:4384
	s_waitcnt lgkmcnt(1)
	v_fma_f64 v[54:55], -v[62:63], v[54:55], v[60:61]
	ds_read_b128 v[58:61], v33 offset:4192
	v_fma_f64 v[36:37], -v[82:83], v[38:39], v[36:37]
	s_waitcnt lgkmcnt(0)
	v_fma_f64 v[38:39], -v[40:41], v[58:59], v[64:65]
	v_fma_f64 v[54:55], -v[66:67], v[56:57], v[54:55]
	;; [unrolled: 1-line block ×3, first 2 shown]
	v_mul_f64 v[56:57], v[60:61], v[38:39]
	v_fma_f64 v[44:45], -v[40:41], v[48:49], v[54:55]
	v_fma_f64 v[48:49], -v[66:67], v[46:47], v[36:37]
	ds_read_b128 v[36:39], v33 offset:4576
	v_fma_f64 v[50:51], -v[56:57], v[50:51], v[44:45]
	ds_read_b128 v[44:47], v33 offset:4592
	s_waitcnt lgkmcnt(1)
	v_fma_f64 v[36:37], -v[40:41], v[36:37], v[48:49]
	ds_write2_b64 v53, v[5:6], v[7:8] offset1:24
	ds_write2_b64 v53, v[9:10], v[11:12] offset0:48 offset1:72
	ds_write2_b64 v53, v[13:14], v[15:16] offset0:96 offset1:120
	;; [unrolled: 1-line block ×3, first 2 shown]
	v_mul_f64 v[42:43], v[42:43], v[50:51]
	v_fma_f64 v[36:37], -v[56:57], v[38:39], v[36:37]
	s_waitcnt lgkmcnt(4)
	v_fma_f64 v[36:37], -v[42:43], v[44:45], v[36:37]
	v_mul_f64 v[5:6], v[46:47], v[36:37]
	ds_write2_b64 v53, v[21:22], v[23:24] offset0:192 offset1:216
	ds_write2_b64 v34, v[25:26], v[1:2] offset0:112 offset1:136
	;; [unrolled: 1-line block ×8, first 2 shown]
.LBB92_12:
	s_cmp_lt_i32 s8, s22
	s_cbranch_scc0 .LBB92_23
; %bb.13:
	s_add_i32 s11, s8, 19
	s_cmp_ge_u32 s11, s22
	s_cbranch_scc1 .LBB92_18
; %bb.14:
	s_mul_i32 s11, s8, 0xc0
	v_add_u32_e32 v41, s11, v53
	v_add_u32_e32 v1, 0x400, v41
	ds_read2_b64 v[37:40], v41 offset1:24
	ds_read2_b64 v[33:36], v41 offset0:48 offset1:72
	ds_read2_b64 v[29:32], v41 offset0:96 offset1:120
	;; [unrolled: 1-line block ×5, first 2 shown]
	v_add_u32_e32 v1, 0x800, v41
	ds_read2_b64 v[13:16], v1 offset0:32 offset1:56
	ds_read2_b64 v[9:12], v1 offset0:80 offset1:104
	;; [unrolled: 1-line block ×4, first 2 shown]
	s_andn2_b64 vcc, exec, s[4:5]
	s_cbranch_vccnz .LBB92_17
; %bb.15:
	v_mov_b32_e32 v42, 0x1200
	v_lshl_or_b32 v42, v0, 3, v42
	s_mov_b32 s4, s8
	s_mov_b32 s5, s11
.LBB92_16:                              ; =>This Inner Loop Header: Depth=1
	ds_read2_b64 v[43:46], v42 offset1:24
	v_mov_b32_e32 v51, s5
	ds_read_b128 v[47:50], v51
	ds_read_b128 v[54:57], v51 offset:192
	ds_read_b128 v[58:61], v51 offset:384
	;; [unrolled: 1-line block ×18, first 2 shown]
	s_add_i32 s5, s5, 16
	s_add_i32 s4, s4, -2
	s_waitcnt lgkmcnt(14)
	v_fma_f64 v[37:38], -v[43:44], v[47:48], v[37:38]
	v_fma_f64 v[33:34], -v[43:44], v[58:59], v[33:34]
	;; [unrolled: 1-line block ×4, first 2 shown]
	s_waitcnt lgkmcnt(13)
	v_fma_f64 v[31:32], -v[43:44], v[70:71], v[31:32]
	s_waitcnt lgkmcnt(12)
	v_fma_f64 v[25:26], -v[43:44], v[74:75], v[25:26]
	s_waitcnt lgkmcnt(11)
	v_fma_f64 v[27:28], -v[43:44], v[78:79], v[27:28]
	s_waitcnt lgkmcnt(10)
	v_fma_f64 v[21:22], -v[43:44], v[82:83], v[21:22]
	v_fma_f64 v[37:38], -v[45:46], v[49:50], v[37:38]
	ds_read_b128 v[47:50], v51 offset:3648
	s_waitcnt lgkmcnt(10)
	v_fma_f64 v[23:24], -v[43:44], v[86:87], v[23:24]
	s_waitcnt lgkmcnt(9)
	v_fma_f64 v[17:18], -v[43:44], v[90:91], v[17:18]
	;; [unrolled: 2-line block ×11, first 2 shown]
	v_fma_f64 v[39:40], -v[43:44], v[54:55], v[39:40]
	v_fma_f64 v[33:34], -v[45:46], v[60:61], v[33:34]
	;; [unrolled: 1-line block ×20, first 2 shown]
	s_cmp_lg_u32 s4, 0
	v_add_u32_e32 v42, 0x180, v42
	s_cbranch_scc1 .LBB92_16
.LBB92_17:
	s_lshl_b32 s18, s8, 3
	s_add_i32 s4, s18, s11
	v_mov_b32_e32 v42, s4
	ds_read2_b64 v[43:46], v42 offset1:50
	s_add_i32 s4, s11, 0xc0
	s_add_i32 s13, s18, s4
	;; [unrolled: 1-line block ×4, first 2 shown]
	s_waitcnt lgkmcnt(0)
	v_mul_f64 v[37:38], v[43:44], v[37:38]
	v_mov_b32_e32 v43, s13
	ds_read_b128 v[47:50], v43
	v_mov_b32_e32 v43, s14
	ds_read_b128 v[54:57], v43
	s_add_i32 s12, s11, 0x240
	s_add_i32 s20, s18, s12
	;; [unrolled: 1-line block ×3, first 2 shown]
	s_waitcnt lgkmcnt(1)
	v_fma_f64 v[39:40], -v[37:38], v[47:48], v[39:40]
	s_waitcnt lgkmcnt(0)
	v_fma_f64 v[43:44], -v[37:38], v[54:55], v[33:34]
	s_add_i32 s14, s11, 0x3c0
	s_add_i32 s21, s18, s14
	v_mov_b32_e32 v82, s21
	s_add_i32 s15, s11, 0x480
	s_add_i32 s16, s11, 0x540
	;; [unrolled: 1-line block ×3, first 2 shown]
	v_mul_f64 v[33:34], v[49:50], v[39:40]
	v_mov_b32_e32 v39, s20
	ds_read_b128 v[47:50], v39
	ds_read_b128 v[58:61], v39 offset:16
	s_add_i32 s20, s18, s13
	v_mov_b32_e32 v51, s20
	s_add_i32 s20, s18, s15
	s_waitcnt lgkmcnt(1)
	v_fma_f64 v[35:36], -v[37:38], v[47:48], v[35:36]
	v_fma_f64 v[39:40], -v[33:34], v[56:57], v[43:44]
	ds_read_b128 v[54:57], v51
	ds_read_b128 v[62:65], v51 offset:16
	v_mov_b32_e32 v74, s20
	v_mov_b32_e32 v83, s23
	s_add_i32 s17, s11, 0x600
	s_waitcnt lgkmcnt(1)
	v_fma_f64 v[51:52], -v[37:38], v[54:55], v[29:30]
	v_fma_f64 v[35:36], -v[33:34], v[49:50], v[35:36]
	v_mul_f64 v[29:30], v[45:46], v[39:40]
	ds_read_b128 v[43:46], v82
	ds_read_b128 v[47:50], v82 offset:16
	ds_read_b128 v[66:69], v74
	s_add_i32 s21, s18, s17
	v_mov_b32_e32 v84, s21
	s_add_i32 s19, s11, 0x6c0
	s_waitcnt lgkmcnt(2)
	v_fma_f64 v[31:32], -v[37:38], v[43:44], v[31:32]
	v_fma_f64 v[39:40], -v[33:34], v[56:57], v[51:52]
	;; [unrolled: 1-line block ×3, first 2 shown]
	s_waitcnt lgkmcnt(0)
	v_fma_f64 v[51:52], -v[37:38], v[66:67], v[25:26]
	ds_read_b128 v[54:57], v83
	s_add_i32 s20, s18, s19
	v_mov_b32_e32 v85, s20
	s_add_i32 s20, s11, 0x780
	v_fma_f64 v[31:32], -v[33:34], v[45:46], v[31:32]
	v_fma_f64 v[39:40], -v[29:30], v[62:63], v[39:40]
	v_mul_f64 v[25:26], v[60:61], v[35:36]
	s_waitcnt lgkmcnt(0)
	v_fma_f64 v[27:28], -v[37:38], v[54:55], v[27:28]
	v_fma_f64 v[35:36], -v[33:34], v[68:69], v[51:52]
	ds_read2_b64 v[43:46], v42 offset0:100 offset1:150
	ds_read_b128 v[58:61], v83 offset:16
	ds_read_b128 v[70:73], v84
	s_add_i32 s23, s18, s20
	s_add_i32 s21, s11, 0x840
	v_fma_f64 v[31:32], -v[29:30], v[47:48], v[31:32]
	s_add_i32 s24, s18, s21
	v_fma_f64 v[39:40], -v[25:26], v[64:65], v[39:40]
	ds_read_b128 v[62:65], v74 offset:16
	ds_read_b128 v[66:69], v74 offset:32
	ds_read_b128 v[74:77], v84 offset:16
	ds_read_b128 v[78:81], v85
	s_waitcnt lgkmcnt(4)
	v_fma_f64 v[51:52], -v[37:38], v[70:71], v[21:22]
	v_fma_f64 v[27:28], -v[33:34], v[56:57], v[27:28]
	s_waitcnt lgkmcnt(3)
	v_fma_f64 v[35:36], -v[29:30], v[62:63], v[35:36]
	ds_read_b128 v[54:57], v85 offset:16
	v_fma_f64 v[31:32], -v[25:26], v[49:50], v[31:32]
	ds_read_b128 v[47:50], v82 offset:32
	v_mul_f64 v[21:22], v[43:44], v[39:40]
	s_waitcnt lgkmcnt(2)
	v_fma_f64 v[23:24], -v[37:38], v[78:79], v[23:24]
	v_fma_f64 v[39:40], -v[33:34], v[72:73], v[51:52]
	;; [unrolled: 1-line block ×4, first 2 shown]
	v_mov_b32_e32 v78, s23
	v_mov_b32_e32 v82, s24
	s_add_i32 s23, s11, 0x900
	s_waitcnt lgkmcnt(0)
	v_fma_f64 v[31:32], -v[21:22], v[47:48], v[31:32]
	v_fma_f64 v[43:44], -v[33:34], v[80:81], v[23:24]
	v_fma_f64 v[39:40], -v[29:30], v[74:75], v[39:40]
	v_fma_f64 v[27:28], -v[25:26], v[60:61], v[27:28]
	v_fma_f64 v[35:36], -v[21:22], v[66:67], v[35:36]
	s_add_i32 s24, s18, s23
	v_add_u32_e32 v87, 0x800, v42
	s_add_i32 s8, s8, 20
	v_mul_f64 v[23:24], v[49:50], v[31:32]
	ds_read_b128 v[47:50], v83 offset:32
	ds_read_b128 v[58:61], v83 offset:48
	ds_read_b128 v[62:65], v78
	v_fma_f64 v[39:40], -v[25:26], v[76:77], v[39:40]
	v_fma_f64 v[31:32], -v[29:30], v[54:55], v[43:44]
	s_waitcnt lgkmcnt(2)
	v_fma_f64 v[27:28], -v[21:22], v[47:48], v[27:28]
	v_mov_b32_e32 v83, s24
	s_waitcnt lgkmcnt(0)
	v_fma_f64 v[51:52], -v[37:38], v[62:63], v[17:18]
	v_fma_f64 v[35:36], -v[23:24], v[68:69], v[35:36]
	ds_read_b128 v[66:69], v84 offset:32
	ds_read_b128 v[70:73], v84 offset:48
	;; [unrolled: 1-line block ×3, first 2 shown]
	s_add_i32 s24, s11, 0x9c0
	s_add_i32 s25, s18, s24
	s_waitcnt lgkmcnt(2)
	v_fma_f64 v[39:40], -v[21:22], v[66:67], v[39:40]
	v_fma_f64 v[27:28], -v[23:24], v[49:50], v[27:28]
	;; [unrolled: 1-line block ×3, first 2 shown]
	v_mov_b32_e32 v84, s25
	v_mul_f64 v[17:18], v[45:46], v[35:36]
	ds_read_b128 v[43:46], v82
	ds_read_b128 v[47:50], v85 offset:48
	v_fma_f64 v[35:36], -v[33:34], v[64:65], v[51:52]
	ds_read_b128 v[62:65], v78 offset:16
	v_fma_f64 v[39:40], -v[23:24], v[68:69], v[39:40]
	s_waitcnt lgkmcnt(2)
	v_fma_f64 v[19:20], -v[37:38], v[43:44], v[19:20]
	v_fma_f64 v[31:32], -v[21:22], v[74:75], v[31:32]
	ds_read_b128 v[66:69], v78 offset:32
	v_fma_f64 v[27:28], -v[17:18], v[58:59], v[27:28]
	ds_read_b128 v[54:57], v82 offset:16
	s_waitcnt lgkmcnt(2)
	v_fma_f64 v[35:36], -v[29:30], v[62:63], v[35:36]
	s_add_i32 s25, s11, 0xa80
	v_fma_f64 v[39:40], -v[17:18], v[70:71], v[39:40]
	v_fma_f64 v[51:52], -v[33:34], v[45:46], v[19:20]
	;; [unrolled: 1-line block ×3, first 2 shown]
	ds_read_b128 v[43:46], v83
	v_mul_f64 v[19:20], v[60:61], v[27:28]
	s_add_i32 s26, s18, s25
	v_fma_f64 v[27:28], -v[25:26], v[64:65], v[35:36]
	ds_read_b128 v[58:61], v85 offset:64
	ds_read2_b64 v[62:65], v42 offset0:200 offset1:250
	s_waitcnt lgkmcnt(2)
	v_fma_f64 v[43:44], -v[37:38], v[43:44], v[13:14]
	v_fma_f64 v[35:36], -v[29:30], v[54:55], v[51:52]
	;; [unrolled: 1-line block ×3, first 2 shown]
	v_mov_b32_e32 v85, s26
	v_fma_f64 v[39:40], -v[19:20], v[72:73], v[39:40]
	ds_read_b128 v[70:73], v83 offset:16
	v_fma_f64 v[27:28], -v[21:22], v[66:67], v[27:28]
	s_add_i32 s26, s11, 0xb40
	s_add_i32 s27, s18, s26
	v_fma_f64 v[35:36], -v[25:26], v[56:57], v[35:36]
	v_fma_f64 v[31:32], -v[19:20], v[49:50], v[31:32]
	ds_read_b128 v[47:50], v82 offset:32
	ds_read_b128 v[54:57], v78 offset:48
	s_waitcnt lgkmcnt(3)
	v_mul_f64 v[13:14], v[62:63], v[39:40]
	v_fma_f64 v[39:40], -v[33:34], v[45:46], v[43:44]
	v_fma_f64 v[27:28], -v[23:24], v[68:69], v[27:28]
	ds_read_b128 v[66:69], v82 offset:48
	ds_read_b128 v[43:46], v84
	ds_read_b128 v[74:77], v78 offset:64
	s_waitcnt lgkmcnt(4)
	v_fma_f64 v[35:36], -v[21:22], v[47:48], v[35:36]
	ds_read_b128 v[78:81], v84 offset:16
	s_waitcnt lgkmcnt(2)
	v_fma_f64 v[15:16], -v[37:38], v[43:44], v[15:16]
	v_fma_f64 v[39:40], -v[29:30], v[70:71], v[39:40]
	;; [unrolled: 1-line block ×5, first 2 shown]
	ds_read_b128 v[47:50], v85
	v_fma_f64 v[15:16], -v[33:34], v[45:46], v[15:16]
	v_fma_f64 v[39:40], -v[25:26], v[72:73], v[39:40]
	ds_read_b128 v[43:46], v83 offset:32
	s_waitcnt lgkmcnt(1)
	v_fma_f64 v[47:48], -v[37:38], v[47:48], v[9:10]
	v_fma_f64 v[27:28], -v[19:20], v[56:57], v[27:28]
	;; [unrolled: 1-line block ×3, first 2 shown]
	ds_read_b128 v[54:57], v83 offset:48
	v_mul_f64 v[9:10], v[60:61], v[31:32]
	v_fma_f64 v[15:16], -v[29:30], v[78:79], v[15:16]
	s_waitcnt lgkmcnt(1)
	v_fma_f64 v[39:40], -v[21:22], v[43:44], v[39:40]
	v_fma_f64 v[31:32], -v[33:34], v[49:50], v[47:48]
	ds_read_b128 v[47:50], v85 offset:16
	ds_read_b128 v[58:61], v82 offset:64
	v_fma_f64 v[27:28], -v[13:14], v[74:75], v[27:28]
	v_fma_f64 v[35:36], -v[19:20], v[68:69], v[35:36]
	;; [unrolled: 1-line block ×4, first 2 shown]
	ds_read_b128 v[43:46], v85 offset:32
	s_waitcnt lgkmcnt(2)
	v_fma_f64 v[31:32], -v[29:30], v[47:48], v[31:32]
	ds_read_b128 v[66:69], v84 offset:32
	ds_read_b128 v[70:73], v82 offset:80
	v_fma_f64 v[27:28], -v[9:10], v[76:77], v[27:28]
	s_waitcnt lgkmcnt(3)
	v_fma_f64 v[35:36], -v[13:14], v[58:59], v[35:36]
	ds_read_b128 v[74:77], v84 offset:48
	s_waitcnt lgkmcnt(2)
	v_fma_f64 v[51:52], -v[21:22], v[66:67], v[15:16]
	v_fma_f64 v[39:40], -v[17:18], v[54:55], v[39:40]
	;; [unrolled: 1-line block ×3, first 2 shown]
	ds_read_b128 v[47:50], v83 offset:64
	v_mul_f64 v[15:16], v[64:65], v[27:28]
	v_fma_f64 v[27:28], -v[9:10], v[60:61], v[35:36]
	v_fma_f64 v[35:36], -v[19:20], v[56:57], v[39:40]
	;; [unrolled: 1-line block ×3, first 2 shown]
	v_mov_b32_e32 v52, s27
	ds_read_b128 v[54:57], v52
	ds_read_b128 v[58:61], v83 offset:80
	v_fma_f64 v[31:32], -v[21:22], v[43:44], v[31:32]
	ds_read_b128 v[62:65], v52 offset:16
	s_waitcnt lgkmcnt(5)
	v_fma_f64 v[27:28], -v[15:16], v[70:71], v[27:28]
	s_waitcnt lgkmcnt(2)
	v_fma_f64 v[11:12], -v[37:38], v[54:55], v[11:12]
	v_fma_f64 v[35:36], -v[13:14], v[47:48], v[35:36]
	;; [unrolled: 1-line block ×3, first 2 shown]
	s_add_i32 s27, s11, 0xc00
	s_add_i32 s28, s18, s27
	v_fma_f64 v[31:32], -v[23:24], v[45:46], v[31:32]
	ds_read_b128 v[43:46], v85 offset:48
	v_mul_f64 v[27:28], v[72:73], v[27:28]
	v_fma_f64 v[11:12], -v[33:34], v[56:57], v[11:12]
	v_fma_f64 v[35:36], -v[9:10], v[49:50], v[35:36]
	v_mov_b32_e32 v86, s28
	v_fma_f64 v[39:40], -v[19:20], v[76:77], v[39:40]
	ds_read_b128 v[47:50], v85 offset:64
	s_waitcnt lgkmcnt(1)
	v_fma_f64 v[31:32], -v[17:18], v[43:44], v[31:32]
	ds_read_b128 v[54:57], v84 offset:64
	ds_read_b128 v[66:69], v84 offset:96
	;; [unrolled: 1-line block ×3, first 2 shown]
	v_fma_f64 v[11:12], -v[29:30], v[62:63], v[11:12]
	v_fma_f64 v[35:36], -v[15:16], v[58:59], v[35:36]
	s_add_i32 s28, s11, 0xcc0
	s_waitcnt lgkmcnt(2)
	v_fma_f64 v[39:40], -v[13:14], v[54:55], v[39:40]
	s_add_i32 s29, s18, s28
	v_fma_f64 v[31:32], -v[19:20], v[45:46], v[31:32]
	ds_read_b128 v[43:46], v86
	v_mov_b32_e32 v88, s29
	v_fma_f64 v[11:12], -v[25:26], v[64:65], v[11:12]
	v_fma_f64 v[35:36], -v[27:28], v[60:61], v[35:36]
	ds_read_b128 v[58:61], v52 offset:32
	ds_read_b128 v[74:77], v52 offset:48
	s_waitcnt lgkmcnt(2)
	v_fma_f64 v[5:6], -v[37:38], v[43:44], v[5:6]
	v_fma_f64 v[31:32], -v[13:14], v[47:48], v[31:32]
	;; [unrolled: 1-line block ×3, first 2 shown]
	ds_read_b128 v[54:57], v86 offset:16
	s_waitcnt lgkmcnt(2)
	v_fma_f64 v[11:12], -v[21:22], v[58:59], v[11:12]
	ds_read2_b64 v[62:65], v87 offset0:44 offset1:94
	s_add_i32 s29, s11, 0xd80
	s_add_i32 s30, s18, s29
	v_fma_f64 v[5:6], -v[33:34], v[45:46], v[5:6]
	v_fma_f64 v[31:32], -v[9:10], v[49:50], v[31:32]
	ds_read_b128 v[42:45], v88
	ds_read_b128 v[46:49], v85 offset:80
	v_mov_b32_e32 v89, s30
	v_fma_f64 v[11:12], -v[23:24], v[60:61], v[11:12]
	v_fma_f64 v[39:40], -v[15:16], v[70:71], v[39:40]
	s_waitcnt lgkmcnt(1)
	v_fma_f64 v[42:43], -v[37:38], v[42:43], v[7:8]
	ds_read_b128 v[58:61], v88 offset:16
	v_fma_f64 v[50:51], -v[29:30], v[54:55], v[5:6]
	s_waitcnt lgkmcnt(1)
	v_fma_f64 v[31:32], -v[15:16], v[46:47], v[31:32]
	s_addk_i32 s11, 0xe40
	s_add_i32 s18, s18, s11
	v_fma_f64 v[11:12], -v[17:18], v[74:75], v[11:12]
	v_fma_f64 v[39:40], -v[27:28], v[72:73], v[39:40]
	ds_read_b128 v[5:8], v85 offset:96
	ds_read_b128 v[70:73], v86 offset:32
	v_fma_f64 v[46:47], -v[25:26], v[56:57], v[50:51]
	v_fma_f64 v[50:51], -v[33:34], v[44:45], v[42:43]
	ds_read_b128 v[42:45], v89
	v_mov_b32_e32 v90, s18
	v_fma_f64 v[11:12], -v[19:20], v[76:77], v[11:12]
	ds_read_b128 v[54:57], v52 offset:64
	ds_read_b128 v[74:77], v86 offset:48
	ds_read_b128 v[78:81], v90
	ds_read_b128 v[82:85], v52 offset:80
	s_waitcnt lgkmcnt(4)
	v_fma_f64 v[1:2], -v[37:38], v[42:43], v[1:2]
	v_mul_f64 v[35:36], v[62:63], v[35:36]
	v_fma_f64 v[50:51], -v[29:30], v[58:59], v[50:51]
	v_fma_f64 v[46:47], -v[21:22], v[70:71], v[46:47]
	s_waitcnt lgkmcnt(1)
	v_fma_f64 v[62:63], -v[37:38], v[78:79], v[3:4]
	v_fma_f64 v[11:12], -v[13:14], v[54:55], v[11:12]
	;; [unrolled: 1-line block ×4, first 2 shown]
	ds_read_b128 v[42:45], v90 offset:16
	ds_read_b128 v[1:4], v89 offset:16
	v_fma_f64 v[50:51], -v[25:26], v[60:61], v[50:51]
	v_fma_f64 v[46:47], -v[23:24], v[72:73], v[46:47]
	ds_read_b128 v[58:61], v88 offset:32
	ds_read_b128 v[70:73], v89 offset:32
	v_fma_f64 v[62:63], -v[33:34], v[80:81], v[62:63]
	v_fma_f64 v[11:12], -v[9:10], v[56:57], v[11:12]
	s_waitcnt lgkmcnt(2)
	v_fma_f64 v[1:2], -v[29:30], v[1:2], v[54:55]
	ds_read_b128 v[54:57], v88 offset:48
	v_fma_f64 v[5:6], -v[35:36], v[5:6], v[31:32]
	s_waitcnt lgkmcnt(2)
	v_fma_f64 v[50:51], -v[21:22], v[58:59], v[50:51]
	v_fma_f64 v[46:47], -v[17:18], v[74:75], v[46:47]
	;; [unrolled: 1-line block ×8, first 2 shown]
	v_mul_f64 v[39:40], v[68:69], v[39:40]
	v_fma_f64 v[62:63], -v[25:26], v[44:45], v[42:43]
	v_fma_f64 v[11:12], -v[27:28], v[84:85], v[11:12]
	s_waitcnt lgkmcnt(1)
	v_fma_f64 v[50:51], -v[21:22], v[70:71], v[1:2]
	ds_read_b128 v[1:4], v86 offset:64
	s_waitcnt lgkmcnt(1)
	v_fma_f64 v[54:55], -v[17:18], v[54:55], v[48:49]
	ds_read_b128 v[42:45], v90 offset:32
	ds_read_b128 v[46:49], v86 offset:80
	;; [unrolled: 1-line block ×4, first 2 shown]
	s_waitcnt lgkmcnt(4)
	v_fma_f64 v[1:2], -v[13:14], v[1:2], v[31:32]
	v_fma_f64 v[31:32], -v[23:24], v[72:73], v[50:51]
	s_waitcnt lgkmcnt(3)
	v_fma_f64 v[42:43], -v[21:22], v[42:43], v[62:63]
	v_fma_f64 v[50:51], -v[19:20], v[56:57], v[54:55]
	ds_read_b128 v[54:57], v52 offset:96
	ds_read_b128 v[70:73], v88 offset:64
	;; [unrolled: 1-line block ×3, first 2 shown]
	v_fma_f64 v[62:63], -v[9:10], v[3:4], v[1:2]
	s_waitcnt lgkmcnt(3)
	v_fma_f64 v[31:32], -v[17:18], v[66:67], v[31:32]
	v_fma_f64 v[42:43], -v[23:24], v[44:45], v[42:43]
	s_waitcnt lgkmcnt(2)
	v_fma_f64 v[11:12], -v[35:36], v[54:55], v[11:12]
	s_waitcnt lgkmcnt(1)
	v_fma_f64 v[44:45], -v[13:14], v[70:71], v[50:51]
	ds_read_b128 v[1:4], v88 offset:80
	v_fma_f64 v[50:51], -v[39:40], v[7:8], v[5:6]
	ds_read_b128 v[5:8], v52 offset:112
	v_fma_f64 v[46:47], -v[15:16], v[46:47], v[62:63]
	v_fma_f64 v[31:32], -v[19:20], v[68:69], v[31:32]
	v_fma_f64 v[42:43], -v[17:18], v[58:59], v[42:43]
	v_fma_f64 v[11:12], -v[39:40], v[56:57], v[11:12]
	v_fma_f64 v[44:45], -v[9:10], v[72:73], v[44:45]
	v_mul_f64 v[50:51], v[64:65], v[50:51]
	v_fma_f64 v[66:67], -v[27:28], v[48:49], v[46:47]
	s_waitcnt lgkmcnt(2)
	v_fma_f64 v[31:32], -v[13:14], v[74:75], v[31:32]
	v_fma_f64 v[62:63], -v[19:20], v[60:61], v[42:43]
	s_waitcnt lgkmcnt(1)
	v_fma_f64 v[1:2], -v[15:16], v[1:2], v[44:45]
	ds_read_b128 v[42:45], v90 offset:64
	ds_read_b128 v[46:49], v86 offset:96
	;; [unrolled: 1-line block ×4, first 2 shown]
	s_waitcnt lgkmcnt(4)
	v_fma_f64 v[5:6], -v[50:51], v[5:6], v[11:12]
	ds_write_b64 v41, v[37:38]
	v_fma_f64 v[31:32], -v[9:10], v[76:77], v[31:32]
	s_waitcnt lgkmcnt(4)
	v_fma_f64 v[42:43], -v[13:14], v[42:43], v[62:63]
	ds_read_b128 v[62:65], v89 offset:80
	s_waitcnt lgkmcnt(4)
	v_fma_f64 v[46:47], -v[35:36], v[46:47], v[66:67]
	v_fma_f64 v[70:71], -v[27:28], v[3:4], v[1:2]
	ds_read_b128 v[1:4], v89 offset:96
	ds_read_b128 v[66:69], v88 offset:96
	v_add_u32_e32 v37, s4, v53
	s_waitcnt lgkmcnt(2)
	v_fma_f64 v[31:32], -v[15:16], v[62:63], v[31:32]
	v_fma_f64 v[62:63], -v[9:10], v[44:45], v[42:43]
	ds_read_b128 v[42:45], v88 offset:112
	v_fma_f64 v[11:12], -v[39:40], v[48:49], v[46:47]
	s_waitcnt lgkmcnt(1)
	v_fma_f64 v[46:47], -v[35:36], v[66:67], v[70:71]
	ds_write_b64 v37, v[33:34]
	v_add_u32_e32 v33, s12, v53
	ds_write_b64 v33, v[25:26]
	v_fma_f64 v[31:32], -v[27:28], v[64:65], v[31:32]
	v_fma_f64 v[48:49], -v[15:16], v[58:59], v[62:63]
	v_mul_f64 v[62:63], v[7:8], v[5:6]
	v_fma_f64 v[5:6], -v[50:51], v[54:55], v[11:12]
	v_fma_f64 v[11:12], -v[39:40], v[68:69], v[46:47]
	;; [unrolled: 1-line block ×4, first 2 shown]
	ds_read2_b64 v[46:49], v87 offset0:144 offset1:194
	v_fma_f64 v[58:59], -v[62:63], v[56:57], v[5:6]
	ds_read_b128 v[5:8], v90 offset:96
	ds_read_b128 v[54:57], v89 offset:112
	s_waitcnt lgkmcnt(5)
	v_fma_f64 v[11:12], -v[50:51], v[42:43], v[11:12]
	v_fma_f64 v[60:61], -v[39:40], v[3:4], v[1:2]
	s_waitcnt lgkmcnt(1)
	v_fma_f64 v[5:6], -v[35:36], v[5:6], v[31:32]
	ds_read_b128 v[1:4], v90 offset:112
	v_mul_f64 v[31:32], v[46:47], v[58:59]
	v_fma_f64 v[11:12], -v[62:63], v[44:45], v[11:12]
	ds_read_b128 v[42:45], v89 offset:128
	s_waitcnt lgkmcnt(2)
	v_fma_f64 v[46:47], -v[50:51], v[54:55], v[60:61]
	v_fma_f64 v[5:6], -v[39:40], v[7:8], v[5:6]
	ds_read_b128 v[58:61], v88 offset:128
	s_waitcnt lgkmcnt(0)
	v_fma_f64 v[7:8], -v[31:32], v[58:59], v[11:12]
	v_fma_f64 v[11:12], -v[62:63], v[56:57], v[46:47]
	;; [unrolled: 1-line block ×3, first 2 shown]
	v_add_u32_e32 v5, s5, v53
	ds_write_b64 v5, v[29:30]
	v_mul_f64 v[29:30], v[60:61], v[7:8]
	v_fma_f64 v[5:6], -v[31:32], v[42:43], v[11:12]
	v_fma_f64 v[11:12], -v[62:63], v[3:4], v[1:2]
	v_add_u32_e32 v1, s13, v53
	ds_write_b64 v1, v[21:22]
	ds_read_b128 v[1:4], v90 offset:128
	v_add_u32_e32 v7, s14, v53
	ds_write_b64 v7, v[23:24]
	v_fma_f64 v[21:22], -v[29:30], v[44:45], v[5:6]
	ds_read_b128 v[5:8], v90 offset:144
	s_waitcnt lgkmcnt(2)
	v_fma_f64 v[1:2], -v[31:32], v[1:2], v[11:12]
	v_add_u32_e32 v11, s15, v53
	ds_write_b64 v11, v[17:18]
	v_add_u32_e32 v11, s16, v53
	ds_write_b64 v11, v[19:20]
	;; [unrolled: 2-line block ×3, first 2 shown]
	v_mul_f64 v[11:12], v[48:49], v[21:22]
	v_fma_f64 v[1:2], -v[29:30], v[3:4], v[1:2]
	v_add_u32_e32 v3, s19, v53
	ds_write_b64 v3, v[9:10]
	v_add_u32_e32 v3, s20, v53
	ds_write_b64 v3, v[15:16]
	;; [unrolled: 2-line block ×3, first 2 shown]
	v_add_u32_e32 v3, s23, v53
	s_waitcnt lgkmcnt(6)
	v_fma_f64 v[1:2], -v[11:12], v[5:6], v[1:2]
	ds_write_b64 v3, v[35:36]
	v_add_u32_e32 v3, s24, v53
	ds_write_b64 v3, v[39:40]
	v_add_u32_e32 v3, s25, v53
	;; [unrolled: 2-line block ×3, first 2 shown]
	ds_write_b64 v3, v[62:63]
	v_mul_f64 v[1:2], v[7:8], v[1:2]
	v_add_u32_e32 v3, s27, v53
	ds_write_b64 v3, v[31:32]
	v_add_u32_e32 v3, s28, v53
	ds_write_b64 v3, v[29:30]
	;; [unrolled: 2-line block ×4, first 2 shown]
.LBB92_18:
	s_cmp_ge_i32 s8, s22
	s_cbranch_scc1 .LBB92_23
; %bb.19:
	v_mov_b32_e32 v1, 0x1200
	s_mul_i32 s4, s8, 0xc0
	v_lshl_or_b32 v3, v0, 3, v1
	s_branch .LBB92_21
.LBB92_20:                              ;   in Loop: Header=BB92_21 Depth=1
	s_mul_i32 s5, s8, 0xc8
	v_mov_b32_e32 v5, s5
	ds_read_b64 v[5:6], v5
	s_add_i32 s8, s8, 1
	s_addk_i32 s4, 0xc0
	s_cmp_ge_i32 s8, s22
	s_waitcnt lgkmcnt(0)
	v_mul_f64 v[1:2], v[5:6], v[1:2]
	ds_write_b64 v4, v[1:2]
	s_cbranch_scc1 .LBB92_23
.LBB92_21:                              ; =>This Loop Header: Depth=1
                                        ;     Child Loop BB92_22 Depth 2
	s_mul_i32 s5, s8, 0xc0
	v_add_u32_e32 v4, s5, v53
	ds_read_b64 v[1:2], v4
	s_cmp_eq_u32 s8, 0
	v_mov_b32_e32 v5, v3
	s_mov_b32 s5, s8
	s_mov_b32 s11, s4
	s_cbranch_scc1 .LBB92_20
.LBB92_22:                              ;   Parent Loop BB92_21 Depth=1
                                        ; =>  This Inner Loop Header: Depth=2
	v_mov_b32_e32 v8, s11
	ds_read_b64 v[6:7], v5
	ds_read_b64 v[8:9], v8
	s_add_i32 s11, s11, 8
	s_add_i32 s5, s5, -1
	s_cmp_lg_u32 s5, 0
	v_add_u32_e32 v5, 0xc0, v5
	s_waitcnt lgkmcnt(0)
	v_fma_f64 v[1:2], -v[6:7], v[8:9], v[1:2]
	s_cbranch_scc1 .LBB92_22
	s_branch .LBB92_20
.LBB92_23:
	s_mov_b64 s[4:5], 0
.LBB92_24:
	s_and_b64 vcc, exec, s[4:5]
	s_cbranch_vccz .LBB92_46
; %bb.25:
	s_add_i32 s4, s22, -1
	s_cmp_gt_i32 s10, 23
	s_mov_b32 s5, s4
	s_cbranch_scc0 .LBB92_27
; %bb.26:
	v_add_u32_e32 v54, 0x1000, v53
	ds_read2_b64 v[1:4], v54 offset0:16 offset1:40
	v_mov_b32_e32 v55, 0
	ds_read_b128 v[5:8], v55 offset:4592
	ds_read_b128 v[35:38], v55 offset:4576
	s_movk_i32 s5, 0xc00
	v_add_u32_e32 v56, 0x800, v53
	v_add_u32_e32 v57, 0x400, v53
	s_waitcnt lgkmcnt(1)
	v_mul_f64 v[47:48], v[7:8], v[3:4]
	v_fma_f64 v[9:10], -v[47:48], v[5:6], v[1:2]
	v_add_u32_e64 v1, s5, 0
	ds_read2_b64 v[5:8], v56 offset0:224 offset1:248
	ds_read2_b64 v[17:20], v1 offset0:116 offset1:166
	;; [unrolled: 1-line block ×3, first 2 shown]
	s_movk_i32 s5, 0x800
	v_add_u32_e64 v116, s5, 0
	s_waitcnt lgkmcnt(2)
	v_fma_f64 v[7:8], -v[47:48], v[37:38], v[7:8]
	s_waitcnt lgkmcnt(1)
	v_mul_f64 v[49:50], v[19:20], v[9:10]
	ds_read2_b64 v[23:26], v56 offset0:176 offset1:200
	ds_read2_b64 v[19:22], v56 offset0:128 offset1:152
	ds_read_b128 v[27:30], v55 offset:4384
	ds_read2_b64 v[13:16], v56 offset0:80 offset1:104
	ds_read2_b64 v[9:12], v56 offset0:32 offset1:56
	ds_read_b128 v[31:34], v55 offset:4368
	v_fma_f64 v[51:52], -v[47:48], v[35:36], v[5:6]
	s_mov_b32 s5, -1
	s_waitcnt lgkmcnt(3)
	v_fma_f64 v[29:30], -v[49:50], v[29:30], v[7:8]
	ds_read_b128 v[39:42], v55 offset:4560
	ds_read2_b64 v[5:8], v57 offset0:112 offset1:136
	ds_read_b128 v[35:38], v55 offset:4192
	ds_read_b128 v[43:46], v55 offset:4544
	ds_read_b128 v[58:61], v55 offset:4224
	s_waitcnt lgkmcnt(4)
	v_fma_f64 v[41:42], -v[47:48], v[41:42], v[25:26]
	v_fma_f64 v[51:52], -v[49:50], v[27:28], v[51:52]
	;; [unrolled: 1-line block ×3, first 2 shown]
	s_waitcnt lgkmcnt(1)
	v_fma_f64 v[45:46], -v[47:48], v[45:46], v[21:22]
	v_fma_f64 v[19:20], -v[47:48], v[43:44], v[19:20]
	v_mul_f64 v[25:26], v[37:38], v[29:30]
	ds_read_b128 v[27:30], v55 offset:4176
	ds_read_b128 v[62:65], v55 offset:4160
	;; [unrolled: 1-line block ×4, first 2 shown]
	v_fma_f64 v[41:42], -v[49:50], v[33:34], v[41:42]
	v_fma_f64 v[90:91], -v[49:50], v[31:32], v[23:24]
	;; [unrolled: 1-line block ×3, first 2 shown]
	ds_read_b128 v[33:36], v55 offset:3792
	ds_read_b128 v[37:40], v55 offset:3776
	;; [unrolled: 1-line block ×4, first 2 shown]
	s_waitcnt lgkmcnt(7)
	v_fma_f64 v[41:42], -v[25:26], v[29:30], v[41:42]
	ds_read_b128 v[21:24], v55 offset:3584
	ds_read_b128 v[29:32], v55 offset:3568
	;; [unrolled: 1-line block ×4, first 2 shown]
	v_fma_f64 v[27:28], -v[25:26], v[27:28], v[90:91]
	s_waitcnt lgkmcnt(5)
	v_fma_f64 v[45:46], -v[49:50], v[76:77], v[45:46]
	v_fma_f64 v[19:20], -v[49:50], v[74:75], v[19:20]
	s_waitcnt lgkmcnt(1)
	v_fma_f64 v[13:14], -v[47:48], v[82:83], v[13:14]
	v_mul_f64 v[17:18], v[17:18], v[51:52]
	s_waitcnt lgkmcnt(0)
	v_fma_f64 v[9:10], -v[47:48], v[86:87], v[9:10]
	v_fma_f64 v[45:46], -v[25:26], v[64:65], v[45:46]
	;; [unrolled: 1-line block ×7, first 2 shown]
	ds_read_b128 v[41:44], v55 offset:4144
	ds_read_b128 v[90:93], v55 offset:4128
	;; [unrolled: 1-line block ×8, first 2 shown]
	v_fma_f64 v[45:46], -v[17:18], v[72:73], v[45:46]
	v_fma_f64 v[13:14], -v[49:50], v[78:79], v[13:14]
	;; [unrolled: 1-line block ×3, first 2 shown]
	v_mul_f64 v[15:16], v[35:36], v[51:52]
	v_fma_f64 v[51:52], -v[49:50], v[80:81], v[68:69]
	s_waitcnt lgkmcnt(7)
	v_fma_f64 v[13:14], -v[25:26], v[41:42], v[13:14]
	v_fma_f64 v[27:28], -v[15:16], v[33:34], v[27:28]
	ds_read_b128 v[33:36], v55 offset:4320
	ds_read_b128 v[80:83], v55 offset:4304
	ds_read2_b64 v[110:113], v116 offset0:144 offset1:194
	v_fma_f64 v[51:52], -v[25:26], v[43:44], v[51:52]
	v_fma_f64 v[39:40], -v[15:16], v[39:40], v[45:46]
	v_fma_f64 v[19:20], -v[15:16], v[37:38], v[19:20]
	ds_read_b128 v[43:46], v55 offset:4496
	ds_read_b128 v[68:71], v55 offset:4480
	s_waitcnt lgkmcnt(10)
	v_fma_f64 v[13:14], -v[17:18], v[94:95], v[13:14]
	s_waitcnt lgkmcnt(4)
	v_fma_f64 v[33:34], -v[49:50], v[33:34], v[9:10]
	s_waitcnt lgkmcnt(2)
	v_mul_f64 v[11:12], v[112:113], v[27:28]
	v_fma_f64 v[27:28], -v[49:50], v[35:36], v[62:63]
	v_fma_f64 v[51:52], -v[17:18], v[96:97], v[51:52]
	s_waitcnt lgkmcnt(1)
	v_fma_f64 v[45:46], -v[47:48], v[45:46], v[7:8]
	s_waitcnt lgkmcnt(0)
	v_fma_f64 v[3:4], -v[47:48], v[70:71], v[3:4]
	v_fma_f64 v[13:14], -v[15:16], v[64:65], v[13:14]
	;; [unrolled: 1-line block ×3, first 2 shown]
	ds_read_b128 v[35:38], v55 offset:3392
	ds_read_b128 v[39:42], v55 offset:3456
	v_fma_f64 v[27:28], -v[25:26], v[92:93], v[27:28]
	v_fma_f64 v[51:52], -v[15:16], v[66:67], v[51:52]
	v_fma_f64 v[62:63], -v[11:12], v[21:22], v[19:20]
	ds_read_b128 v[7:10], v55 offset:3184
	ds_read_b128 v[19:22], v55 offset:3168
	;; [unrolled: 1-line block ×3, first 2 shown]
	v_fma_f64 v[13:14], -v[11:12], v[29:30], v[13:14]
	s_waitcnt lgkmcnt(4)
	v_mul_f64 v[112:113], v[37:38], v[23:24]
	v_fma_f64 v[23:24], -v[49:50], v[82:83], v[45:46]
	v_fma_f64 v[27:28], -v[17:18], v[100:101], v[27:28]
	;; [unrolled: 1-line block ×5, first 2 shown]
	s_waitcnt lgkmcnt(0)
	v_fma_f64 v[23:24], -v[25:26], v[86:87], v[23:24]
	v_fma_f64 v[72:73], -v[15:16], v[76:77], v[27:28]
	;; [unrolled: 1-line block ×4, first 2 shown]
	ds_read_b128 v[31:34], v55 offset:2992
	ds_read_b128 v[35:38], v55 offset:2976
	;; [unrolled: 1-line block ×7, first 2 shown]
	v_fma_f64 v[13:14], -v[112:113], v[102:103], v[13:14]
	v_mul_f64 v[110:111], v[110:111], v[66:67]
	s_waitcnt lgkmcnt(3)
	v_fma_f64 v[29:30], -v[11:12], v[29:30], v[72:73]
	s_waitcnt lgkmcnt(1)
	v_fma_f64 v[23:24], -v[17:18], v[88:89], v[23:24]
	v_fma_f64 v[45:46], -v[15:16], v[74:75], v[45:46]
	ds_read_b128 v[72:75], v55 offset:3728
	ds_read_b128 v[94:97], v55 offset:3712
	v_fma_f64 v[9:10], -v[110:111], v[9:10], v[51:52]
	v_fma_f64 v[51:52], -v[47:48], v[43:44], v[5:6]
	;; [unrolled: 1-line block ×5, first 2 shown]
	ds_read_b128 v[5:8], v55 offset:2960
	ds_read_b128 v[27:30], v55 offset:2784
	;; [unrolled: 1-line block ×3, first 2 shown]
	v_mul_f64 v[114:115], v[33:34], v[9:10]
	s_waitcnt lgkmcnt(4)
	v_fma_f64 v[9:10], -v[15:16], v[74:75], v[23:24]
	v_fma_f64 v[51:52], -v[49:50], v[80:81], v[51:52]
	;; [unrolled: 1-line block ×6, first 2 shown]
	ds_read2_b64 v[21:24], v116 offset0:44 offset1:94
	ds_read_b128 v[31:34], v55 offset:3344
	ds_read_b128 v[78:81], v55 offset:3328
	v_fma_f64 v[51:52], -v[25:26], v[84:85], v[51:52]
	v_fma_f64 v[37:38], -v[114:115], v[37:38], v[74:75]
	;; [unrolled: 1-line block ×3, first 2 shown]
	ds_read_b128 v[82:85], v55 offset:3152
	ds_read_b128 v[98:101], v55 offset:3136
	ds_read_b128 v[102:105], v55 offset:4288
	ds_read_b128 v[106:109], v55 offset:4272
	s_waitcnt lgkmcnt(6)
	v_mul_f64 v[13:14], v[23:24], v[13:14]
	s_waitcnt lgkmcnt(5)
	v_fma_f64 v[9:10], -v[112:113], v[33:34], v[9:10]
	v_fma_f64 v[19:20], -v[114:115], v[35:36], v[19:20]
	;; [unrolled: 1-line block ×4, first 2 shown]
	s_waitcnt lgkmcnt(3)
	v_fma_f64 v[9:10], -v[110:111], v[84:85], v[9:10]
	ds_read_b128 v[33:36], v55 offset:2592
	ds_read_b128 v[84:87], v55 offset:2688
	v_fma_f64 v[37:38], -v[47:48], v[68:69], v[1:2]
	s_waitcnt lgkmcnt(3)
	v_fma_f64 v[51:52], -v[49:50], v[104:105], v[3:4]
	v_fma_f64 v[19:20], -v[13:14], v[27:28], v[19:20]
	ds_read_b128 v[1:4], v55 offset:2944
	s_waitcnt lgkmcnt(2)
	v_mul_f64 v[116:117], v[35:36], v[23:24]
	v_fma_f64 v[23:24], -v[15:16], v[72:73], v[29:30]
	v_fma_f64 v[66:67], -v[114:115], v[7:8], v[9:10]
	ds_read2_b64 v[7:10], v53 offset0:144 offset1:168
	ds_read_b128 v[27:30], v55 offset:4464
	v_fma_f64 v[37:38], -v[49:50], v[102:103], v[37:38]
	v_fma_f64 v[51:52], -v[25:26], v[64:65], v[51:52]
	ds_read_b128 v[68:71], v55 offset:4064
	s_waitcnt lgkmcnt(1)
	v_fma_f64 v[29:30], -v[47:48], v[29:30], v[9:10]
	v_fma_f64 v[23:24], -v[11:12], v[76:77], v[23:24]
	;; [unrolled: 1-line block ×6, first 2 shown]
	ds_read_b128 v[33:36], v55 offset:2576
	ds_read_b128 v[64:67], v55 offset:4448
	v_fma_f64 v[62:63], -v[49:50], v[108:109], v[29:30]
	v_fma_f64 v[23:24], -v[112:113], v[31:32], v[23:24]
	;; [unrolled: 1-line block ×3, first 2 shown]
	ds_read_b128 v[27:30], v55 offset:4080
	v_fma_f64 v[72:73], -v[17:18], v[90:91], v[37:38]
	v_fma_f64 v[51:52], -v[15:16], v[96:97], v[51:52]
	v_mul_f64 v[118:119], v[21:22], v[19:20]
	ds_read_b128 v[19:22], v55 offset:2560
	ds_read_b128 v[7:10], v55 offset:2384
	s_waitcnt lgkmcnt(2)
	v_fma_f64 v[62:63], -v[25:26], v[29:30], v[62:63]
	v_fma_f64 v[76:77], -v[49:50], v[106:107], v[31:32]
	ds_read_b128 v[29:32], v55 offset:3504
	v_fma_f64 v[45:46], -v[116:117], v[35:36], v[45:46]
	ds_read_b128 v[35:38], v55 offset:3520
	v_fma_f64 v[23:24], -v[110:111], v[82:83], v[23:24]
	s_waitcnt lgkmcnt(0)
	v_fma_f64 v[37:38], -v[11:12], v[37:38], v[51:52]
	v_fma_f64 v[51:52], -v[15:16], v[94:95], v[72:73]
	ds_read_b128 v[72:75], v55 offset:3888
	ds_read_b128 v[88:91], v55 offset:2368
	v_fma_f64 v[9:10], -v[118:119], v[9:10], v[45:46]
	v_fma_f64 v[27:28], -v[25:26], v[27:28], v[76:77]
	;; [unrolled: 1-line block ×3, first 2 shown]
	s_waitcnt lgkmcnt(1)
	v_fma_f64 v[45:46], -v[17:18], v[74:75], v[62:63]
	ds_read_b128 v[74:77], v55 offset:2192
	v_fma_f64 v[62:63], -v[112:113], v[80:81], v[37:38]
	v_fma_f64 v[51:52], -v[11:12], v[35:36], v[51:52]
	ds_read_b128 v[35:38], v55 offset:3696
	ds_read_b128 v[80:83], v55 offset:3680
	v_fma_f64 v[23:24], -v[17:18], v[72:73], v[27:28]
	ds_read_b128 v[92:95], v55 offset:3872
	s_waitcnt lgkmcnt(2)
	v_fma_f64 v[27:28], -v[15:16], v[37:38], v[45:46]
	v_fma_f64 v[37:38], -v[110:111], v[100:101], v[62:63]
	;; [unrolled: 1-line block ×4, first 2 shown]
	ds_read_b128 v[43:46], v55 offset:2176
	v_fma_f64 v[23:24], -v[15:16], v[35:36], v[23:24]
	v_mul_f64 v[108:109], v[76:77], v[9:10]
	ds_read_b128 v[76:79], v55 offset:3120
	v_fma_f64 v[9:10], -v[11:12], v[31:32], v[27:28]
	v_fma_f64 v[72:73], -v[114:115], v[3:4], v[37:38]
	ds_read_b128 v[3:6], v55 offset:3312
	v_fma_f64 v[51:52], -v[110:111], v[98:99], v[51:52]
	v_fma_f64 v[62:63], -v[116:117], v[33:34], v[62:63]
	ds_read_b128 v[31:34], v55 offset:2752
	ds_read_b128 v[35:38], v55 offset:2736
	v_fma_f64 v[23:24], -v[11:12], v[29:30], v[23:24]
	ds_read_b128 v[27:30], v55 offset:3296
	s_waitcnt lgkmcnt(3)
	v_fma_f64 v[5:6], -v[112:113], v[5:6], v[9:10]
	s_waitcnt lgkmcnt(2)
	v_fma_f64 v[9:10], -v[13:14], v[33:34], v[72:73]
	v_fma_f64 v[33:34], -v[114:115], v[1:2], v[51:52]
	;; [unrolled: 1-line block ×4, first 2 shown]
	ds_read_b128 v[1:4], v55 offset:3104
	v_fma_f64 v[72:73], -v[110:111], v[78:79], v[5:6]
	ds_read_b128 v[5:8], v55 offset:2928
	v_fma_f64 v[9:10], -v[116:117], v[21:22], v[9:10]
	v_fma_f64 v[78:79], -v[13:14], v[31:32], v[33:34]
	;; [unrolled: 1-line block ×3, first 2 shown]
	ds_read_b128 v[31:34], v55 offset:2912
	v_fma_f64 v[62:63], -v[110:111], v[76:77], v[62:63]
	ds_read2_b64 v[21:24], v55 offset0:200 offset1:250
	s_waitcnt lgkmcnt(2)
	v_fma_f64 v[7:8], -v[114:115], v[7:8], v[72:73]
	v_fma_f64 v[9:10], -v[118:119], v[90:91], v[9:10]
	v_fma_f64 v[19:20], -v[116:117], v[19:20], v[78:79]
	s_waitcnt lgkmcnt(0)
	v_mul_f64 v[51:52], v[23:24], v[51:52]
	v_fma_f64 v[62:63], -v[114:115], v[5:6], v[62:63]
	v_fma_f64 v[23:24], -v[13:14], v[37:38], v[7:8]
	ds_read_b128 v[5:8], v55 offset:2544
	ds_read_b128 v[72:75], v55 offset:1984
	v_fma_f64 v[45:46], -v[108:109], v[45:46], v[9:10]
	v_fma_f64 v[19:20], -v[118:119], v[88:89], v[19:20]
	;; [unrolled: 1-line block ×3, first 2 shown]
	ds_read_b128 v[35:38], v55 offset:2528
	s_waitcnt lgkmcnt(2)
	v_fma_f64 v[23:24], -v[116:117], v[7:8], v[23:24]
	ds_read_b128 v[7:10], v55 offset:1968
	s_waitcnt lgkmcnt(2)
	v_fma_f64 v[78:79], -v[51:52], v[74:75], v[45:46]
	v_fma_f64 v[19:20], -v[108:109], v[43:44], v[19:20]
	ds_read_b128 v[43:46], v55 offset:2352
	ds_read2_b64 v[74:77], v53 offset0:96 offset1:120
	ds_read_b128 v[88:91], v55 offset:1792
	ds_read_b128 v[100:103], v55 offset:1920
	;; [unrolled: 1-line block ×3, first 2 shown]
	v_fma_f64 v[5:6], -v[116:117], v[5:6], v[62:63]
	s_waitcnt lgkmcnt(4)
	v_fma_f64 v[23:24], -v[118:119], v[45:46], v[23:24]
	s_waitcnt lgkmcnt(3)
	v_fma_f64 v[66:67], -v[47:48], v[66:67], v[76:77]
	ds_read_b128 v[96:99], v55 offset:2336
	s_waitcnt lgkmcnt(3)
	v_mul_f64 v[120:121], v[90:91], v[78:79]
	v_fma_f64 v[19:20], -v[51:52], v[72:73], v[19:20]
	v_fma_f64 v[90:91], -v[47:48], v[64:65], v[74:75]
	;; [unrolled: 1-line block ×3, first 2 shown]
	ds_read_b128 v[43:46], v55 offset:4256
	ds_read_b128 v[76:79], v55 offset:2144
	s_waitcnt lgkmcnt(3)
	v_fma_f64 v[23:24], -v[108:109], v[106:107], v[23:24]
	ds_read_b128 v[62:65], v55 offset:4240
	ds_read_b128 v[72:75], v55 offset:1776
	s_waitcnt lgkmcnt(3)
	v_fma_f64 v[45:46], -v[49:50], v[45:46], v[66:67]
	v_fma_f64 v[19:20], -v[120:121], v[88:89], v[19:20]
	;; [unrolled: 1-line block ×6, first 2 shown]
	v_mul_f64 v[104:105], v[21:22], v[19:20]
	ds_read_b128 v[19:22], v55 offset:1760
	v_fma_f64 v[70:71], -v[51:52], v[7:8], v[5:6]
	ds_read_b128 v[5:8], v55 offset:1584
	s_waitcnt lgkmcnt(2)
	v_fma_f64 v[9:10], -v[120:121], v[74:75], v[9:10]
	v_fma_f64 v[74:75], -v[25:26], v[68:69], v[43:44]
	ds_read2_b64 v[43:46], v53 offset0:48 offset1:72
	ds_read_b128 v[66:69], v55 offset:1568
	v_fma_f64 v[23:24], -v[17:18], v[94:95], v[23:24]
	v_fma_f64 v[106:107], -v[120:121], v[72:73], v[70:71]
	s_waitcnt lgkmcnt(2)
	v_fma_f64 v[94:95], -v[104:105], v[7:8], v[9:10]
	ds_read_b128 v[7:10], v55 offset:4432
	ds_read_b128 v[70:73], v55 offset:1392
	v_fma_f64 v[74:75], -v[17:18], v[92:93], v[74:75]
	v_fma_f64 v[23:24], -v[15:16], v[82:83], v[23:24]
	ds_read_b128 v[88:91], v55 offset:4416
	s_waitcnt lgkmcnt(2)
	v_fma_f64 v[82:83], -v[47:48], v[9:10], v[45:46]
	v_fma_f64 v[92:93], -v[47:48], v[7:8], v[43:44]
	ds_read_b128 v[43:46], v55 offset:3488
	s_waitcnt lgkmcnt(2)
	v_mul_f64 v[94:95], v[72:73], v[94:95]
	v_fma_f64 v[5:6], -v[104:105], v[5:6], v[106:107]
	v_fma_f64 v[106:107], -v[15:16], v[80:81], v[74:75]
	ds_read_b128 v[72:75], v55 offset:3472
	s_waitcnt lgkmcnt(1)
	v_fma_f64 v[23:24], -v[11:12], v[45:46], v[23:24]
	v_fma_f64 v[122:123], -v[49:50], v[64:65], v[82:83]
	;; [unrolled: 1-line block ×3, first 2 shown]
	ds_read_b128 v[62:65], v55 offset:4048
	ds_read2_b64 v[80:83], v53 offset1:24
	v_fma_f64 v[124:125], -v[94:95], v[70:71], v[5:6]
	v_fma_f64 v[5:6], -v[11:12], v[43:44], v[106:107]
	ds_read_b128 v[43:46], v55 offset:4032
	v_fma_f64 v[23:24], -v[112:113], v[29:30], v[23:24]
	s_waitcnt lgkmcnt(2)
	v_fma_f64 v[70:71], -v[25:26], v[64:65], v[122:123]
	v_fma_f64 v[92:93], -v[25:26], v[62:63], v[92:93]
	s_waitcnt lgkmcnt(1)
	v_fma_f64 v[82:83], -v[47:48], v[90:91], v[82:83]
	ds_read_b128 v[62:65], v55 offset:3856
	v_fma_f64 v[88:89], -v[47:48], v[88:89], v[80:81]
	v_fma_f64 v[90:91], -v[112:113], v[27:28], v[5:6]
	ds_read_b128 v[27:30], v55 offset:3840
	v_fma_f64 v[23:24], -v[110:111], v[3:4], v[23:24]
	s_waitcnt lgkmcnt(1)
	v_fma_f64 v[64:65], -v[17:18], v[64:65], v[70:71]
	v_fma_f64 v[70:71], -v[17:18], v[62:63], v[92:93]
	;; [unrolled: 1-line block ×3, first 2 shown]
	ds_read_b128 v[3:6], v55 offset:3664
	ds_read_b128 v[60:63], v55 offset:3648
	v_fma_f64 v[58:59], -v[49:50], v[58:59], v[88:89]
	ds_read_b128 v[80:83], v55 offset:2720
	v_fma_f64 v[23:24], -v[114:115], v[33:34], v[23:24]
	s_waitcnt lgkmcnt(2)
	v_fma_f64 v[5:6], -v[15:16], v[5:6], v[64:65]
	v_fma_f64 v[33:34], -v[110:111], v[1:2], v[90:91]
	v_fma_f64 v[45:46], -v[25:26], v[45:46], v[92:93]
	ds_read_b128 v[88:91], v55 offset:2704
	v_fma_f64 v[64:65], -v[15:16], v[3:4], v[70:71]
	v_fma_f64 v[58:59], -v[25:26], v[43:44], v[58:59]
	ds_read_b128 v[1:4], v55 offset:3280
	s_waitcnt lgkmcnt(2)
	v_fma_f64 v[23:24], -v[13:14], v[82:83], v[23:24]
	v_fma_f64 v[5:6], -v[11:12], v[74:75], v[5:6]
	;; [unrolled: 1-line block ×4, first 2 shown]
	ds_read_b128 v[43:46], v55 offset:3264
	ds_read_b128 v[7:10], v55 offset:1376
	v_fma_f64 v[27:28], -v[17:18], v[27:28], v[58:59]
	v_fma_f64 v[23:24], -v[116:117], v[37:38], v[23:24]
	s_waitcnt lgkmcnt(2)
	v_fma_f64 v[70:71], -v[112:113], v[3:4], v[5:6]
	v_fma_f64 v[37:38], -v[11:12], v[72:73], v[64:65]
	;; [unrolled: 1-line block ×3, first 2 shown]
	ds_read_b128 v[3:6], v55 offset:3088
	ds_read_b128 v[29:32], v55 offset:3072
	v_fma_f64 v[27:28], -v[15:16], v[60:61], v[27:28]
	ds_read_b128 v[62:65], v55 offset:2896
	v_fma_f64 v[23:24], -v[118:119], v[98:99], v[23:24]
	s_waitcnt lgkmcnt(2)
	v_fma_f64 v[5:6], -v[110:111], v[5:6], v[70:71]
	v_fma_f64 v[1:2], -v[112:113], v[1:2], v[37:38]
	;; [unrolled: 1-line block ×4, first 2 shown]
	ds_read_b128 v[70:73], v55 offset:2880
	v_fma_f64 v[27:28], -v[11:12], v[39:40], v[27:28]
	ds_read2_b64 v[58:61], v55 offset0:100 offset1:150
	v_fma_f64 v[23:24], -v[108:109], v[78:79], v[23:24]
	s_waitcnt lgkmcnt(2)
	v_fma_f64 v[5:6], -v[114:115], v[64:65], v[5:6]
	v_fma_f64 v[41:42], -v[110:111], v[3:4], v[1:2]
	;; [unrolled: 1-line block ×3, first 2 shown]
	ds_read_b128 v[78:81], v55 offset:1952
	v_fma_f64 v[45:46], -v[116:117], v[35:36], v[33:34]
	v_fma_f64 v[27:28], -v[112:113], v[43:44], v[27:28]
	ds_read_b128 v[33:36], v55 offset:2512
	ds_read_b128 v[1:4], v55 offset:1936
	v_fma_f64 v[5:6], -v[13:14], v[90:91], v[5:6]
	s_waitcnt lgkmcnt(2)
	v_fma_f64 v[23:24], -v[51:52], v[80:81], v[23:24]
	v_fma_f64 v[41:42], -v[114:115], v[62:63], v[41:42]
	;; [unrolled: 1-line block ×4, first 2 shown]
	ds_read_b128 v[37:40], v55 offset:2496
	v_fma_f64 v[64:65], -v[110:111], v[29:30], v[27:28]
	ds_read_b128 v[27:30], v55 offset:2304
	s_waitcnt lgkmcnt(3)
	v_fma_f64 v[5:6], -v[116:117], v[35:36], v[5:6]
	v_fma_f64 v[35:36], -v[120:121], v[21:22], v[23:24]
	;; [unrolled: 1-line block ×4, first 2 shown]
	ds_read_b128 v[21:24], v55 offset:2320
	v_fma_f64 v[45:46], -v[108:109], v[76:77], v[45:46]
	v_fma_f64 v[64:65], -v[114:115], v[70:71], v[64:65]
	ds_read_b128 v[41:44], v55 offset:2128
	s_waitcnt lgkmcnt(1)
	v_fma_f64 v[5:6], -v[118:119], v[23:24], v[5:6]
	v_fma_f64 v[23:24], -v[104:105], v[68:69], v[35:36]
	;; [unrolled: 1-line block ×5, first 2 shown]
	ds_read_b128 v[31:34], v55 offset:2112
	v_mul_f64 v[68:69], v[60:61], v[124:125]
	v_fma_f64 v[60:61], -v[13:14], v[84:85], v[64:65]
	s_waitcnt lgkmcnt(1)
	v_fma_f64 v[5:6], -v[108:109], v[43:44], v[5:6]
	v_fma_f64 v[9:10], -v[94:95], v[9:10], v[23:24]
	v_fma_f64 v[35:36], -v[118:119], v[21:22], v[35:36]
	v_fma_f64 v[39:40], -v[116:117], v[39:40], v[62:63]
	ds_read_b128 v[21:24], v55 offset:1184
	v_fma_f64 v[19:20], -v[120:121], v[19:20], v[45:46]
	v_fma_f64 v[62:63], -v[51:52], v[3:4], v[5:6]
	s_waitcnt lgkmcnt(0)
	v_fma_f64 v[9:10], -v[68:69], v[23:24], v[9:10]
	v_fma_f64 v[64:65], -v[108:109], v[41:42], v[35:36]
	;; [unrolled: 1-line block ×4, first 2 shown]
	ds_read_b128 v[3:6], v55 offset:1744
	ds_read_b128 v[43:46], v55 offset:1168
	v_fma_f64 v[19:20], -v[104:105], v[66:67], v[19:20]
	ds_read_b128 v[39:42], v55 offset:1552
	ds_read_b128 v[35:38], v55 offset:1728
	s_waitcnt lgkmcnt(3)
	v_fma_f64 v[66:67], -v[120:121], v[5:6], v[62:63]
	v_fma_f64 v[1:2], -v[51:52], v[1:2], v[64:65]
	;; [unrolled: 1-line block ×4, first 2 shown]
	ds_read_b128 v[60:63], v55 offset:992
	v_fma_f64 v[19:20], -v[94:95], v[7:8], v[19:20]
	ds_read_b128 v[5:8], v55 offset:1536
	ds_read_b128 v[27:30], v55 offset:1360
	s_waitcnt lgkmcnt(4)
	v_fma_f64 v[41:42], -v[104:105], v[41:42], v[66:67]
	v_fma_f64 v[64:65], -v[120:121], v[3:4], v[1:2]
	;; [unrolled: 1-line block ×4, first 2 shown]
	ds_read_b128 v[1:4], v55 offset:1152
	s_waitcnt lgkmcnt(3)
	v_mul_f64 v[62:63], v[62:63], v[9:10]
	v_fma_f64 v[9:10], -v[68:69], v[21:22], v[19:20]
	ds_read_b128 v[19:22], v55 offset:1344
	s_waitcnt lgkmcnt(2)
	v_fma_f64 v[29:30], -v[94:95], v[29:30], v[41:42]
	v_fma_f64 v[39:40], -v[104:105], v[39:40], v[64:65]
	;; [unrolled: 1-line block ×9, first 2 shown]
	ds_read_b128 v[29:32], v55 offset:976
	v_mul_f64 v[35:36], v[58:59], v[9:10]
	ds_read_b128 v[7:10], v55 offset:960
	s_waitcnt lgkmcnt(1)
	v_fma_f64 v[37:38], -v[62:63], v[31:32], v[37:38]
	v_fma_f64 v[27:28], -v[68:69], v[43:44], v[27:28]
	;; [unrolled: 1-line block ×4, first 2 shown]
	ds_read_b128 v[21:24], v55 offset:784
	ds_read_b128 v[31:34], v55 offset:768
	s_waitcnt lgkmcnt(1)
	v_fma_f64 v[23:24], -v[35:36], v[23:24], v[37:38]
	v_fma_f64 v[37:38], -v[62:63], v[29:30], v[27:28]
	;; [unrolled: 1-line block ×4, first 2 shown]
	ds_read_b128 v[3:6], v55 offset:592
	ds_read_b128 v[27:30], v55 offset:576
	s_waitcnt lgkmcnt(1)
	v_mul_f64 v[23:24], v[5:6], v[23:24]
	v_fma_f64 v[5:6], -v[35:36], v[21:22], v[37:38]
	v_fma_f64 v[9:10], -v[62:63], v[9:10], v[39:40]
	;; [unrolled: 1-line block ×6, first 2 shown]
	ds_read2_b64 v[1:4], v55 offset1:50
	s_waitcnt lgkmcnt(0)
	v_mul_f64 v[19:20], v[3:4], v[5:6]
	v_fma_f64 v[21:22], -v[23:24], v[29:30], v[9:10]
	v_fma_f64 v[29:30], -v[35:36], v[31:32], v[7:8]
	ds_read_b128 v[3:6], v55 offset:384
	ds_read_b128 v[7:10], v55 offset:192
	ds_write2_b64 v54, v[49:50], v[47:48] offset0:16 offset1:40
	ds_write2_b64 v56, v[17:18], v[25:26] offset0:224 offset1:248
	;; [unrolled: 1-line block ×4, first 2 shown]
	s_waitcnt lgkmcnt(5)
	v_fma_f64 v[5:6], -v[19:20], v[5:6], v[21:22]
	v_fma_f64 v[21:22], -v[23:24], v[27:28], v[29:30]
	s_waitcnt lgkmcnt(4)
	v_mul_f64 v[5:6], v[9:10], v[5:6]
	v_fma_f64 v[3:4], -v[19:20], v[3:4], v[21:22]
	v_fma_f64 v[3:4], -v[5:6], v[7:8], v[3:4]
	v_mul_f64 v[1:2], v[1:2], v[3:4]
	ds_write2_b64 v56, v[13:14], v[114:115] offset0:80 offset1:104
	ds_write2_b64 v56, v[118:119], v[116:117] offset0:32 offset1:56
	;; [unrolled: 1-line block ×7, first 2 shown]
	ds_write2_b64 v53, v[1:2], v[5:6] offset1:24
.LBB92_27:
	s_cmp_gt_i32 s5, -1
	s_cbranch_scc0 .LBB92_46
; %bb.28:
	s_cmp_lt_u32 s5, 19
	s_cbranch_scc1 .LBB92_33
; %bb.29:
	s_mul_i32 s8, s5, 0xc0
	v_add_u32_e32 v41, s8, v53
	v_add_u32_e32 v1, 0xffffff40, v41
	v_add_u32_e32 v2, 0xfffffe80, v41
	v_add_u32_e32 v3, 0xfffffdc0, v41
	ds_read_b64 v[5:6], v41
	ds_read_b64 v[39:40], v1
	ds_read_b64 v[9:10], v2
	ds_read_b64 v[11:12], v3
	v_add_u32_e32 v1, 0xfffffd00, v41
	v_add_u32_e32 v2, 0xfffffc40, v41
	v_add_u32_e32 v3, 0xfffffb80, v41
	v_add_u32_e32 v4, 0xfffffac0, v41
	ds_read_b64 v[37:38], v1
	ds_read_b64 v[13:14], v2
	ds_read_b64 v[15:16], v3
	ds_read_b64 v[17:18], v4
	;; [unrolled: 8-line block ×5, first 2 shown]
	s_cmp_le_i32 s4, s5
	s_cbranch_scc1 .LBB92_32
; %bb.30:
	s_mul_i32 s10, s22, 0xc0
	s_lshl_b32 s11, s5, 3
	v_lshl_add_u32 v42, v0, 3, s10
	s_add_i32 s10, s10, s11
	v_add_u32_e32 v42, 0x1140, v42
	s_addk_i32 s10, 0xfea8
	s_mov_b32 s11, s4
.LBB92_31:                              ; =>This Inner Loop Header: Depth=1
	v_mov_b32_e32 v82, s10
	ds_read_b64 v[51:52], v42
	ds_read2_b64 v[43:46], v82 offset0:18 offset1:19
	ds_read2_b64 v[47:50], v82 offset0:16 offset1:17
	;; [unrolled: 1-line block ×9, first 2 shown]
	ds_read2_b64 v[82:85], v82 offset1:1
	s_add_i32 s11, s11, -1
	s_addk_i32 s10, 0xff40
	s_cmp_gt_i32 s11, s5
	s_waitcnt lgkmcnt(9)
	v_fma_f64 v[5:6], -v[51:52], v[45:46], v[5:6]
	v_fma_f64 v[39:40], -v[51:52], v[43:44], v[39:40]
	s_waitcnt lgkmcnt(8)
	v_fma_f64 v[9:10], -v[51:52], v[49:50], v[9:10]
	v_fma_f64 v[11:12], -v[51:52], v[47:48], v[11:12]
	;; [unrolled: 3-line block ×10, first 2 shown]
	v_add_u32_e32 v42, 0xffffff40, v42
	s_cbranch_scc1 .LBB92_31
.LBB92_32:
	s_lshl_b32 s16, s5, 3
	s_add_i32 s10, s16, -8
	s_add_i32 s11, s10, s8
	v_mov_b32_e32 v42, s11
	ds_read2_b64 v[42:45], v42 offset1:1
	s_addk_i32 s11, 0xff40
	v_mov_b32_e32 v46, s11
	ds_read_b64 v[50:51], v46
	s_sub_i32 s14, s16, 24
	s_waitcnt lgkmcnt(1)
	v_mul_f64 v[5:6], v[44:45], v[5:6]
	s_add_i32 s18, s14, s8
	s_add_i32 s10, s8, 0xffffff40
	;; [unrolled: 1-line block ×3, first 2 shown]
	v_mov_b32_e32 v46, s19
	s_add_i32 s11, s8, 0xfffffe80
	s_sub_i32 s15, s16, 40
	s_add_i32 s14, s14, s11
	v_fma_f64 v[39:40], -v[5:6], v[42:43], v[39:40]
	v_mov_b32_e32 v42, s18
	ds_read2_b64 v[42:45], v42 offset1:1
	ds_read2_b64 v[46:49], v46 offset1:1
	s_add_i32 s19, s15, s8
	s_add_i32 s20, s15, s10
	v_mov_b32_e32 v52, s20
	s_waitcnt lgkmcnt(1)
	v_fma_f64 v[44:45], -v[5:6], v[44:45], v[9:10]
	v_mul_f64 v[9:10], v[50:51], v[39:40]
	v_fma_f64 v[11:12], -v[5:6], v[42:43], v[11:12]
	v_mov_b32_e32 v50, s14
	v_mov_b32_e32 v51, s19
	s_add_i32 s14, s18, 0xfffffdc0
	v_mov_b32_e32 v58, s14
	s_add_i32 s14, s15, s11
	s_add_i32 s12, s8, 0xfffffdc0
	s_waitcnt lgkmcnt(0)
	v_fma_f64 v[39:40], -v[9:10], v[48:49], v[44:45]
	ds_read2_b64 v[42:45], v51 offset1:1
	ds_read2_b64 v[48:51], v50 offset1:1
	;; [unrolled: 1-line block ×3, first 2 shown]
	ds_read_b64 v[58:59], v58
	s_sub_i32 s17, s16, 56
	s_add_i32 s18, s15, s12
	s_waitcnt lgkmcnt(3)
	v_fma_f64 v[37:38], -v[5:6], v[44:45], v[37:38]
	v_fma_f64 v[44:45], -v[9:10], v[46:47], v[11:12]
	;; [unrolled: 1-line block ×3, first 2 shown]
	s_waitcnt lgkmcnt(2)
	v_mul_f64 v[11:12], v[50:51], v[39:40]
	s_add_i32 s20, s17, s8
	v_mov_b32_e32 v42, s18
	v_mov_b32_e32 v52, s20
	s_add_i32 s21, s17, s10
	s_waitcnt lgkmcnt(1)
	v_fma_f64 v[46:47], -v[9:10], v[56:57], v[37:38]
	v_mov_b32_e32 v37, s14
	ds_read2_b64 v[37:40], v37 offset1:1
	v_fma_f64 v[48:49], -v[11:12], v[48:49], v[44:45]
	ds_read2_b64 v[42:45], v42 offset1:1
	v_fma_f64 v[50:51], -v[9:10], v[54:55], v[13:14]
	v_mov_b32_e32 v54, s21
	s_add_i32 s13, s8, 0xfffffd00
	s_waitcnt lgkmcnt(1)
	v_fma_f64 v[39:40], -v[11:12], v[39:40], v[46:47]
	s_add_i32 s15, s15, s13
	s_add_i32 s14, s17, s11
	v_mul_f64 v[13:14], v[58:59], v[48:49]
	ds_read2_b64 v[46:49], v52 offset1:1
	ds_read2_b64 v[54:57], v54 offset1:1
	v_mov_b32_e32 v52, s15
	v_mov_b32_e32 v60, s14
	s_add_i32 s15, s19, 0xfffffc40
	s_waitcnt lgkmcnt(1)
	v_fma_f64 v[15:16], -v[5:6], v[48:49], v[15:16]
	v_fma_f64 v[48:49], -v[11:12], v[37:38], v[50:51]
	;; [unrolled: 1-line block ×3, first 2 shown]
	ds_read2_b64 v[37:40], v52 offset1:1
	s_add_i32 s14, s17, s12
	v_mov_b32_e32 v50, s15
	ds_read_b64 v[50:51], v50
	v_fma_f64 v[17:18], -v[5:6], v[46:47], v[17:18]
	s_waitcnt lgkmcnt(2)
	v_fma_f64 v[56:57], -v[9:10], v[56:57], v[15:16]
	v_fma_f64 v[58:59], -v[13:14], v[42:43], v[48:49]
	s_waitcnt lgkmcnt(1)
	v_mul_f64 v[15:16], v[39:40], v[44:45]
	ds_read2_b64 v[42:45], v60 offset1:1
	v_mov_b32_e32 v39, s14
	ds_read2_b64 v[46:49], v39 offset1:1
	s_add_i32 s14, s17, s13
	v_fma_f64 v[17:18], -v[9:10], v[54:55], v[17:18]
	s_waitcnt lgkmcnt(1)
	v_fma_f64 v[39:40], -v[11:12], v[44:45], v[56:57]
	s_add_i32 s15, s8, 0xfffffc40
	v_fma_f64 v[54:55], -v[15:16], v[37:38], v[58:59]
	v_mov_b32_e32 v37, s14
	s_add_i32 s14, s17, s15
	v_mov_b32_e32 v44, s14
	s_add_i32 s24, s16, 0xffffffb8
	v_fma_f64 v[56:57], -v[11:12], v[42:43], v[17:18]
	s_waitcnt lgkmcnt(0)
	v_fma_f64 v[48:49], -v[13:14], v[48:49], v[39:40]
	ds_read2_b64 v[37:40], v37 offset1:1
	ds_read2_b64 v[42:45], v44 offset1:1
	v_mul_f64 v[17:18], v[50:51], v[54:55]
	s_add_i32 s19, s24, s8
	s_add_i32 s14, s8, 0xfffffb80
	;; [unrolled: 1-line block ×3, first 2 shown]
	v_mov_b32_e32 v52, s17
	s_waitcnt lgkmcnt(1)
	v_fma_f64 v[39:40], -v[15:16], v[39:40], v[48:49]
	v_fma_f64 v[48:49], -v[13:14], v[46:47], v[56:57]
	s_add_i32 s17, s24, s10
	s_add_i32 s18, s24, s14
	;; [unrolled: 1-line block ×6, first 2 shown]
	s_waitcnt lgkmcnt(0)
	v_fma_f64 v[50:51], -v[17:18], v[44:45], v[39:40]
	v_mov_b32_e32 v39, s19
	ds_read2_b64 v[44:47], v39 offset1:1
	v_fma_f64 v[54:55], -v[15:16], v[37:38], v[48:49]
	v_mov_b32_e32 v37, s17
	ds_read2_b64 v[37:40], v37 offset1:1
	s_add_i32 s17, s20, 0xfffffac0
	s_waitcnt lgkmcnt(1)
	v_fma_f64 v[56:57], -v[5:6], v[46:47], v[21:22]
	ds_read2_b64 v[46:49], v52 offset1:1
	v_mov_b32_e32 v21, s17
	ds_read_b64 v[58:59], v21
	s_add_i32 s17, s24, s11
	v_fma_f64 v[54:55], -v[17:18], v[42:43], v[54:55]
	v_mov_b32_e32 v42, s17
	s_waitcnt lgkmcnt(1)
	v_mul_f64 v[21:22], v[48:49], v[50:51]
	v_fma_f64 v[39:40], -v[9:10], v[39:40], v[56:57]
	ds_read2_b64 v[48:51], v42 offset1:1
	v_fma_f64 v[25:26], -v[5:6], v[44:45], v[25:26]
	s_add_i32 s17, s24, s12
	v_mov_b32_e32 v42, s17
	ds_read2_b64 v[42:45], v42 offset1:1
	s_add_i32 s17, s24, s13
	s_addk_i32 s19, 0xf940
	s_waitcnt lgkmcnt(1)
	v_fma_f64 v[39:40], -v[11:12], v[50:51], v[39:40]
	v_fma_f64 v[50:51], -v[21:22], v[46:47], v[54:55]
	;; [unrolled: 1-line block ×3, first 2 shown]
	v_mov_b32_e32 v37, s17
	s_add_i32 s17, s24, s15
	s_add_i32 s26, s27, s8
	ds_write_b64 v41, v[5:6]
	s_sub_i32 s5, s5, 20
	s_waitcnt lgkmcnt(1)
	v_fma_f64 v[54:55], -v[13:14], v[44:45], v[39:40]
	ds_read2_b64 v[37:40], v37 offset1:1
	v_mov_b32_e32 v44, s17
	v_fma_f64 v[25:26], -v[11:12], v[48:49], v[25:26]
	ds_read2_b64 v[44:47], v44 offset1:1
	s_add_i32 s17, s8, 0xfffffac0
	s_waitcnt lgkmcnt(1)
	v_fma_f64 v[39:40], -v[15:16], v[39:40], v[54:55]
	v_fma_f64 v[42:43], -v[13:14], v[42:43], v[25:26]
	v_mul_f64 v[25:26], v[58:59], v[50:51]
	s_waitcnt lgkmcnt(0)
	v_fma_f64 v[50:51], -v[17:18], v[46:47], v[39:40]
	v_mov_b32_e32 v39, s18
	ds_read2_b64 v[46:49], v39 offset1:1
	v_fma_f64 v[42:43], -v[15:16], v[37:38], v[42:43]
	s_add_i32 s18, s24, s17
	v_mov_b32_e32 v37, s18
	s_add_i32 s18, s23, s10
	ds_read2_b64 v[37:40], v37 offset1:1
	s_waitcnt lgkmcnt(1)
	v_fma_f64 v[54:55], -v[21:22], v[48:49], v[50:51]
	v_mov_b32_e32 v48, s21
	ds_read2_b64 v[48:51], v48 offset1:1
	v_fma_f64 v[56:57], -v[17:18], v[44:45], v[42:43]
	v_mov_b32_e32 v42, s18
	ds_read2_b64 v[42:45], v42 offset1:1
	s_add_i32 s18, s8, 0xfffffa00
	s_waitcnt lgkmcnt(1)
	v_fma_f64 v[35:36], -v[5:6], v[50:51], v[35:36]
	s_add_i32 s20, s24, s18
	v_fma_f64 v[29:30], -v[5:6], v[48:49], v[29:30]
	v_mov_b32_e32 v52, s20
	s_add_i32 s20, s23, s11
	v_fma_f64 v[58:59], -v[21:22], v[46:47], v[56:57]
	v_fma_f64 v[39:40], -v[25:26], v[39:40], v[54:55]
	ds_read2_b64 v[54:57], v52 offset1:1
	s_waitcnt lgkmcnt(1)
	v_fma_f64 v[35:36], -v[9:10], v[44:45], v[35:36]
	v_mov_b32_e32 v44, s20
	ds_read2_b64 v[44:47], v44 offset1:1
	s_add_i32 s20, s23, s12
	v_mov_b32_e32 v48, s20
	ds_read2_b64 v[48:51], v48 offset1:1
	v_fma_f64 v[42:43], -v[9:10], v[42:43], v[29:30]
	s_add_i32 s24, s25, s8
	s_waitcnt lgkmcnt(1)
	v_fma_f64 v[35:36], -v[11:12], v[46:47], v[35:36]
	v_mov_b32_e32 v46, s19
	ds_read_b64 v[60:61], v46
	s_add_i32 s19, s23, s13
	v_mul_f64 v[29:30], v[56:57], v[39:40]
	v_fma_f64 v[39:40], -v[25:26], v[37:38], v[58:59]
	s_addk_i32 s21, 0xf7c0
	s_waitcnt lgkmcnt(1)
	v_fma_f64 v[46:47], -v[13:14], v[50:51], v[35:36]
	v_fma_f64 v[50:51], -v[11:12], v[44:45], v[42:43]
	v_mov_b32_e32 v35, s19
	ds_read2_b64 v[35:38], v35 offset1:1
	s_add_i32 s19, s23, s15
	v_mov_b32_e32 v42, s19
	ds_read2_b64 v[42:45], v42 offset1:1
	s_add_i32 s19, s23, s14
	s_waitcnt lgkmcnt(1)
	v_fma_f64 v[37:38], -v[15:16], v[37:38], v[46:47]
	v_fma_f64 v[46:47], -v[13:14], v[48:49], v[50:51]
	;; [unrolled: 1-line block ×3, first 2 shown]
	s_waitcnt lgkmcnt(0)
	v_fma_f64 v[48:49], -v[17:18], v[44:45], v[37:38]
	v_fma_f64 v[35:36], -v[15:16], v[35:36], v[46:47]
	v_mov_b32_e32 v37, s19
	ds_read2_b64 v[37:40], v37 offset1:1
	s_add_i32 s19, s23, s17
	v_mov_b32_e32 v44, s19
	s_add_i32 s19, s25, s10
	ds_read2_b64 v[44:47], v44 offset1:1
	v_fma_f64 v[35:36], -v[17:18], v[42:43], v[35:36]
	v_mov_b32_e32 v42, s19
	ds_read2_b64 v[54:57], v42 offset1:1
	s_waitcnt lgkmcnt(2)
	v_fma_f64 v[39:40], -v[21:22], v[39:40], v[48:49]
	v_mov_b32_e32 v48, s24
	ds_read2_b64 v[48:51], v48 offset1:1
	s_add_i32 s19, s23, s18
	s_addk_i32 s24, 0xf640
	s_waitcnt lgkmcnt(0)
	v_fma_f64 v[42:43], -v[5:6], v[50:51], v[33:34]
	v_fma_f64 v[46:47], -v[25:26], v[46:47], v[39:40]
	v_mov_b32_e32 v39, s19
	s_add_i32 s19, s25, s11
	v_fma_f64 v[50:51], -v[21:22], v[37:38], v[35:36]
	v_mov_b32_e32 v35, s19
	v_mul_f64 v[33:34], v[60:61], v[58:59]
	ds_read2_b64 v[58:61], v39 offset1:1
	ds_read2_b64 v[35:38], v35 offset1:1
	v_fma_f64 v[39:40], -v[9:10], v[56:57], v[42:43]
	v_fma_f64 v[31:32], -v[5:6], v[48:49], v[31:32]
	s_add_i32 s19, s25, s12
	v_mov_b32_e32 v42, s19
	ds_read2_b64 v[62:65], v42 offset1:1
	s_add_i32 s19, s8, 0xfffff940
	s_add_i32 s20, s23, s19
	v_fma_f64 v[50:51], -v[25:26], v[44:45], v[50:51]
	s_waitcnt lgkmcnt(1)
	v_fma_f64 v[42:43], -v[11:12], v[37:38], v[39:40]
	v_fma_f64 v[31:32], -v[9:10], v[54:55], v[31:32]
	v_mov_b32_e32 v37, s20
	s_add_i32 s20, s25, s13
	ds_read2_b64 v[37:40], v37 offset1:1
	v_fma_f64 v[56:57], -v[29:30], v[60:61], v[46:47]
	s_waitcnt lgkmcnt(1)
	v_fma_f64 v[54:55], -v[13:14], v[64:65], v[42:43]
	v_mov_b32_e32 v42, s20
	ds_read2_b64 v[42:45], v42 offset1:1
	v_fma_f64 v[31:32], -v[11:12], v[35:36], v[31:32]
	s_add_i32 s20, s25, s15
	v_mov_b32_e32 v46, s20
	ds_read2_b64 v[46:49], v46 offset1:1
	s_add_i32 s20, s8, 0xfffff880
	s_waitcnt lgkmcnt(1)
	v_fma_f64 v[35:36], -v[15:16], v[44:45], v[54:55]
	s_add_i32 s23, s23, s20
	v_mov_b32_e32 v44, s23
	v_fma_f64 v[31:32], -v[13:14], v[62:63], v[31:32]
	v_fma_f64 v[39:40], -v[33:34], v[39:40], v[56:57]
	ds_read2_b64 v[54:57], v44 offset1:1
	s_add_i32 s23, s25, s14
	v_fma_f64 v[44:45], -v[29:30], v[58:59], v[50:51]
	s_waitcnt lgkmcnt(1)
	v_fma_f64 v[35:36], -v[17:18], v[48:49], v[35:36]
	v_mov_b32_e32 v48, s23
	ds_read2_b64 v[48:51], v48 offset1:1
	v_fma_f64 v[42:43], -v[15:16], v[42:43], v[31:32]
	s_add_i32 s23, s25, s17
	v_mov_b32_e32 v52, s23
	ds_read2_b64 v[58:61], v52 offset1:1
	v_mov_b32_e32 v31, s21
	s_waitcnt lgkmcnt(1)
	v_fma_f64 v[35:36], -v[21:22], v[50:51], v[35:36]
	ds_read_b64 v[50:51], v31
	v_mul_f64 v[31:32], v[56:57], v[39:40]
	v_fma_f64 v[39:40], -v[17:18], v[46:47], v[42:43]
	v_fma_f64 v[56:57], -v[33:34], v[37:38], v[44:45]
	s_add_i32 s21, s25, s18
	v_mov_b32_e32 v46, s21
	s_add_i32 s21, s27, s10
	s_waitcnt lgkmcnt(1)
	v_fma_f64 v[60:61], -v[25:26], v[60:61], v[35:36]
	v_mov_b32_e32 v35, s26
	ds_read2_b64 v[35:38], v35 offset1:1
	v_fma_f64 v[62:63], -v[21:22], v[48:49], v[39:40]
	v_mov_b32_e32 v39, s21
	ds_read2_b64 v[42:45], v39 offset1:1
	s_add_i32 s21, s25, s19
	s_waitcnt lgkmcnt(1)
	v_fma_f64 v[27:28], -v[5:6], v[37:38], v[27:28]
	ds_read2_b64 v[37:40], v46 offset1:1
	v_fma_f64 v[64:65], -v[31:32], v[54:55], v[56:57]
	v_mov_b32_e32 v46, s21
	s_add_i32 s21, s27, s11
	v_fma_f64 v[35:36], -v[5:6], v[35:36], v[23:24]
	s_waitcnt lgkmcnt(0)
	v_fma_f64 v[39:40], -v[29:30], v[39:40], v[60:61]
	ds_read2_b64 v[46:49], v46 offset1:1
	v_fma_f64 v[27:28], -v[9:10], v[44:45], v[27:28]
	v_mov_b32_e32 v44, s21
	ds_read2_b64 v[54:57], v44 offset1:1
	s_add_i32 s21, s27, s12
	v_mov_b32_e32 v44, s21
	s_add_i32 s21, s25, s20
	v_fma_f64 v[62:63], -v[25:26], v[58:59], v[62:63]
	ds_read2_b64 v[58:61], v44 offset1:1
	s_waitcnt lgkmcnt(1)
	v_fma_f64 v[27:28], -v[11:12], v[56:57], v[27:28]
	v_fma_f64 v[56:57], -v[33:34], v[48:49], v[39:40]
	v_mov_b32_e32 v39, s21
	v_mul_f64 v[23:24], v[50:51], v[64:65]
	ds_read2_b64 v[48:51], v39 offset1:1
	v_fma_f64 v[39:40], -v[9:10], v[42:43], v[35:36]
	s_add_i32 s21, s27, s13
	v_mov_b32_e32 v35, s21
	s_waitcnt lgkmcnt(1)
	v_fma_f64 v[27:28], -v[13:14], v[60:61], v[27:28]
	v_fma_f64 v[62:63], -v[29:30], v[37:38], v[62:63]
	ds_read2_b64 v[35:38], v35 offset1:1
	s_add_i32 s21, s27, s15
	v_mov_b32_e32 v42, s21
	v_fma_f64 v[54:55], -v[11:12], v[54:55], v[39:40]
	ds_read2_b64 v[42:45], v42 offset1:1
	s_add_i32 s21, s8, 0xfffff7c0
	s_waitcnt lgkmcnt(1)
	v_fma_f64 v[27:28], -v[15:16], v[37:38], v[27:28]
	s_add_i32 s23, s25, s21
	v_mov_b32_e32 v37, s23
	s_add_i32 s23, s27, s14
	ds_read2_b64 v[37:40], v37 offset1:1
	v_fma_f64 v[58:59], -v[13:14], v[58:59], v[54:55]
	v_fma_f64 v[62:63], -v[33:34], v[46:47], v[62:63]
	;; [unrolled: 1-line block ×3, first 2 shown]
	s_waitcnt lgkmcnt(1)
	v_fma_f64 v[27:28], -v[17:18], v[44:45], v[27:28]
	v_mov_b32_e32 v44, s23
	ds_read2_b64 v[44:47], v44 offset1:1
	s_add_i32 s23, s27, s17
	v_mov_b32_e32 v52, s23
	v_fma_f64 v[35:36], -v[15:16], v[35:36], v[58:59]
	ds_read2_b64 v[54:57], v52 offset1:1
	s_add_i32 s23, s8, 0xfffff700
	s_waitcnt lgkmcnt(1)
	v_fma_f64 v[27:28], -v[21:22], v[46:47], v[27:28]
	s_add_i32 s25, s25, s23
	v_mov_b32_e32 v46, s25
	s_add_i32 s25, s27, s18
	v_fma_f64 v[39:40], -v[23:24], v[39:40], v[50:51]
	v_fma_f64 v[35:36], -v[17:18], v[42:43], v[35:36]
	v_mov_b32_e32 v42, s25
	ds_read2_b64 v[58:61], v46 offset1:1
	v_fma_f64 v[50:51], -v[31:32], v[48:49], v[62:63]
	ds_read2_b64 v[46:49], v42 offset1:1
	s_waitcnt lgkmcnt(2)
	v_fma_f64 v[27:28], -v[25:26], v[56:57], v[27:28]
	s_add_i32 s25, s27, s19
	v_mov_b32_e32 v42, s25
	v_fma_f64 v[35:36], -v[21:22], v[44:45], v[35:36]
	ds_read2_b64 v[62:65], v42 offset1:1
	s_add_i32 s25, s16, 0xffffff78
	s_add_i32 s28, s25, s10
	;; [unrolled: 1-line block ×3, first 2 shown]
	s_waitcnt lgkmcnt(1)
	v_fma_f64 v[42:43], -v[29:30], v[48:49], v[27:28]
	v_mov_b32_e32 v27, s24
	ds_read_b64 v[66:67], v27
	v_mul_f64 v[27:28], v[60:61], v[39:40]
	v_fma_f64 v[39:40], -v[25:26], v[54:55], v[35:36]
	s_add_i32 s24, s27, s20
	v_mov_b32_e32 v52, s24
	s_add_i32 s24, s25, s8
	v_mov_b32_e32 v35, s24
	v_fma_f64 v[48:49], -v[23:24], v[37:38], v[50:51]
	ds_read2_b64 v[35:38], v35 offset1:1
	s_waitcnt lgkmcnt(2)
	v_fma_f64 v[50:51], -v[33:34], v[64:65], v[42:43]
	v_fma_f64 v[54:55], -v[29:30], v[46:47], v[39:40]
	v_mov_b32_e32 v39, s28
	ds_read2_b64 v[42:45], v39 offset1:1
	s_waitcnt lgkmcnt(1)
	v_fma_f64 v[19:20], -v[5:6], v[37:38], v[19:20]
	ds_read2_b64 v[37:40], v52 offset1:1
	s_add_i32 s28, s27, s21
	v_mov_b32_e32 v46, s28
	s_add_i32 s28, s25, s11
	v_fma_f64 v[7:8], -v[5:6], v[35:36], v[7:8]
	v_fma_f64 v[64:65], -v[27:28], v[58:59], v[48:49]
	ds_read2_b64 v[46:49], v46 offset1:1
	s_waitcnt lgkmcnt(2)
	v_fma_f64 v[19:20], -v[9:10], v[44:45], v[19:20]
	v_mov_b32_e32 v44, s28
	s_waitcnt lgkmcnt(1)
	v_fma_f64 v[39:40], -v[31:32], v[39:40], v[50:51]
	v_fma_f64 v[50:51], -v[33:34], v[62:63], v[54:55]
	ds_read2_b64 v[54:57], v44 offset1:1
	s_add_i32 s28, s25, s12
	v_mov_b32_e32 v35, s28
	ds_read2_b64 v[58:61], v35 offset1:1
	v_fma_f64 v[7:8], -v[9:10], v[42:43], v[7:8]
	s_waitcnt lgkmcnt(1)
	v_fma_f64 v[19:20], -v[11:12], v[56:57], v[19:20]
	v_fma_f64 v[56:57], -v[23:24], v[48:49], v[39:40]
	v_mov_b32_e32 v39, s29
	s_add_i32 s29, s25, s13
	v_mov_b32_e32 v35, s29
	v_mul_f64 v[62:63], v[66:67], v[64:65]
	v_fma_f64 v[64:65], -v[31:32], v[37:38], v[50:51]
	v_fma_f64 v[7:8], -v[11:12], v[54:55], v[7:8]
	s_waitcnt lgkmcnt(0)
	v_fma_f64 v[19:20], -v[13:14], v[60:61], v[19:20]
	ds_read2_b64 v[35:38], v35 offset1:1
	s_add_i32 s29, s25, s15
	v_mov_b32_e32 v40, s29
	ds_read2_b64 v[42:45], v40 offset1:1
	s_add_i32 s28, s8, 0xfffff640
	s_add_i32 s29, s27, s28
	v_fma_f64 v[7:8], -v[13:14], v[58:59], v[7:8]
	s_waitcnt lgkmcnt(1)
	v_fma_f64 v[19:20], -v[15:16], v[37:38], v[19:20]
	v_mov_b32_e32 v48, s29
	s_add_i32 s29, s25, s14
	ds_read2_b64 v[37:40], v39 offset1:1
	ds_read2_b64 v[48:51], v48 offset1:1
	v_fma_f64 v[58:59], -v[23:24], v[46:47], v[64:65]
	s_addk_i32 s26, 0xf4c0
	v_fma_f64 v[7:8], -v[15:16], v[35:36], v[7:8]
	s_waitcnt lgkmcnt(2)
	v_fma_f64 v[19:20], -v[17:18], v[44:45], v[19:20]
	v_mov_b32_e32 v44, s29
	ds_read2_b64 v[44:47], v44 offset1:1
	s_add_i32 s29, s25, s17
	v_mov_b32_e32 v35, s29
	s_waitcnt lgkmcnt(2)
	v_fma_f64 v[39:40], -v[27:28], v[39:40], v[56:57]
	ds_read2_b64 v[54:57], v35 offset1:1
	v_fma_f64 v[7:8], -v[17:18], v[42:43], v[7:8]
	s_waitcnt lgkmcnt(1)
	v_fma_f64 v[19:20], -v[21:22], v[46:47], v[19:20]
	s_add_i32 s29, s8, 0xfffff580
	s_add_i32 s27, s27, s29
	v_mov_b32_e32 v52, s26
	s_add_i32 s26, s25, s20
	v_fma_f64 v[46:47], -v[62:63], v[50:51], v[39:40]
	v_mov_b32_e32 v39, s27
	s_add_i32 s27, s25, s18
	s_waitcnt lgkmcnt(0)
	v_fma_f64 v[19:20], -v[25:26], v[56:57], v[19:20]
	v_fma_f64 v[7:8], -v[21:22], v[44:45], v[7:8]
	v_mov_b32_e32 v35, s27
	v_fma_f64 v[50:51], -v[27:28], v[37:38], v[58:59]
	ds_read2_b64 v[35:38], v35 offset1:1
	s_add_i32 s27, s25, s19
	v_mov_b32_e32 v40, s27
	ds_read2_b64 v[42:45], v40 offset1:1
	ds_read_b64 v[64:65], v52
	s_waitcnt lgkmcnt(2)
	v_fma_f64 v[19:20], -v[29:30], v[37:38], v[19:20]
	v_fma_f64 v[7:8], -v[25:26], v[54:55], v[7:8]
	ds_read2_b64 v[37:40], v39 offset1:1
	s_add_i32 s30, s25, s29
	s_addk_i32 s24, 0xf340
	s_waitcnt lgkmcnt(0)
	v_mul_f64 v[66:67], v[39:40], v[46:47]
	v_fma_f64 v[19:20], -v[33:34], v[44:45], v[19:20]
	v_mov_b32_e32 v44, s26
	s_add_i32 s26, s25, s21
	v_fma_f64 v[7:8], -v[29:30], v[35:36], v[7:8]
	v_mov_b32_e32 v35, s26
	s_add_i32 s26, s16, 0xffffff68
	s_add_i32 s16, s26, s8
	v_fma_f64 v[39:40], -v[62:63], v[48:49], v[50:51]
	ds_read2_b64 v[44:47], v44 offset1:1
	ds_read2_b64 v[48:51], v35 offset1:1
	v_mov_b32_e32 v35, s16
	ds_read2_b64 v[54:57], v35 offset1:1
	s_add_i32 s27, s26, s10
	s_waitcnt lgkmcnt(2)
	v_fma_f64 v[19:20], -v[31:32], v[46:47], v[19:20]
	v_mov_b32_e32 v35, s27
	ds_read2_b64 v[58:61], v35 offset1:1
	s_waitcnt lgkmcnt(1)
	v_fma_f64 v[3:4], -v[5:6], v[56:57], v[3:4]
	v_fma_f64 v[68:69], -v[66:67], v[37:38], v[39:40]
	s_add_i32 s27, s25, s23
	v_fma_f64 v[7:8], -v[33:34], v[42:43], v[7:8]
	v_fma_f64 v[42:43], -v[5:6], v[54:55], v[1:2]
	;; [unrolled: 1-line block ×3, first 2 shown]
	v_mov_b32_e32 v50, s27
	s_add_i32 s27, s26, s11
	s_waitcnt lgkmcnt(0)
	v_fma_f64 v[39:40], -v[9:10], v[60:61], v[3:4]
	v_mov_b32_e32 v3, s27
	ds_read2_b64 v[35:38], v3 offset1:1
	s_add_i32 s27, s26, s12
	v_mov_b32_e32 v1, s27
	v_fma_f64 v[7:8], -v[31:32], v[44:45], v[7:8]
	ds_read2_b64 v[1:4], v1 offset1:1
	s_add_i32 s27, s25, s28
	s_waitcnt lgkmcnt(1)
	v_fma_f64 v[46:47], -v[11:12], v[37:38], v[39:40]
	ds_read2_b64 v[37:40], v50 offset1:1
	v_fma_f64 v[50:51], -v[9:10], v[58:59], v[42:43]
	v_mov_b32_e32 v44, s27
	ds_read2_b64 v[42:45], v44 offset1:1
	s_add_i32 s27, s26, s13
	s_waitcnt lgkmcnt(1)
	v_fma_f64 v[19:20], -v[27:28], v[39:40], v[19:20]
	v_mov_b32_e32 v39, s27
	v_fma_f64 v[3:4], -v[13:14], v[3:4], v[46:47]
	v_fma_f64 v[7:8], -v[23:24], v[48:49], v[7:8]
	;; [unrolled: 1-line block ×3, first 2 shown]
	ds_read2_b64 v[46:49], v39 offset1:1
	s_add_i32 s27, s26, s15
	v_mov_b32_e32 v39, s27
	ds_read2_b64 v[54:57], v39 offset1:1
	s_waitcnt lgkmcnt(2)
	v_fma_f64 v[19:20], -v[62:63], v[44:45], v[19:20]
	s_waitcnt lgkmcnt(1)
	v_fma_f64 v[3:4], -v[15:16], v[48:49], v[3:4]
	v_mov_b32_e32 v44, s30
	v_fma_f64 v[35:36], -v[13:14], v[1:2], v[35:36]
	s_add_i32 s30, s26, s14
	v_mov_b32_e32 v1, s30
	s_add_i32 s30, s26, s17
	v_fma_f64 v[7:8], -v[27:28], v[37:38], v[7:8]
	s_add_i32 s27, s8, 0xfffff4c0
	s_waitcnt lgkmcnt(0)
	v_fma_f64 v[39:40], -v[17:18], v[56:57], v[3:4]
	ds_read2_b64 v[1:4], v1 offset1:1
	v_fma_f64 v[48:49], -v[15:16], v[46:47], v[35:36]
	v_mov_b32_e32 v35, s30
	ds_read2_b64 v[35:38], v35 offset1:1
	ds_read2_b64 v[44:47], v44 offset1:1
	s_add_i32 s30, s25, s27
	v_fma_f64 v[7:8], -v[62:63], v[42:43], v[7:8]
	s_waitcnt lgkmcnt(2)
	v_fma_f64 v[3:4], -v[21:22], v[3:4], v[39:40]
	v_mov_b32_e32 v39, s30
	v_fma_f64 v[54:55], -v[17:18], v[54:55], v[48:49]
	s_add_i32 s30, s26, s18
	ds_read2_b64 v[48:51], v39 offset1:1
	v_mul_f64 v[58:59], v[64:65], v[68:69]
	v_add_u32_e32 v5, s10, v53
	ds_write_b64 v5, v[9:10]
	s_waitcnt lgkmcnt(3)
	v_fma_f64 v[42:43], -v[25:26], v[37:38], v[3:4]
	v_mov_b32_e32 v3, s30
	ds_read2_b64 v[37:40], v3 offset1:1
	s_waitcnt lgkmcnt(3)
	v_fma_f64 v[19:20], -v[66:67], v[46:47], v[19:20]
	v_fma_f64 v[46:47], -v[21:22], v[1:2], v[54:55]
	s_add_i32 s30, s26, s19
	v_mov_b32_e32 v1, s30
	ds_read2_b64 v[1:4], v1 offset1:1
	s_waitcnt lgkmcnt(1)
	v_fma_f64 v[39:40], -v[29:30], v[39:40], v[42:43]
	s_add_i32 s30, s8, 0xfffff400
	s_add_i32 s25, s25, s30
	v_fma_f64 v[19:20], -v[58:59], v[50:51], v[19:20]
	v_fma_f64 v[35:36], -v[25:26], v[35:36], v[46:47]
	v_mov_b32_e32 v46, s25
	s_add_i32 s25, s26, s20
	v_mov_b32_e32 v50, s24
	ds_read_b64 v[50:51], v50
	s_waitcnt lgkmcnt(1)
	v_fma_f64 v[3:4], -v[33:34], v[3:4], v[39:40]
	v_mov_b32_e32 v39, s25
	v_fma_f64 v[7:8], -v[66:67], v[44:45], v[7:8]
	ds_read2_b64 v[42:45], v39 offset1:1
	v_fma_f64 v[39:40], -v[29:30], v[37:38], v[35:36]
	s_add_i32 s25, s26, s21
	v_mov_b32_e32 v35, s25
	ds_read2_b64 v[35:38], v35 offset1:1
	s_waitcnt lgkmcnt(1)
	v_fma_f64 v[3:4], -v[31:32], v[44:45], v[3:4]
	ds_read2_b64 v[44:47], v46 offset1:1
	s_add_i32 s24, s26, s23
	v_fma_f64 v[7:8], -v[58:59], v[48:49], v[7:8]
	v_fma_f64 v[39:40], -v[33:34], v[1:2], v[39:40]
	v_mov_b32_e32 v1, s24
	s_waitcnt lgkmcnt(0)
	v_mul_f64 v[19:20], v[46:47], v[19:20]
	s_add_i32 s24, s26, s28
	v_fma_f64 v[46:47], -v[23:24], v[37:38], v[3:4]
	ds_read2_b64 v[1:4], v1 offset1:1
	v_mov_b32_e32 v37, s24
	s_add_i32 s10, s26, s29
	v_fma_f64 v[42:43], -v[31:32], v[42:43], v[39:40]
	ds_read2_b64 v[37:40], v37 offset1:1
	v_add_u32_e32 v5, s11, v53
	ds_write_b64 v5, v[11:12]
	s_waitcnt lgkmcnt(2)
	v_fma_f64 v[3:4], -v[27:28], v[3:4], v[46:47]
	v_fma_f64 v[11:12], -v[19:20], v[44:45], v[7:8]
	;; [unrolled: 1-line block ×3, first 2 shown]
	s_waitcnt lgkmcnt(1)
	v_fma_f64 v[35:36], -v[62:63], v[39:40], v[3:4]
	v_mov_b32_e32 v3, s10
	ds_read2_b64 v[3:6], v3 offset1:1
	s_add_i32 s10, s26, s27
	v_fma_f64 v[1:2], -v[27:28], v[1:2], v[9:10]
	v_mov_b32_e32 v7, s10
	ds_read2_b64 v[7:10], v7 offset1:1
	s_add_i32 s10, s26, s30
	s_waitcnt lgkmcnt(1)
	v_fma_f64 v[5:6], -v[66:67], v[5:6], v[35:36]
	v_add_u32_e32 v35, s12, v53
	ds_write_b64 v35, v[13:14]
	v_add_u32_e32 v13, s13, v53
	v_fma_f64 v[1:2], -v[62:63], v[37:38], v[1:2]
	ds_write_b64 v13, v[15:16]
	v_mul_f64 v[13:14], v[50:51], v[11:12]
	v_add_u32_e32 v35, s15, v53
	s_waitcnt lgkmcnt(2)
	v_fma_f64 v[5:6], -v[58:59], v[9:10], v[5:6]
	v_mov_b32_e32 v9, s10
	ds_read2_b64 v[9:12], v9 offset1:1
	s_add_i32 s10, s8, 0xfffff340
	v_fma_f64 v[15:16], -v[66:67], v[3:4], v[1:2]
	s_add_i32 s11, s26, s10
	v_mov_b32_e32 v1, s11
	ds_read2_b64 v[1:4], v1 offset1:1
	s_waitcnt lgkmcnt(1)
	v_fma_f64 v[5:6], -v[19:20], v[11:12], v[5:6]
	v_add_u32_e32 v11, s14, v53
	ds_write_b64 v35, v[17:18]
	ds_write_b64 v11, v[21:22]
	v_fma_f64 v[7:8], -v[58:59], v[7:8], v[15:16]
	v_add_u32_e32 v11, s17, v53
	ds_write_b64 v11, v[25:26]
	s_addk_i32 s8, 0xf280
	s_waitcnt lgkmcnt(3)
	v_fma_f64 v[11:12], -v[13:14], v[3:4], v[5:6]
	s_add_i32 s11, s26, s8
	v_mov_b32_e32 v3, s11
	ds_read2_b64 v[3:6], v3 offset1:1
	v_fma_f64 v[7:8], -v[19:20], v[9:10], v[7:8]
	s_add_i32 s11, s16, 0xfffff1c0
	v_mov_b32_e32 v9, s11
	ds_read_b64 v[9:10], v9
	s_waitcnt lgkmcnt(1)
	v_mul_f64 v[5:6], v[5:6], v[11:12]
	v_add_u32_e32 v15, s18, v53
	ds_write_b64 v15, v[29:30]
	v_fma_f64 v[1:2], -v[13:14], v[1:2], v[7:8]
	v_add_u32_e32 v7, s19, v53
	ds_write_b64 v7, v[33:34]
	v_add_u32_e32 v7, s20, v53
	ds_write_b64 v7, v[31:32]
	;; [unrolled: 2-line block ×3, first 2 shown]
	v_add_u32_e32 v7, s23, v53
	v_fma_f64 v[1:2], -v[5:6], v[3:4], v[1:2]
	v_add_u32_e32 v3, s28, v53
	ds_write_b64 v7, v[27:28]
	ds_write_b64 v3, v[62:63]
	v_add_u32_e32 v3, s29, v53
	ds_write_b64 v3, v[66:67]
	v_add_u32_e32 v3, s27, v53
	ds_write_b64 v3, v[58:59]
	s_waitcnt lgkmcnt(8)
	v_mul_f64 v[1:2], v[9:10], v[1:2]
	v_add_u32_e32 v3, s30, v53
	ds_write_b64 v3, v[19:20]
	v_add_u32_e32 v3, s10, v53
	ds_write_b64 v3, v[13:14]
	;; [unrolled: 2-line block ×4, first 2 shown]
.LBB92_33:
	s_cmp_lt_i32 s5, 0
	s_cbranch_scc1 .LBB92_46
; %bb.34:
	s_bitcmp1_b32 s5, 0
	s_cselect_b64 s[10:11], -1, 0
	s_and_b64 vcc, exec, s[10:11]
	s_mov_b32 s8, s5
	s_cbranch_vccnz .LBB92_39
; %bb.35:
	s_mul_i32 s8, s5, 0xc0
	v_add_u32_e32 v3, s8, v53
	ds_read_b64 v[1:2], v3
	s_cmp_le_i32 s4, s5
	s_cbranch_scc1 .LBB92_38
; %bb.36:
	s_mul_i32 s10, s22, 0xc0
	s_lshl_b32 s8, s5, 3
	s_add_i32 s8, s10, s8
	v_lshl_add_u32 v4, v0, 3, s10
	s_addk_i32 s8, 0xff40
	v_add_u32_e32 v4, 0x1140, v4
	s_mov_b32 s10, s4
.LBB92_37:                              ; =>This Inner Loop Header: Depth=1
	v_mov_b32_e32 v7, s8
	ds_read_b64 v[5:6], v4
	ds_read_b64 v[7:8], v7
	s_add_i32 s10, s10, -1
	s_addk_i32 s8, 0xff40
	s_cmp_gt_i32 s10, s5
	v_add_u32_e32 v4, 0xffffff40, v4
	s_waitcnt lgkmcnt(0)
	v_fma_f64 v[1:2], -v[5:6], v[7:8], v[1:2]
	s_cbranch_scc1 .LBB92_37
.LBB92_38:
	s_mul_i32 s8, s5, 0xc8
	v_mov_b32_e32 v4, s8
	ds_read_b64 v[4:5], v4
	s_add_i32 s8, s5, -1
	s_waitcnt lgkmcnt(0)
	v_mul_f64 v[1:2], v[4:5], v[1:2]
	ds_write_b64 v3, v[1:2]
.LBB92_39:
	s_cmp_eq_u32 s5, 0
	s_cbranch_scc1 .LBB92_46
; %bb.40:
	s_mul_i32 s10, s22, 0xc0
	s_lshl_b32 s5, s8, 3
	s_add_i32 s11, s10, s5
	v_lshl_add_u32 v1, v0, 3, s10
	s_add_i32 s5, s11, 0xffffff40
	v_add_u32_e32 v5, 0x1140, v1
	s_add_i32 s10, s11, 0xffffff38
	s_branch .LBB92_42
.LBB92_41:                              ;   in Loop: Header=BB92_42 Depth=1
	s_addk_i32 s11, 0xff38
	v_mov_b32_e32 v1, s11
	ds_read_b64 v[1:2], v1
	s_add_i32 s11, s8, -2
	s_add_i32 s5, s5, -16
	;; [unrolled: 1-line block ×3, first 2 shown]
	s_cmp_lt_i32 s8, 2
	s_waitcnt lgkmcnt(0)
	v_mul_f64 v[1:2], v[1:2], v[3:4]
	s_mov_b32 s8, s11
	ds_write_b64 v7, v[1:2]
	s_cbranch_scc1 .LBB92_46
.LBB92_42:                              ; =>This Loop Header: Depth=1
                                        ;     Child Loop BB92_43 Depth 2
                                        ;     Child Loop BB92_45 Depth 2
	s_mul_i32 s12, s8, 0xc0
	v_add_u32_e32 v6, s12, v53
	ds_read_b64 v[1:2], v6
	s_cmp_le_i32 s4, s8
	v_mov_b32_e32 v3, v5
	s_mov_b32 s11, s5
	s_mov_b32 s13, s4
	s_cbranch_scc1 .LBB92_44
.LBB92_43:                              ;   Parent Loop BB92_42 Depth=1
                                        ; =>  This Inner Loop Header: Depth=2
	v_mov_b32_e32 v4, s11
	ds_read_b64 v[7:8], v3
	ds_read_b64 v[9:10], v4
	s_add_i32 s13, s13, -1
	s_addk_i32 s11, 0xff40
	s_cmp_gt_i32 s13, s8
	v_add_u32_e32 v3, 0xffffff40, v3
	s_waitcnt lgkmcnt(0)
	v_fma_f64 v[1:2], -v[7:8], v[9:10], v[1:2]
	s_cbranch_scc1 .LBB92_43
.LBB92_44:                              ;   in Loop: Header=BB92_42 Depth=1
	s_mul_i32 s11, s8, 0xc8
	v_mov_b32_e32 v3, s11
	ds_read_b64 v[8:9], v3
	s_addk_i32 s12, 0xff40
	v_add_u32_e32 v7, s12, v53
	ds_read_b64 v[3:4], v7
	s_mov_b32 s12, s10
	s_waitcnt lgkmcnt(1)
	v_mul_f64 v[8:9], v[8:9], v[1:2]
	v_mov_b32_e32 v1, v5
	s_cmp_le_i32 s22, s8
	s_mov_b32 s13, s22
	ds_write_b64 v6, v[8:9]
	s_cbranch_scc1 .LBB92_41
.LBB92_45:                              ;   Parent Loop BB92_42 Depth=1
                                        ; =>  This Inner Loop Header: Depth=2
	v_mov_b32_e32 v2, s12
	ds_read_b64 v[8:9], v1
	ds_read_b64 v[10:11], v2
	s_add_i32 s13, s13, -1
	s_addk_i32 s12, 0xff40
	s_cmp_gt_i32 s13, s8
	v_add_u32_e32 v1, 0xffffff40, v1
	s_waitcnt lgkmcnt(0)
	v_fma_f64 v[3:4], -v[8:9], v[10:11], v[3:4]
	s_cbranch_scc1 .LBB92_45
	s_branch .LBB92_41
.LBB92_46:
	s_waitcnt lgkmcnt(0)
	; wave barrier
	s_and_saveexec_b64 s[4:5], s[0:1]
	s_cbranch_execz .LBB92_50
; %bb.47:
	s_andn2_b64 vcc, exec, s[2:3]
	s_cbranch_vccnz .LBB92_50
; %bb.48:
	v_mad_i64_i32 v[1:2], s[0:1], s9, v0, 0
	v_mov_b32_e32 v3, s7
	v_lshlrev_b64 v[1:2], 3, v[1:2]
	v_add_co_u32_e32 v1, vcc, s6, v1
	v_addc_co_u32_e32 v2, vcc, v3, v2, vcc
	v_mov_b32_e32 v3, 0x1200
	v_lshl_or_b32 v0, v0, 3, v3
.LBB92_49:                              ; =>This Inner Loop Header: Depth=1
	ds_read_b64 v[3:4], v0
	s_add_i32 s22, s22, -1
	v_add_u32_e32 v0, 0xc0, v0
	s_cmp_lg_u32 s22, 0
	s_waitcnt lgkmcnt(0)
	global_store_dwordx2 v[1:2], v[3:4], off
	v_add_co_u32_e32 v1, vcc, 8, v1
	v_addc_co_u32_e32 v2, vcc, 0, v2, vcc
	s_cbranch_scc1 .LBB92_49
.LBB92_50:
	s_endpgm
	.section	.rodata,"a",@progbits
	.p2align	6, 0x0
	.amdhsa_kernel _ZL38rocblas_trsm_small_left_device_sharedBILi24ELi24ELb0EddPKdPdEv13rocblas_fill_18rocblas_operation_17rocblas_diagonal_iiT3_T4_lilT5_lili
		.amdhsa_group_segment_fixed_size 9216
		.amdhsa_private_segment_fixed_size 0
		.amdhsa_kernarg_size 360
		.amdhsa_user_sgpr_count 6
		.amdhsa_user_sgpr_private_segment_buffer 1
		.amdhsa_user_sgpr_dispatch_ptr 0
		.amdhsa_user_sgpr_queue_ptr 0
		.amdhsa_user_sgpr_kernarg_segment_ptr 1
		.amdhsa_user_sgpr_dispatch_id 0
		.amdhsa_user_sgpr_flat_scratch_init 0
		.amdhsa_user_sgpr_private_segment_size 0
		.amdhsa_uses_dynamic_stack 0
		.amdhsa_system_sgpr_private_segment_wavefront_offset 0
		.amdhsa_system_sgpr_workgroup_id_x 1
		.amdhsa_system_sgpr_workgroup_id_y 0
		.amdhsa_system_sgpr_workgroup_id_z 1
		.amdhsa_system_sgpr_workgroup_info 0
		.amdhsa_system_vgpr_workitem_id 0
		.amdhsa_next_free_vgpr 126
		.amdhsa_next_free_sgpr 98
		.amdhsa_reserve_vcc 1
		.amdhsa_reserve_flat_scratch 0
		.amdhsa_float_round_mode_32 0
		.amdhsa_float_round_mode_16_64 0
		.amdhsa_float_denorm_mode_32 3
		.amdhsa_float_denorm_mode_16_64 3
		.amdhsa_dx10_clamp 1
		.amdhsa_ieee_mode 1
		.amdhsa_fp16_overflow 0
		.amdhsa_exception_fp_ieee_invalid_op 0
		.amdhsa_exception_fp_denorm_src 0
		.amdhsa_exception_fp_ieee_div_zero 0
		.amdhsa_exception_fp_ieee_overflow 0
		.amdhsa_exception_fp_ieee_underflow 0
		.amdhsa_exception_fp_ieee_inexact 0
		.amdhsa_exception_int_div_zero 0
	.end_amdhsa_kernel
	.section	.text._ZL38rocblas_trsm_small_left_device_sharedBILi24ELi24ELb0EddPKdPdEv13rocblas_fill_18rocblas_operation_17rocblas_diagonal_iiT3_T4_lilT5_lili,"axG",@progbits,_ZL38rocblas_trsm_small_left_device_sharedBILi24ELi24ELb0EddPKdPdEv13rocblas_fill_18rocblas_operation_17rocblas_diagonal_iiT3_T4_lilT5_lili,comdat
.Lfunc_end92:
	.size	_ZL38rocblas_trsm_small_left_device_sharedBILi24ELi24ELb0EddPKdPdEv13rocblas_fill_18rocblas_operation_17rocblas_diagonal_iiT3_T4_lilT5_lili, .Lfunc_end92-_ZL38rocblas_trsm_small_left_device_sharedBILi24ELi24ELb0EddPKdPdEv13rocblas_fill_18rocblas_operation_17rocblas_diagonal_iiT3_T4_lilT5_lili
                                        ; -- End function
	.set _ZL38rocblas_trsm_small_left_device_sharedBILi24ELi24ELb0EddPKdPdEv13rocblas_fill_18rocblas_operation_17rocblas_diagonal_iiT3_T4_lilT5_lili.num_vgpr, 126
	.set _ZL38rocblas_trsm_small_left_device_sharedBILi24ELi24ELb0EddPKdPdEv13rocblas_fill_18rocblas_operation_17rocblas_diagonal_iiT3_T4_lilT5_lili.num_agpr, 0
	.set _ZL38rocblas_trsm_small_left_device_sharedBILi24ELi24ELb0EddPKdPdEv13rocblas_fill_18rocblas_operation_17rocblas_diagonal_iiT3_T4_lilT5_lili.numbered_sgpr, 31
	.set _ZL38rocblas_trsm_small_left_device_sharedBILi24ELi24ELb0EddPKdPdEv13rocblas_fill_18rocblas_operation_17rocblas_diagonal_iiT3_T4_lilT5_lili.num_named_barrier, 0
	.set _ZL38rocblas_trsm_small_left_device_sharedBILi24ELi24ELb0EddPKdPdEv13rocblas_fill_18rocblas_operation_17rocblas_diagonal_iiT3_T4_lilT5_lili.private_seg_size, 0
	.set _ZL38rocblas_trsm_small_left_device_sharedBILi24ELi24ELb0EddPKdPdEv13rocblas_fill_18rocblas_operation_17rocblas_diagonal_iiT3_T4_lilT5_lili.uses_vcc, 1
	.set _ZL38rocblas_trsm_small_left_device_sharedBILi24ELi24ELb0EddPKdPdEv13rocblas_fill_18rocblas_operation_17rocblas_diagonal_iiT3_T4_lilT5_lili.uses_flat_scratch, 0
	.set _ZL38rocblas_trsm_small_left_device_sharedBILi24ELi24ELb0EddPKdPdEv13rocblas_fill_18rocblas_operation_17rocblas_diagonal_iiT3_T4_lilT5_lili.has_dyn_sized_stack, 0
	.set _ZL38rocblas_trsm_small_left_device_sharedBILi24ELi24ELb0EddPKdPdEv13rocblas_fill_18rocblas_operation_17rocblas_diagonal_iiT3_T4_lilT5_lili.has_recursion, 0
	.set _ZL38rocblas_trsm_small_left_device_sharedBILi24ELi24ELb0EddPKdPdEv13rocblas_fill_18rocblas_operation_17rocblas_diagonal_iiT3_T4_lilT5_lili.has_indirect_call, 0
	.section	.AMDGPU.csdata,"",@progbits
; Kernel info:
; codeLenInByte = 18772
; TotalNumSgprs: 35
; NumVgprs: 126
; ScratchSize: 0
; MemoryBound: 0
; FloatMode: 240
; IeeeMode: 1
; LDSByteSize: 9216 bytes/workgroup (compile time only)
; SGPRBlocks: 12
; VGPRBlocks: 31
; NumSGPRsForWavesPerEU: 102
; NumVGPRsForWavesPerEU: 126
; Occupancy: 2
; WaveLimiterHint : 0
; COMPUTE_PGM_RSRC2:SCRATCH_EN: 0
; COMPUTE_PGM_RSRC2:USER_SGPR: 6
; COMPUTE_PGM_RSRC2:TRAP_HANDLER: 0
; COMPUTE_PGM_RSRC2:TGID_X_EN: 1
; COMPUTE_PGM_RSRC2:TGID_Y_EN: 0
; COMPUTE_PGM_RSRC2:TGID_Z_EN: 1
; COMPUTE_PGM_RSRC2:TIDIG_COMP_CNT: 0
	.section	.text._ZL30rocblas_trsm_small_left_deviceILi24ELi24ELb0EddPKdPdEv13rocblas_fill_18rocblas_operation_17rocblas_diagonal_iiT3_T4_lilT5_lili,"axG",@progbits,_ZL30rocblas_trsm_small_left_deviceILi24ELi24ELb0EddPKdPdEv13rocblas_fill_18rocblas_operation_17rocblas_diagonal_iiT3_T4_lilT5_lili,comdat
	.globl	_ZL30rocblas_trsm_small_left_deviceILi24ELi24ELb0EddPKdPdEv13rocblas_fill_18rocblas_operation_17rocblas_diagonal_iiT3_T4_lilT5_lili ; -- Begin function _ZL30rocblas_trsm_small_left_deviceILi24ELi24ELb0EddPKdPdEv13rocblas_fill_18rocblas_operation_17rocblas_diagonal_iiT3_T4_lilT5_lili
	.p2align	8
	.type	_ZL30rocblas_trsm_small_left_deviceILi24ELi24ELb0EddPKdPdEv13rocblas_fill_18rocblas_operation_17rocblas_diagonal_iiT3_T4_lilT5_lili,@function
_ZL30rocblas_trsm_small_left_deviceILi24ELi24ELb0EddPKdPdEv13rocblas_fill_18rocblas_operation_17rocblas_diagonal_iiT3_T4_lilT5_lili: ; @_ZL30rocblas_trsm_small_left_deviceILi24ELi24ELb0EddPKdPdEv13rocblas_fill_18rocblas_operation_17rocblas_diagonal_iiT3_T4_lilT5_lili
; %bb.0:
	s_load_dwordx4 s[8:11], s[4:5], 0x4
	s_load_dwordx4 s[0:3], s[4:5], 0x18
	s_load_dwordx2 s[20:21], s[4:5], 0x28
	s_load_dwordx4 s[12:15], s[4:5], 0x38
	s_load_dwordx2 s[16:17], s[4:5], 0x48
	s_waitcnt lgkmcnt(0)
	s_min_i32 s22, s10, 24
	v_cmp_gt_i32_e32 vcc, s22, v0
	s_and_saveexec_b64 s[18:19], vcc
	s_cbranch_execz .LBB93_6
; %bb.1:
	s_load_dword s24, s[4:5], 0x30
	s_mul_i32 s13, s13, s7
	s_mul_hi_u32 s23, s12, s7
	s_mul_i32 s12, s12, s7
	s_add_i32 s13, s23, s13
	s_waitcnt lgkmcnt(0)
	s_ashr_i32 s25, s24, 31
	s_lshl_b64 s[12:13], s[12:13], 3
	s_add_u32 s12, s2, s12
	s_addc_u32 s13, s3, s13
	s_lshl_b64 s[2:3], s[20:21], 3
	s_add_u32 s2, s12, s2
	s_addc_u32 s3, s13, s3
	v_lshlrev_b32_e32 v3, 3, v0
	v_mov_b32_e32 v2, s3
	v_add_co_u32_e32 v1, vcc, s2, v3
	s_lshl_b64 s[2:3], s[24:25], 3
	v_addc_co_u32_e32 v2, vcc, 0, v2, vcc
	v_mov_b32_e32 v4, s3
	v_mov_b32_e32 v5, v3
	s_mov_b32 s3, s22
.LBB93_2:                               ; =>This Inner Loop Header: Depth=1
	global_load_dwordx2 v[6:7], v[1:2], off
	v_add_co_u32_e32 v1, vcc, s2, v1
	s_add_i32 s3, s3, -1
	v_addc_co_u32_e32 v2, vcc, v2, v4, vcc
	s_cmp_eq_u32 s3, 0
	s_waitcnt vmcnt(0)
	ds_write_b64 v5, v[6:7]
	v_add_u32_e32 v5, 0xc0, v5
	s_cbranch_scc0 .LBB93_2
; %bb.3:
	v_mul_u32_u24_e32 v4, 0xc0, v0
	v_mov_b32_e32 v1, 0
	s_cmpk_lg_i32 s9, 0x84
	v_mov_b32_e32 v2, 0x3ff00000
	v_add_u32_e32 v3, v3, v4
	s_cbranch_scc0 .LBB93_5
; %bb.4:
	ds_read_b64 v[1:2], v3
	s_waitcnt lgkmcnt(0)
	v_div_scale_f64 v[4:5], s[2:3], v[1:2], v[1:2], 1.0
	v_div_scale_f64 v[10:11], vcc, 1.0, v[1:2], 1.0
	v_rcp_f64_e32 v[6:7], v[4:5]
	v_fma_f64 v[8:9], -v[4:5], v[6:7], 1.0
	v_fma_f64 v[6:7], v[6:7], v[8:9], v[6:7]
	v_fma_f64 v[8:9], -v[4:5], v[6:7], 1.0
	v_fma_f64 v[6:7], v[6:7], v[8:9], v[6:7]
	v_mul_f64 v[8:9], v[10:11], v[6:7]
	v_fma_f64 v[4:5], -v[4:5], v[8:9], v[10:11]
	v_div_fmas_f64 v[4:5], v[4:5], v[6:7], v[8:9]
	v_div_fixup_f64 v[1:2], v[4:5], v[1:2], 1.0
.LBB93_5:
	ds_write_b64 v3, v[1:2]
.LBB93_6:
	s_or_b64 exec, exec, s[18:19]
	s_load_dword s2, s[4:5], 0x68
	s_mul_i32 s3, s6, 0xffffffe8
	s_add_i32 s3, s11, s3
	s_waitcnt lgkmcnt(0)
	; wave barrier
	s_add_i32 s2, s2, -1
	s_cmp_ge_u32 s6, s2
	s_cselect_b32 s2, s3, 24
	v_cmp_gt_i32_e32 vcc, s2, v0
	s_and_saveexec_b64 s[2:3], vcc
	s_cbranch_execz .LBB93_47
; %bb.7:
	s_load_dwordx2 s[2:3], s[4:5], 0x58
	s_load_dword s9, s[4:5], 0x50
	s_waitcnt lgkmcnt(0)
	s_mul_i32 s3, s3, s7
	s_mul_hi_u32 s4, s2, s7
	s_add_i32 s3, s4, s3
	v_mad_u64_u32 v[0:1], s[4:5], s6, 24, v[0:1]
	s_mul_i32 s2, s2, s7
	s_lshl_b64 s[2:3], s[2:3], 3
	v_mad_i64_i32 v[0:1], s[4:5], s9, v0, 0
	s_add_u32 s6, s14, s2
	s_addc_u32 s7, s15, s3
	s_lshl_b64 s[4:5], s[16:17], 3
	s_add_u32 s6, s6, s4
	v_lshlrev_b64 v[54:55], 3, v[0:1]
	s_addc_u32 s7, s7, s5
	v_mov_b32_e32 v0, s7
	v_add_co_u32_e32 v52, vcc, s6, v54
	v_addc_co_u32_e32 v53, vcc, v0, v55, vcc
	s_cmpk_eq_i32 s8, 0x6f
	s_mov_b64 s[6:7], -1
	s_cbranch_scc1 .LBB93_25
; %bb.8:
	s_cmp_lt_i32 s10, 24
	s_cselect_b64 s[6:7], -1, 0
	s_cmp_gt_i32 s10, 23
	s_mov_b32 s8, 0
	s_cbranch_scc0 .LBB93_10
; %bb.9:
	global_load_dwordx4 v[12:15], v[52:53], off offset:48
	global_load_dwordx4 v[8:11], v[52:53], off offset:32
	;; [unrolled: 1-line block ×3, first 2 shown]
	global_load_dwordx4 v[16:19], v[52:53], off
	v_mov_b32_e32 v56, 0
	global_load_dwordx4 v[36:39], v[52:53], off offset:112
	global_load_dwordx4 v[28:31], v[52:53], off offset:96
	;; [unrolled: 1-line block ×8, first 2 shown]
	ds_read2_b64 v[48:51], v56 offset1:50
	ds_read_b128 v[57:60], v56 offset:192
	s_movk_i32 s8, 0x800
	v_add_u32_e64 v73, s8, 0
	s_movk_i32 s8, 0xc00
	s_waitcnt vmcnt(8)
	v_mul_f64 v[16:17], s[0:1], v[16:17]
	s_waitcnt lgkmcnt(1)
	v_mul_f64 v[16:17], v[48:49], v[16:17]
	s_waitcnt lgkmcnt(0)
	v_mul_f64 v[48:49], v[16:17], v[57:58]
	v_fma_f64 v[18:19], s[0:1], v[18:19], -v[48:49]
	v_mul_f64 v[18:19], v[59:60], v[18:19]
	ds_read_b128 v[57:60], v56 offset:384
	s_waitcnt lgkmcnt(0)
	v_mul_f64 v[48:49], v[16:17], v[57:58]
	global_store_dwordx4 v[52:53], v[16:19], off
	v_fma_f64 v[4:5], s[0:1], v[4:5], -v[48:49]
	v_fma_f64 v[4:5], -v[18:19], v[59:60], v[4:5]
	ds_read_b128 v[57:60], v56 offset:960
	v_mul_f64 v[4:5], v[50:51], v[4:5]
	ds_read_b128 v[48:51], v56 offset:576
	s_waitcnt lgkmcnt(0)
	v_mul_f64 v[48:49], v[16:17], v[48:49]
	v_fma_f64 v[6:7], s[0:1], v[6:7], -v[48:49]
	v_fma_f64 v[6:7], -v[18:19], v[50:51], v[6:7]
	ds_read_b128 v[48:51], v56 offset:592
	s_waitcnt lgkmcnt(0)
	v_fma_f64 v[6:7], -v[4:5], v[48:49], v[6:7]
	v_mul_f64 v[6:7], v[50:51], v[6:7]
	ds_read_b128 v[48:51], v56 offset:768
	s_waitcnt lgkmcnt(0)
	v_mul_f64 v[48:49], v[16:17], v[48:49]
	global_store_dwordx4 v[52:53], v[4:7], off offset:16
	v_fma_f64 v[8:9], s[0:1], v[8:9], -v[48:49]
	v_fma_f64 v[8:9], -v[18:19], v[50:51], v[8:9]
	ds_read_b128 v[48:51], v56 offset:784
	s_waitcnt lgkmcnt(0)
	v_fma_f64 v[8:9], -v[4:5], v[48:49], v[8:9]
	v_fma_f64 v[8:9], -v[6:7], v[50:51], v[8:9]
	ds_read2_b64 v[48:51], v56 offset0:100 offset1:150
	s_waitcnt lgkmcnt(0)
	v_mul_f64 v[8:9], v[48:49], v[8:9]
	v_mul_f64 v[48:49], v[16:17], v[57:58]
	v_fma_f64 v[10:11], s[0:1], v[10:11], -v[48:49]
	v_fma_f64 v[10:11], -v[18:19], v[59:60], v[10:11]
	ds_read_b128 v[57:60], v56 offset:976
	s_waitcnt lgkmcnt(0)
	v_fma_f64 v[10:11], -v[4:5], v[57:58], v[10:11]
	v_fma_f64 v[10:11], -v[6:7], v[59:60], v[10:11]
	ds_read_b128 v[57:60], v56 offset:992
	s_waitcnt lgkmcnt(0)
	v_fma_f64 v[10:11], -v[8:9], v[57:58], v[10:11]
	v_mul_f64 v[10:11], v[59:60], v[10:11]
	global_store_dwordx4 v[52:53], v[8:11], off offset:32
	ds_read_b128 v[57:60], v56 offset:1152
	ds_read_b128 v[61:64], v56 offset:1168
	;; [unrolled: 1-line block ×3, first 2 shown]
	s_waitcnt lgkmcnt(2)
	v_mul_f64 v[48:49], v[16:17], v[57:58]
	v_fma_f64 v[12:13], s[0:1], v[12:13], -v[48:49]
	v_fma_f64 v[12:13], -v[18:19], v[59:60], v[12:13]
	ds_read_b128 v[57:60], v56 offset:1728
	s_waitcnt lgkmcnt(2)
	v_fma_f64 v[12:13], -v[4:5], v[61:62], v[12:13]
	v_fma_f64 v[12:13], -v[6:7], v[63:64], v[12:13]
	s_waitcnt lgkmcnt(1)
	v_fma_f64 v[12:13], -v[8:9], v[65:66], v[12:13]
	v_fma_f64 v[12:13], -v[10:11], v[67:68], v[12:13]
	v_mul_f64 v[12:13], v[50:51], v[12:13]
	ds_read_b128 v[48:51], v56 offset:1344
	s_waitcnt lgkmcnt(0)
	v_mul_f64 v[48:49], v[16:17], v[48:49]
	v_fma_f64 v[14:15], s[0:1], v[14:15], -v[48:49]
	v_fma_f64 v[14:15], -v[18:19], v[50:51], v[14:15]
	ds_read_b128 v[48:51], v56 offset:1360
	s_waitcnt lgkmcnt(0)
	v_fma_f64 v[14:15], -v[4:5], v[48:49], v[14:15]
	v_fma_f64 v[14:15], -v[6:7], v[50:51], v[14:15]
	ds_read_b128 v[48:51], v56 offset:1376
	s_waitcnt lgkmcnt(0)
	v_fma_f64 v[14:15], -v[8:9], v[48:49], v[14:15]
	;; [unrolled: 4-line block ×3, first 2 shown]
	v_mul_f64 v[14:15], v[50:51], v[14:15]
	ds_read_b128 v[48:51], v56 offset:1536
	s_waitcnt lgkmcnt(0)
	v_mul_f64 v[48:49], v[16:17], v[48:49]
	global_store_dwordx4 v[52:53], v[12:15], off offset:48
	s_waitcnt vmcnt(8)
	v_fma_f64 v[20:21], s[0:1], v[20:21], -v[48:49]
	v_fma_f64 v[20:21], -v[18:19], v[50:51], v[20:21]
	ds_read_b128 v[48:51], v56 offset:1552
	s_waitcnt lgkmcnt(0)
	v_fma_f64 v[20:21], -v[4:5], v[48:49], v[20:21]
	v_fma_f64 v[20:21], -v[6:7], v[50:51], v[20:21]
	ds_read_b128 v[48:51], v56 offset:1568
	s_waitcnt lgkmcnt(0)
	v_fma_f64 v[20:21], -v[8:9], v[48:49], v[20:21]
	;; [unrolled: 4-line block ×3, first 2 shown]
	v_fma_f64 v[20:21], -v[14:15], v[50:51], v[20:21]
	ds_read2_b64 v[48:51], v56 offset0:200 offset1:250
	s_waitcnt lgkmcnt(0)
	v_mul_f64 v[20:21], v[48:49], v[20:21]
	v_mul_f64 v[48:49], v[16:17], v[57:58]
	v_fma_f64 v[22:23], s[0:1], v[22:23], -v[48:49]
	v_fma_f64 v[22:23], -v[18:19], v[59:60], v[22:23]
	ds_read_b128 v[57:60], v56 offset:1744
	s_waitcnt lgkmcnt(0)
	v_fma_f64 v[22:23], -v[4:5], v[57:58], v[22:23]
	v_fma_f64 v[22:23], -v[6:7], v[59:60], v[22:23]
	ds_read_b128 v[57:60], v56 offset:1760
	s_waitcnt lgkmcnt(0)
	v_fma_f64 v[22:23], -v[8:9], v[57:58], v[22:23]
	;; [unrolled: 4-line block ×4, first 2 shown]
	v_mul_f64 v[22:23], v[59:60], v[22:23]
	global_store_dwordx4 v[52:53], v[20:23], off offset:64
	ds_read_b128 v[57:60], v56 offset:1920
	ds_read_b128 v[61:64], v56 offset:1936
	;; [unrolled: 1-line block ×4, first 2 shown]
	s_waitcnt lgkmcnt(3)
	v_mul_f64 v[48:49], v[16:17], v[57:58]
	v_fma_f64 v[24:25], s[0:1], v[24:25], -v[48:49]
	v_fma_f64 v[24:25], -v[18:19], v[59:60], v[24:25]
	ds_read_b128 v[57:60], v56 offset:1984
	s_waitcnt lgkmcnt(3)
	v_fma_f64 v[24:25], -v[4:5], v[61:62], v[24:25]
	v_fma_f64 v[24:25], -v[6:7], v[63:64], v[24:25]
	s_waitcnt lgkmcnt(2)
	v_fma_f64 v[24:25], -v[8:9], v[65:66], v[24:25]
	v_fma_f64 v[24:25], -v[10:11], v[67:68], v[24:25]
	;; [unrolled: 3-line block ×4, first 2 shown]
	v_mul_f64 v[24:25], v[50:51], v[24:25]
	ds_read_b128 v[48:51], v56 offset:2112
	s_waitcnt lgkmcnt(0)
	v_mul_f64 v[48:49], v[16:17], v[48:49]
	v_fma_f64 v[26:27], s[0:1], v[26:27], -v[48:49]
	v_fma_f64 v[26:27], -v[18:19], v[50:51], v[26:27]
	ds_read_b128 v[48:51], v56 offset:2128
	s_waitcnt lgkmcnt(0)
	v_fma_f64 v[26:27], -v[4:5], v[48:49], v[26:27]
	v_fma_f64 v[26:27], -v[6:7], v[50:51], v[26:27]
	ds_read_b128 v[48:51], v56 offset:2144
	s_waitcnt lgkmcnt(0)
	v_fma_f64 v[26:27], -v[8:9], v[48:49], v[26:27]
	;; [unrolled: 4-line block ×5, first 2 shown]
	v_mul_f64 v[26:27], v[50:51], v[26:27]
	global_store_dwordx4 v[52:53], v[24:27], off offset:80
	ds_read_b128 v[48:51], v56 offset:2304
	ds_read_b128 v[57:60], v56 offset:2320
	;; [unrolled: 1-line block ×4, first 2 shown]
	s_waitcnt lgkmcnt(3)
	v_mul_f64 v[48:49], v[16:17], v[48:49]
	v_fma_f64 v[28:29], s[0:1], v[28:29], -v[48:49]
	v_fma_f64 v[28:29], -v[18:19], v[50:51], v[28:29]
	ds_read_b128 v[48:51], v56 offset:2368
	s_waitcnt lgkmcnt(3)
	v_fma_f64 v[28:29], -v[4:5], v[57:58], v[28:29]
	v_fma_f64 v[28:29], -v[6:7], v[59:60], v[28:29]
	ds_read_b128 v[57:60], v56 offset:2496
	s_waitcnt lgkmcnt(3)
	v_fma_f64 v[28:29], -v[8:9], v[61:62], v[28:29]
	v_fma_f64 v[28:29], -v[10:11], v[63:64], v[28:29]
	s_waitcnt lgkmcnt(2)
	v_fma_f64 v[28:29], -v[12:13], v[65:66], v[28:29]
	v_fma_f64 v[28:29], -v[14:15], v[67:68], v[28:29]
	;; [unrolled: 3-line block ×3, first 2 shown]
	ds_read_b128 v[48:51], v56 offset:2384
	s_waitcnt lgkmcnt(0)
	v_fma_f64 v[28:29], -v[24:25], v[48:49], v[28:29]
	v_fma_f64 v[28:29], -v[26:27], v[50:51], v[28:29]
	ds_read2_b64 v[48:51], v73 offset0:44 offset1:94
	s_waitcnt lgkmcnt(0)
	v_mul_f64 v[28:29], v[48:49], v[28:29]
	v_mul_f64 v[48:49], v[16:17], v[57:58]
	v_fma_f64 v[30:31], s[0:1], v[30:31], -v[48:49]
	v_fma_f64 v[30:31], -v[18:19], v[59:60], v[30:31]
	ds_read_b128 v[57:60], v56 offset:2512
	s_waitcnt lgkmcnt(0)
	v_fma_f64 v[30:31], -v[4:5], v[57:58], v[30:31]
	v_fma_f64 v[30:31], -v[6:7], v[59:60], v[30:31]
	ds_read_b128 v[57:60], v56 offset:2528
	s_waitcnt lgkmcnt(0)
	v_fma_f64 v[30:31], -v[8:9], v[57:58], v[30:31]
	;; [unrolled: 4-line block ×6, first 2 shown]
	v_mul_f64 v[30:31], v[59:60], v[30:31]
	global_store_dwordx4 v[52:53], v[28:31], off offset:96
	ds_read_b128 v[57:60], v56 offset:2688
	ds_read_b128 v[61:64], v56 offset:2704
	;; [unrolled: 1-line block ×4, first 2 shown]
	s_waitcnt lgkmcnt(3)
	v_mul_f64 v[48:49], v[16:17], v[57:58]
	v_fma_f64 v[36:37], s[0:1], v[36:37], -v[48:49]
	v_fma_f64 v[36:37], -v[18:19], v[59:60], v[36:37]
	ds_read_b128 v[57:60], v56 offset:2752
	s_waitcnt lgkmcnt(3)
	v_fma_f64 v[36:37], -v[4:5], v[61:62], v[36:37]
	v_fma_f64 v[36:37], -v[6:7], v[63:64], v[36:37]
	s_waitcnt lgkmcnt(2)
	v_fma_f64 v[36:37], -v[8:9], v[65:66], v[36:37]
	v_fma_f64 v[36:37], -v[10:11], v[67:68], v[36:37]
	;; [unrolled: 3-line block ×4, first 2 shown]
	ds_read_b128 v[57:60], v56 offset:2768
	s_waitcnt lgkmcnt(0)
	v_fma_f64 v[36:37], -v[24:25], v[57:58], v[36:37]
	v_fma_f64 v[36:37], -v[26:27], v[59:60], v[36:37]
	ds_read_b128 v[57:60], v56 offset:2784
	s_waitcnt lgkmcnt(0)
	v_fma_f64 v[36:37], -v[28:29], v[57:58], v[36:37]
	v_fma_f64 v[36:37], -v[30:31], v[59:60], v[36:37]
	v_mul_f64 v[36:37], v[50:51], v[36:37]
	ds_read_b128 v[48:51], v56 offset:2880
	s_waitcnt lgkmcnt(0)
	v_mul_f64 v[48:49], v[16:17], v[48:49]
	v_fma_f64 v[38:39], s[0:1], v[38:39], -v[48:49]
	v_fma_f64 v[38:39], -v[18:19], v[50:51], v[38:39]
	ds_read_b128 v[48:51], v56 offset:2896
	s_waitcnt lgkmcnt(0)
	v_fma_f64 v[38:39], -v[4:5], v[48:49], v[38:39]
	v_fma_f64 v[38:39], -v[6:7], v[50:51], v[38:39]
	ds_read_b128 v[48:51], v56 offset:2912
	s_waitcnt lgkmcnt(0)
	v_fma_f64 v[38:39], -v[8:9], v[48:49], v[38:39]
	;; [unrolled: 4-line block ×7, first 2 shown]
	v_mul_f64 v[38:39], v[50:51], v[38:39]
	global_store_dwordx4 v[52:53], v[36:39], off offset:112
	ds_read_b128 v[48:51], v56 offset:3072
	ds_read_b128 v[57:60], v56 offset:3088
	;; [unrolled: 1-line block ×4, first 2 shown]
	s_waitcnt lgkmcnt(3)
	v_mul_f64 v[48:49], v[16:17], v[48:49]
	s_waitcnt vmcnt(8)
	v_fma_f64 v[40:41], s[0:1], v[40:41], -v[48:49]
	v_fma_f64 v[40:41], -v[18:19], v[50:51], v[40:41]
	ds_read_b128 v[48:51], v56 offset:3136
	s_waitcnt lgkmcnt(3)
	v_fma_f64 v[40:41], -v[4:5], v[57:58], v[40:41]
	v_fma_f64 v[40:41], -v[6:7], v[59:60], v[40:41]
	ds_read_b128 v[57:60], v56 offset:3264
	s_waitcnt lgkmcnt(3)
	v_fma_f64 v[40:41], -v[8:9], v[61:62], v[40:41]
	v_fma_f64 v[40:41], -v[10:11], v[63:64], v[40:41]
	s_waitcnt lgkmcnt(2)
	v_fma_f64 v[40:41], -v[12:13], v[65:66], v[40:41]
	v_fma_f64 v[40:41], -v[14:15], v[67:68], v[40:41]
	;; [unrolled: 3-line block ×3, first 2 shown]
	ds_read_b128 v[48:51], v56 offset:3152
	s_waitcnt lgkmcnt(0)
	v_fma_f64 v[40:41], -v[24:25], v[48:49], v[40:41]
	v_fma_f64 v[40:41], -v[26:27], v[50:51], v[40:41]
	ds_read_b128 v[48:51], v56 offset:3168
	s_waitcnt lgkmcnt(0)
	v_fma_f64 v[40:41], -v[28:29], v[48:49], v[40:41]
	v_fma_f64 v[40:41], -v[30:31], v[50:51], v[40:41]
	;; [unrolled: 4-line block ×3, first 2 shown]
	ds_read2_b64 v[48:51], v73 offset0:144 offset1:194
	s_waitcnt lgkmcnt(0)
	v_mul_f64 v[40:41], v[48:49], v[40:41]
	v_mul_f64 v[48:49], v[16:17], v[57:58]
	v_fma_f64 v[42:43], s[0:1], v[42:43], -v[48:49]
	v_fma_f64 v[42:43], -v[18:19], v[59:60], v[42:43]
	ds_read_b128 v[57:60], v56 offset:3280
	s_waitcnt lgkmcnt(0)
	v_fma_f64 v[42:43], -v[4:5], v[57:58], v[42:43]
	v_fma_f64 v[42:43], -v[6:7], v[59:60], v[42:43]
	ds_read_b128 v[57:60], v56 offset:3296
	s_waitcnt lgkmcnt(0)
	v_fma_f64 v[42:43], -v[8:9], v[57:58], v[42:43]
	v_fma_f64 v[42:43], -v[10:11], v[59:60], v[42:43]
	ds_read_b128 v[57:60], v56 offset:3312
	s_waitcnt lgkmcnt(0)
	v_fma_f64 v[42:43], -v[12:13], v[57:58], v[42:43]
	v_fma_f64 v[42:43], -v[14:15], v[59:60], v[42:43]
	ds_read_b128 v[57:60], v56 offset:3328
	s_waitcnt lgkmcnt(0)
	v_fma_f64 v[42:43], -v[20:21], v[57:58], v[42:43]
	v_fma_f64 v[42:43], -v[22:23], v[59:60], v[42:43]
	ds_read_b128 v[57:60], v56 offset:3344
	s_waitcnt lgkmcnt(0)
	v_fma_f64 v[42:43], -v[24:25], v[57:58], v[42:43]
	v_fma_f64 v[42:43], -v[26:27], v[59:60], v[42:43]
	ds_read_b128 v[57:60], v56 offset:3360
	s_waitcnt lgkmcnt(0)
	v_fma_f64 v[42:43], -v[28:29], v[57:58], v[42:43]
	v_fma_f64 v[42:43], -v[30:31], v[59:60], v[42:43]
	ds_read_b128 v[57:60], v56 offset:3376
	s_waitcnt lgkmcnt(0)
	v_fma_f64 v[42:43], -v[36:37], v[57:58], v[42:43]
	v_fma_f64 v[42:43], -v[38:39], v[59:60], v[42:43]
	ds_read_b128 v[57:60], v56 offset:3392
	s_waitcnt lgkmcnt(0)
	v_fma_f64 v[42:43], -v[40:41], v[57:58], v[42:43]
	v_mul_f64 v[42:43], v[59:60], v[42:43]
	global_store_dwordx4 v[52:53], v[40:43], off offset:128
	ds_read_b128 v[57:60], v56 offset:3456
	ds_read_b128 v[61:64], v56 offset:3472
	;; [unrolled: 1-line block ×4, first 2 shown]
	s_waitcnt lgkmcnt(3)
	v_mul_f64 v[48:49], v[16:17], v[57:58]
	v_fma_f64 v[44:45], s[0:1], v[44:45], -v[48:49]
	v_fma_f64 v[44:45], -v[18:19], v[59:60], v[44:45]
	ds_read_b128 v[57:60], v56 offset:3520
	s_waitcnt lgkmcnt(3)
	v_fma_f64 v[44:45], -v[4:5], v[61:62], v[44:45]
	v_fma_f64 v[44:45], -v[6:7], v[63:64], v[44:45]
	s_waitcnt lgkmcnt(2)
	v_fma_f64 v[44:45], -v[8:9], v[65:66], v[44:45]
	v_fma_f64 v[44:45], -v[10:11], v[67:68], v[44:45]
	;; [unrolled: 3-line block ×4, first 2 shown]
	ds_read_b128 v[57:60], v56 offset:3536
	s_waitcnt lgkmcnt(0)
	v_fma_f64 v[44:45], -v[24:25], v[57:58], v[44:45]
	v_fma_f64 v[44:45], -v[26:27], v[59:60], v[44:45]
	ds_read_b128 v[57:60], v56 offset:3552
	s_waitcnt lgkmcnt(0)
	v_fma_f64 v[44:45], -v[28:29], v[57:58], v[44:45]
	v_fma_f64 v[44:45], -v[30:31], v[59:60], v[44:45]
	ds_read_b128 v[57:60], v56 offset:3568
	s_waitcnt lgkmcnt(0)
	v_fma_f64 v[44:45], -v[36:37], v[57:58], v[44:45]
	v_fma_f64 v[44:45], -v[38:39], v[59:60], v[44:45]
	ds_read_b128 v[57:60], v56 offset:3584
	s_waitcnt lgkmcnt(0)
	v_fma_f64 v[44:45], -v[40:41], v[57:58], v[44:45]
	v_fma_f64 v[44:45], -v[42:43], v[59:60], v[44:45]
	v_mul_f64 v[44:45], v[50:51], v[44:45]
	ds_read_b128 v[48:51], v56 offset:3648
	s_waitcnt lgkmcnt(0)
	v_mul_f64 v[48:49], v[16:17], v[48:49]
	v_fma_f64 v[46:47], s[0:1], v[46:47], -v[48:49]
	v_fma_f64 v[50:51], -v[18:19], v[50:51], v[46:47]
	ds_read_b128 v[46:49], v56 offset:3664
	s_waitcnt lgkmcnt(0)
	v_fma_f64 v[46:47], -v[4:5], v[46:47], v[50:51]
	v_fma_f64 v[50:51], -v[6:7], v[48:49], v[46:47]
	ds_read_b128 v[46:49], v56 offset:3680
	s_waitcnt lgkmcnt(0)
	v_fma_f64 v[46:47], -v[8:9], v[46:47], v[50:51]
	;; [unrolled: 4-line block ×9, first 2 shown]
	v_mul_f64 v[46:47], v[48:49], v[46:47]
	global_store_dwordx4 v[52:53], v[44:47], off offset:144
	ds_read_b128 v[48:51], v56 offset:3840
	ds_read_b128 v[57:60], v56 offset:3856
	;; [unrolled: 1-line block ×4, first 2 shown]
	s_waitcnt lgkmcnt(3)
	v_mul_f64 v[48:49], v[16:17], v[48:49]
	v_fma_f64 v[32:33], s[0:1], v[32:33], -v[48:49]
	v_fma_f64 v[32:33], -v[18:19], v[50:51], v[32:33]
	ds_read_b128 v[48:51], v56 offset:3904
	s_waitcnt lgkmcnt(3)
	v_fma_f64 v[32:33], -v[4:5], v[57:58], v[32:33]
	v_fma_f64 v[32:33], -v[6:7], v[59:60], v[32:33]
	ds_read_b128 v[57:60], v56 offset:4032
	s_waitcnt lgkmcnt(3)
	v_fma_f64 v[32:33], -v[8:9], v[61:62], v[32:33]
	v_fma_f64 v[32:33], -v[10:11], v[63:64], v[32:33]
	s_waitcnt lgkmcnt(2)
	v_fma_f64 v[32:33], -v[12:13], v[65:66], v[32:33]
	v_fma_f64 v[32:33], -v[14:15], v[67:68], v[32:33]
	;; [unrolled: 3-line block ×3, first 2 shown]
	ds_read_b128 v[48:51], v56 offset:3920
	s_waitcnt lgkmcnt(0)
	v_fma_f64 v[32:33], -v[24:25], v[48:49], v[32:33]
	v_fma_f64 v[32:33], -v[26:27], v[50:51], v[32:33]
	ds_read_b128 v[48:51], v56 offset:3936
	s_waitcnt lgkmcnt(0)
	v_fma_f64 v[32:33], -v[28:29], v[48:49], v[32:33]
	v_fma_f64 v[32:33], -v[30:31], v[50:51], v[32:33]
	;; [unrolled: 4-line block ×4, first 2 shown]
	ds_read_b128 v[48:51], v56 offset:3984
	s_waitcnt lgkmcnt(0)
	v_fma_f64 v[32:33], -v[44:45], v[48:49], v[32:33]
	v_add_u32_e64 v48, s8, 0
	s_mov_b32 s8, 24
	v_fma_f64 v[32:33], -v[46:47], v[50:51], v[32:33]
	ds_read2_b64 v[48:51], v48 offset0:116 offset1:166
	s_waitcnt lgkmcnt(0)
	v_mul_f64 v[32:33], v[48:49], v[32:33]
	v_mul_f64 v[48:49], v[16:17], v[57:58]
	v_fma_f64 v[34:35], s[0:1], v[34:35], -v[48:49]
	v_fma_f64 v[34:35], -v[18:19], v[59:60], v[34:35]
	ds_read_b128 v[57:60], v56 offset:4048
	s_waitcnt lgkmcnt(0)
	v_fma_f64 v[34:35], -v[4:5], v[57:58], v[34:35]
	v_fma_f64 v[34:35], -v[6:7], v[59:60], v[34:35]
	ds_read_b128 v[57:60], v56 offset:4064
	s_waitcnt lgkmcnt(0)
	v_fma_f64 v[34:35], -v[8:9], v[57:58], v[34:35]
	;; [unrolled: 4-line block ×10, first 2 shown]
	v_mul_f64 v[34:35], v[59:60], v[34:35]
	global_store_dwordx4 v[52:53], v[32:35], off offset:160
	ds_read_b128 v[57:60], v56 offset:4224
	ds_read_b128 v[61:64], v56 offset:4240
	;; [unrolled: 1-line block ×4, first 2 shown]
	s_waitcnt lgkmcnt(3)
	v_mul_f64 v[48:49], v[16:17], v[57:58]
	v_fma_f64 v[0:1], s[0:1], v[0:1], -v[48:49]
	v_fma_f64 v[0:1], -v[18:19], v[59:60], v[0:1]
	ds_read_b128 v[57:60], v56 offset:4288
	s_waitcnt lgkmcnt(3)
	v_fma_f64 v[0:1], -v[4:5], v[61:62], v[0:1]
	v_fma_f64 v[0:1], -v[6:7], v[63:64], v[0:1]
	s_waitcnt lgkmcnt(2)
	v_fma_f64 v[0:1], -v[8:9], v[65:66], v[0:1]
	v_fma_f64 v[0:1], -v[10:11], v[67:68], v[0:1]
	;; [unrolled: 3-line block ×4, first 2 shown]
	ds_read_b128 v[57:60], v56 offset:4304
	s_waitcnt lgkmcnt(0)
	v_fma_f64 v[0:1], -v[24:25], v[57:58], v[0:1]
	v_fma_f64 v[0:1], -v[26:27], v[59:60], v[0:1]
	ds_read_b128 v[57:60], v56 offset:4320
	s_waitcnt lgkmcnt(0)
	v_fma_f64 v[0:1], -v[28:29], v[57:58], v[0:1]
	v_fma_f64 v[0:1], -v[30:31], v[59:60], v[0:1]
	;; [unrolled: 4-line block ×6, first 2 shown]
	v_mul_f64 v[0:1], v[50:51], v[0:1]
	ds_read_b128 v[48:51], v56 offset:4416
	s_waitcnt lgkmcnt(0)
	v_mul_f64 v[16:17], v[16:17], v[48:49]
	v_fma_f64 v[2:3], s[0:1], v[2:3], -v[16:17]
	v_fma_f64 v[2:3], -v[18:19], v[50:51], v[2:3]
	ds_read_b128 v[16:19], v56 offset:4432
	s_waitcnt lgkmcnt(0)
	v_fma_f64 v[2:3], -v[4:5], v[16:17], v[2:3]
	v_fma_f64 v[6:7], -v[6:7], v[18:19], v[2:3]
	ds_read_b128 v[2:5], v56 offset:4448
	s_waitcnt lgkmcnt(0)
	v_fma_f64 v[2:3], -v[8:9], v[2:3], v[6:7]
	;; [unrolled: 4-line block ×11, first 2 shown]
	v_mul_f64 v[2:3], v[4:5], v[2:3]
	global_store_dwordx4 v[52:53], v[0:3], off offset:176
.LBB93_10:
	s_cmp_lt_i32 s8, s22
	s_cbranch_scc0 .LBB93_24
; %bb.11:
	s_add_i32 s9, s8, 19
	s_cmp_ge_u32 s9, s22
	s_cbranch_scc1 .LBB93_19
; %bb.12:
	s_lshl_b32 s9, s8, 3
	v_add_co_u32_e32 v40, vcc, s9, v52
	v_addc_co_u32_e32 v41, vcc, 0, v53, vcc
	global_load_dwordx4 v[0:3], v[40:41], off offset:48
	global_load_dwordx4 v[4:7], v[40:41], off offset:32
	;; [unrolled: 1-line block ×3, first 2 shown]
	global_load_dwordx4 v[12:15], v[40:41], off
	global_load_dwordx4 v[16:19], v[40:41], off offset:112
	global_load_dwordx4 v[20:23], v[40:41], off offset:96
	;; [unrolled: 1-line block ×6, first 2 shown]
	s_andn2_b64 vcc, exec, s[6:7]
	s_cbranch_vccnz .LBB93_14
; %bb.13:
	s_mul_i32 s11, s8, 0xc0
	s_mov_b64 s[6:7], 0
	s_branch .LBB93_15
.LBB93_14:
	s_mov_b64 s[6:7], -1
                                        ; implicit-def: $sgpr11
.LBB93_15:
	s_waitcnt vmcnt(6)
	v_mul_f64 v[56:57], s[0:1], v[12:13]
	v_mul_f64 v[50:51], s[0:1], v[14:15]
	;; [unrolled: 1-line block ×8, first 2 shown]
	s_waitcnt vmcnt(2)
	v_mul_f64 v[12:13], s[0:1], v[28:29]
	v_mul_f64 v[44:45], s[0:1], v[30:31]
	v_mul_f64 v[42:43], s[0:1], v[24:25]
	v_mul_f64 v[14:15], s[0:1], v[26:27]
	v_mul_f64 v[30:31], s[0:1], v[20:21]
	v_mul_f64 v[28:29], s[0:1], v[22:23]
	v_mul_f64 v[26:27], s[0:1], v[16:17]
	v_mul_f64 v[24:25], s[0:1], v[18:19]
	s_waitcnt vmcnt(0)
	v_mul_f64 v[22:23], s[0:1], v[36:37]
	v_mul_f64 v[20:21], s[0:1], v[38:39]
	;; [unrolled: 1-line block ×4, first 2 shown]
	s_andn2_b64 vcc, exec, s[6:7]
	s_cbranch_vccnz .LBB93_18
; %bb.16:
	s_add_u32 s4, s14, s4
	s_addc_u32 s5, s15, s5
	s_add_u32 s2, s4, s2
	s_addc_u32 s3, s5, s3
	v_mov_b32_e32 v0, s3
	v_add_co_u32_e32 v1, vcc, s2, v54
	v_addc_co_u32_e32 v2, vcc, v0, v55, vcc
	s_mul_i32 s11, s8, 0xc0
	v_add_co_u32_e32 v0, vcc, 8, v1
	v_addc_co_u32_e32 v1, vcc, 0, v2, vcc
	s_mov_b32 s2, s8
	s_mov_b32 s3, s11
.LBB93_17:                              ; =>This Inner Loop Header: Depth=1
	global_load_dwordx4 v[32:35], v[0:1], off offset:-8
	v_mov_b32_e32 v54, s3
	ds_read_b128 v[36:39], v54
	ds_read_b128 v[58:61], v54 offset:192
	ds_read_b128 v[62:65], v54 offset:384
	;; [unrolled: 1-line block ×5, first 2 shown]
	s_add_i32 s3, s3, 16
	v_add_co_u32_e32 v0, vcc, 16, v0
	s_add_i32 s2, s2, -2
	s_cmp_lg_u32 s2, 0
	v_addc_co_u32_e32 v1, vcc, 0, v1, vcc
	s_waitcnt vmcnt(0) lgkmcnt(5)
	v_fma_f64 v[2:3], -v[32:33], v[36:37], v[56:57]
	v_fma_f64 v[56:57], -v[34:35], v[38:39], v[2:3]
	s_waitcnt lgkmcnt(4)
	v_fma_f64 v[2:3], -v[32:33], v[58:59], v[50:51]
	ds_read_b128 v[36:39], v54 offset:1152
	v_fma_f64 v[50:51], -v[34:35], v[60:61], v[2:3]
	s_waitcnt lgkmcnt(4)
	v_fma_f64 v[2:3], -v[32:33], v[62:63], v[48:49]
	ds_read_b128 v[58:61], v54 offset:1344
	;; [unrolled: 4-line block ×10, first 2 shown]
	s_waitcnt lgkmcnt(0)
	v_fma_f64 v[24:25], -v[32:33], v[66:67], v[24:25]
	v_fma_f64 v[42:43], -v[34:35], v[72:73], v[2:3]
	;; [unrolled: 1-line block ×3, first 2 shown]
	ds_read_b128 v[70:73], v54 offset:3072
	v_fma_f64 v[24:25], -v[34:35], v[68:69], v[24:25]
	v_fma_f64 v[14:15], -v[34:35], v[76:77], v[2:3]
	;; [unrolled: 1-line block ×3, first 2 shown]
	ds_read_b128 v[74:77], v54 offset:3264
	s_waitcnt lgkmcnt(1)
	v_fma_f64 v[22:23], -v[32:33], v[70:71], v[22:23]
	s_waitcnt lgkmcnt(0)
	v_fma_f64 v[20:21], -v[32:33], v[74:75], v[20:21]
	v_fma_f64 v[30:31], -v[34:35], v[38:39], v[2:3]
	;; [unrolled: 1-line block ×3, first 2 shown]
	ds_read_b128 v[36:39], v54 offset:3456
	v_fma_f64 v[22:23], -v[34:35], v[72:73], v[22:23]
	v_fma_f64 v[20:21], -v[34:35], v[76:77], v[20:21]
	;; [unrolled: 1-line block ×3, first 2 shown]
	ds_read_b128 v[58:61], v54 offset:3648
	v_fma_f64 v[2:3], -v[32:33], v[62:63], v[26:27]
	s_waitcnt lgkmcnt(1)
	v_fma_f64 v[18:19], -v[32:33], v[36:37], v[18:19]
	s_waitcnt lgkmcnt(0)
	v_fma_f64 v[16:17], -v[32:33], v[58:59], v[16:17]
	v_fma_f64 v[26:27], -v[34:35], v[64:65], v[2:3]
	;; [unrolled: 1-line block ×4, first 2 shown]
	s_cbranch_scc1 .LBB93_17
.LBB93_18:
	s_add_i32 s2, s9, s11
	v_mov_b32_e32 v33, s2
	ds_read2_b64 v[34:37], v33 offset1:50
	s_or_b32 s2, s8, 1
	s_mulk_i32 s2, 0xc0
	s_add_i32 s2, s9, s2
	v_mov_b32_e32 v32, s2
	s_waitcnt lgkmcnt(0)
	v_mul_f64 v[0:1], v[34:35], v[56:57]
	ds_read_b128 v[54:57], v32
	ds_read_b128 v[58:61], v32 offset:192
	s_add_i32 s8, s8, 20
	s_waitcnt lgkmcnt(1)
	v_fma_f64 v[2:3], -v[0:1], v[54:55], v[50:51]
	s_waitcnt lgkmcnt(0)
	v_fma_f64 v[34:35], -v[0:1], v[58:59], v[48:49]
	v_mul_f64 v[2:3], v[56:57], v[2:3]
	ds_read_b128 v[48:51], v32 offset:384
	ds_read_b128 v[54:57], v32 offset:400
	s_waitcnt lgkmcnt(1)
	v_fma_f64 v[38:39], -v[0:1], v[48:49], v[46:47]
	v_fma_f64 v[34:35], -v[2:3], v[60:61], v[34:35]
	ds_read_b128 v[46:49], v32 offset:576
	ds_read_b128 v[58:61], v32 offset:592
	s_waitcnt lgkmcnt(1)
	v_fma_f64 v[46:47], -v[0:1], v[46:47], v[4:5]
	v_fma_f64 v[38:39], -v[2:3], v[50:51], v[38:39]
	v_mul_f64 v[4:5], v[36:37], v[34:35]
	ds_read_b128 v[34:37], v32 offset:768
	ds_read_b128 v[62:65], v32 offset:784
	s_waitcnt lgkmcnt(1)
	v_fma_f64 v[10:11], -v[0:1], v[34:35], v[10:11]
	v_fma_f64 v[34:35], -v[2:3], v[48:49], v[46:47]
	ds_read_b128 v[46:49], v32 offset:960
	ds_read_b128 v[66:69], v32 offset:800
	v_fma_f64 v[38:39], -v[4:5], v[54:55], v[38:39]
	s_waitcnt lgkmcnt(1)
	v_fma_f64 v[46:47], -v[0:1], v[46:47], v[6:7]
	v_fma_f64 v[10:11], -v[2:3], v[36:37], v[10:11]
	;; [unrolled: 1-line block ×3, first 2 shown]
	v_mul_f64 v[6:7], v[56:57], v[38:39]
	ds_read_b128 v[34:37], v32 offset:1152
	ds_read_b128 v[54:57], v32 offset:1168
	v_fma_f64 v[38:39], -v[2:3], v[48:49], v[46:47]
	s_waitcnt lgkmcnt(1)
	v_fma_f64 v[34:35], -v[0:1], v[34:35], v[8:9]
	v_fma_f64 v[62:63], -v[4:5], v[62:63], v[10:11]
	;; [unrolled: 1-line block ×3, first 2 shown]
	ds_read_b128 v[8:11], v32 offset:976
	ds_read2_b64 v[46:49], v33 offset0:100 offset1:150
	ds_read_b128 v[58:61], v32 offset:992
	v_fma_f64 v[34:35], -v[2:3], v[36:37], v[34:35]
	s_waitcnt lgkmcnt(2)
	v_fma_f64 v[36:37], -v[4:5], v[8:9], v[38:39]
	v_fma_f64 v[38:39], -v[6:7], v[64:65], v[62:63]
	s_waitcnt lgkmcnt(1)
	v_mul_f64 v[8:9], v[46:47], v[50:51]
	v_fma_f64 v[34:35], -v[4:5], v[54:55], v[34:35]
	v_fma_f64 v[10:11], -v[6:7], v[10:11], v[36:37]
	;; [unrolled: 1-line block ×4, first 2 shown]
	s_waitcnt lgkmcnt(0)
	v_fma_f64 v[46:47], -v[8:9], v[58:59], v[10:11]
	v_mul_f64 v[10:11], v[68:69], v[36:37]
	ds_read_b128 v[34:37], v32 offset:1184
	ds_read_b128 v[54:57], v32 offset:1344
	;; [unrolled: 1-line block ×3, first 2 shown]
	s_waitcnt lgkmcnt(2)
	v_fma_f64 v[34:35], -v[8:9], v[34:35], v[38:39]
	s_waitcnt lgkmcnt(1)
	v_fma_f64 v[50:51], -v[0:1], v[54:55], v[12:13]
	v_fma_f64 v[38:39], -v[10:11], v[60:61], v[46:47]
	ds_read_b128 v[58:61], v32 offset:1360
	ds_read_b128 v[66:69], v32 offset:1536
	;; [unrolled: 1-line block ×3, first 2 shown]
	v_fma_f64 v[54:55], -v[10:11], v[36:37], v[34:35]
	v_fma_f64 v[74:75], -v[2:3], v[56:57], v[50:51]
	s_waitcnt lgkmcnt(0)
	v_fma_f64 v[42:43], -v[0:1], v[70:71], v[42:43]
	v_mul_f64 v[12:13], v[48:49], v[38:39]
	v_fma_f64 v[38:39], -v[0:1], v[66:67], v[44:45]
	ds_read_b128 v[34:37], v32 offset:1552
	ds_read_b128 v[44:47], v32 offset:1600
	;; [unrolled: 1-line block ×3, first 2 shown]
	v_fma_f64 v[58:59], -v[4:5], v[58:59], v[74:75]
	v_fma_f64 v[42:43], -v[2:3], v[72:73], v[42:43]
	;; [unrolled: 1-line block ×4, first 2 shown]
	ds_read_b128 v[66:69], v32 offset:2112
	ds_read_b128 v[70:73], v32 offset:1936
	s_waitcnt lgkmcnt(2)
	v_fma_f64 v[48:49], -v[0:1], v[48:49], v[14:15]
	ds_read_b128 v[54:57], v32 offset:1744
	v_fma_f64 v[78:79], -v[6:7], v[60:61], v[58:59]
	ds_read_b128 v[74:77], v32 offset:1376
	v_mul_f64 v[14:15], v[64:65], v[62:63]
	ds_read_b128 v[62:65], v32 offset:2128
	s_waitcnt lgkmcnt(4)
	v_fma_f64 v[30:31], -v[0:1], v[66:67], v[30:31]
	v_fma_f64 v[34:35], -v[4:5], v[34:35], v[38:39]
	ds_read_b128 v[58:61], v32 offset:1760
	s_waitcnt lgkmcnt(3)
	v_fma_f64 v[38:39], -v[4:5], v[54:55], v[42:43]
	v_fma_f64 v[42:43], -v[2:3], v[50:51], v[48:49]
	ds_read_b128 v[48:51], v32 offset:1392
	v_fma_f64 v[80:81], -v[2:3], v[68:69], v[30:31]
	s_waitcnt lgkmcnt(3)
	v_fma_f64 v[30:31], -v[8:9], v[74:75], v[78:79]
	v_fma_f64 v[74:75], -v[6:7], v[36:37], v[34:35]
	ds_read_b128 v[66:69], v32 offset:2304
	ds_read_b128 v[34:37], v32 offset:1568
	v_fma_f64 v[38:39], -v[6:7], v[56:57], v[38:39]
	ds_read_b128 v[54:57], v32 offset:2320
	v_fma_f64 v[42:43], -v[4:5], v[70:71], v[42:43]
	s_waitcnt lgkmcnt(2)
	v_fma_f64 v[66:67], -v[0:1], v[66:67], v[28:29]
	v_fma_f64 v[76:77], -v[10:11], v[76:77], v[30:31]
	ds_read_b128 v[28:31], v32 offset:1584
	s_waitcnt lgkmcnt(2)
	v_fma_f64 v[34:35], -v[8:9], v[34:35], v[74:75]
	v_fma_f64 v[38:39], -v[8:9], v[58:59], v[38:39]
	v_fma_f64 v[42:43], -v[6:7], v[72:73], v[42:43]
	v_fma_f64 v[74:75], -v[2:3], v[68:69], v[66:67]
	v_fma_f64 v[48:49], -v[12:13], v[48:49], v[76:77]
	ds_read_b128 v[66:69], v32 offset:2496
	v_fma_f64 v[78:79], -v[10:11], v[36:37], v[34:35]
	ds_read_b128 v[70:73], v32 offset:1952
	ds_read_b128 v[34:37], v32 offset:2400
	v_fma_f64 v[38:39], -v[10:11], v[60:61], v[38:39]
	s_waitcnt lgkmcnt(2)
	v_fma_f64 v[66:67], -v[0:1], v[66:67], v[26:27]
	ds_read_b128 v[58:61], v32 offset:1968
	s_waitcnt lgkmcnt(2)
	v_fma_f64 v[42:43], -v[8:9], v[70:71], v[42:43]
	v_fma_f64 v[76:77], -v[14:15], v[50:51], v[48:49]
	;; [unrolled: 1-line block ×3, first 2 shown]
	ds_read_b128 v[26:29], v32 offset:1776
	ds_read2_b64 v[48:51], v33 offset0:200 offset1:250
	v_fma_f64 v[54:55], -v[4:5], v[54:55], v[74:75]
	v_fma_f64 v[78:79], -v[2:3], v[68:69], v[66:67]
	ds_read_b128 v[66:69], v32 offset:1792
	v_fma_f64 v[42:43], -v[10:11], v[72:73], v[42:43]
	s_waitcnt lgkmcnt(2)
	v_fma_f64 v[38:39], -v[12:13], v[26:27], v[38:39]
	v_fma_f64 v[30:31], -v[14:15], v[30:31], v[70:71]
	s_waitcnt lgkmcnt(1)
	v_mul_f64 v[26:27], v[48:49], v[76:77]
	v_fma_f64 v[48:49], -v[4:5], v[62:63], v[80:81]
	ds_read_b128 v[70:73], v32 offset:2160
	v_fma_f64 v[58:59], -v[12:13], v[58:59], v[42:43]
	v_fma_f64 v[28:29], -v[14:15], v[28:29], v[38:39]
	;; [unrolled: 1-line block ×4, first 2 shown]
	ds_read_b128 v[62:65], v32 offset:2512
	ds_read_b128 v[42:45], v32 offset:2144
	v_fma_f64 v[74:75], -v[14:15], v[60:61], v[58:59]
	s_waitcnt lgkmcnt(3)
	v_fma_f64 v[66:67], -v[26:27], v[66:67], v[28:29]
	ds_read_b128 v[58:61], v32 offset:1984
	v_mul_f64 v[28:29], v[46:47], v[30:31]
	ds_read_b128 v[46:49], v32 offset:2528
	s_waitcnt lgkmcnt(3)
	v_fma_f64 v[30:31], -v[4:5], v[62:63], v[78:79]
	s_waitcnt lgkmcnt(2)
	v_fma_f64 v[38:39], -v[8:9], v[42:43], v[38:39]
	v_fma_f64 v[78:79], -v[6:7], v[56:57], v[54:55]
	ds_read_b128 v[54:57], v32 offset:2000
	s_waitcnt lgkmcnt(2)
	v_fma_f64 v[58:59], -v[26:27], v[58:59], v[74:75]
	v_fma_f64 v[74:75], -v[28:29], v[68:69], v[66:67]
	ds_read_b128 v[66:69], v32 offset:2688
	v_fma_f64 v[30:31], -v[6:7], v[64:65], v[30:31]
	ds_read_b128 v[62:65], v32 offset:2336
	;; [unrolled: 2-line block ×3, first 2 shown]
	s_waitcnt lgkmcnt(2)
	v_fma_f64 v[24:25], -v[0:1], v[66:67], v[24:25]
	v_fma_f64 v[60:61], -v[28:29], v[60:61], v[58:59]
	v_mul_f64 v[58:59], v[50:51], v[74:75]
	ds_read_b128 v[74:77], v32 offset:2352
	s_waitcnt lgkmcnt(2)
	v_fma_f64 v[50:51], -v[8:9], v[62:63], v[78:79]
	v_fma_f64 v[30:31], -v[8:9], v[46:47], v[30:31]
	;; [unrolled: 1-line block ×3, first 2 shown]
	ds_read_b128 v[78:81], v32 offset:2192
	v_fma_f64 v[24:25], -v[2:3], v[68:69], v[24:25]
	ds_read_b128 v[66:69], v32 offset:2176
	v_fma_f64 v[54:55], -v[58:59], v[54:55], v[60:61]
	v_fma_f64 v[50:51], -v[10:11], v[64:65], v[50:51]
	ds_read_b128 v[62:65], v32 offset:2880
	v_fma_f64 v[38:39], -v[14:15], v[72:73], v[38:39]
	v_fma_f64 v[30:31], -v[10:11], v[48:49], v[30:31]
	s_waitcnt lgkmcnt(4)
	v_fma_f64 v[24:25], -v[4:5], v[42:43], v[24:25]
	ds_read_b128 v[70:73], v32 offset:2544
	v_mul_f64 v[60:61], v[56:57], v[54:55]
	ds_read_b128 v[54:57], v32 offset:2720
	s_waitcnt lgkmcnt(5)
	v_fma_f64 v[50:51], -v[12:13], v[74:75], v[50:51]
	ds_read_b128 v[46:49], v32 offset:2368
	s_waitcnt lgkmcnt(4)
	v_fma_f64 v[38:39], -v[26:27], v[66:67], v[38:39]
	v_fma_f64 v[74:75], -v[6:7], v[44:45], v[24:25]
	ds_read_b128 v[42:45], v32 offset:2896
	s_waitcnt lgkmcnt(4)
	v_fma_f64 v[62:63], -v[0:1], v[62:63], v[22:23]
	ds_read_b128 v[22:25], v32 offset:2560
	v_fma_f64 v[50:51], -v[14:15], v[76:77], v[50:51]
	s_waitcnt lgkmcnt(4)
	v_fma_f64 v[30:31], -v[12:13], v[70:71], v[30:31]
	v_fma_f64 v[38:39], -v[28:29], v[68:69], v[38:39]
	ds_read_b128 v[66:69], v32 offset:2736
	s_waitcnt lgkmcnt(4)
	v_fma_f64 v[54:55], -v[8:9], v[54:55], v[74:75]
	v_fma_f64 v[74:75], -v[2:3], v[64:65], v[62:63]
	ds_read_b128 v[62:65], v32 offset:2384
	;; [unrolled: 4-line block ×3, first 2 shown]
	v_fma_f64 v[38:39], -v[58:59], v[78:79], v[38:39]
	v_fma_f64 v[50:51], -v[10:11], v[56:57], v[54:55]
	ds_read_b128 v[54:57], v32 offset:3088
	s_waitcnt lgkmcnt(5)
	v_fma_f64 v[42:43], -v[4:5], v[42:43], v[74:75]
	v_fma_f64 v[46:47], -v[28:29], v[48:49], v[46:47]
	s_waitcnt lgkmcnt(4)
	v_fma_f64 v[30:31], -v[26:27], v[22:23], v[30:31]
	v_fma_f64 v[38:39], -v[60:61], v[80:81], v[38:39]
	s_waitcnt lgkmcnt(3)
	v_fma_f64 v[50:51], -v[12:13], v[66:67], v[50:51]
	s_waitcnt lgkmcnt(2)
	v_fma_f64 v[62:63], -v[58:59], v[62:63], v[46:47]
	ds_read_b128 v[46:49], v32 offset:3200
	s_waitcnt lgkmcnt(2)
	v_fma_f64 v[70:71], -v[0:1], v[70:71], v[20:21]
	ds_read_b128 v[20:23], v32 offset:3264
	v_fma_f64 v[30:31], -v[28:29], v[24:25], v[30:31]
	v_fma_f64 v[50:51], -v[14:15], v[68:69], v[50:51]
	;; [unrolled: 1-line block ×5, first 2 shown]
	ds_read_b128 v[42:45], v32 offset:3456
	s_waitcnt lgkmcnt(1)
	v_fma_f64 v[24:25], -v[0:1], v[20:21], v[18:19]
	ds_read_b128 v[18:21], v32 offset:2912
	s_waitcnt lgkmcnt(1)
	v_fma_f64 v[42:43], -v[0:1], v[42:43], v[16:17]
	v_fma_f64 v[54:55], -v[4:5], v[54:55], v[66:67]
	ds_read_b128 v[62:65], v32 offset:2752
	ds_read_b128 v[66:69], v32 offset:2928
	s_waitcnt lgkmcnt(2)
	v_fma_f64 v[76:77], -v[8:9], v[18:19], v[70:71]
	v_fma_f64 v[78:79], -v[2:3], v[22:23], v[24:25]
	ds_read_b128 v[22:25], v32 offset:3280
	s_waitcnt lgkmcnt(2)
	v_fma_f64 v[50:51], -v[26:27], v[62:63], v[50:51]
	ds_read_b128 v[70:73], v32 offset:3472
	v_fma_f64 v[82:83], -v[2:3], v[44:45], v[42:43]
	ds_read_b128 v[42:45], v32 offset:3296
	;; [unrolled: 2-line block ×3, first 2 shown]
	s_waitcnt lgkmcnt(3)
	v_fma_f64 v[62:63], -v[4:5], v[22:23], v[78:79]
	v_fma_f64 v[76:77], -v[10:11], v[20:21], v[76:77]
	ds_read_b128 v[20:23], v32 offset:2592
	v_fma_f64 v[50:51], -v[28:29], v[64:65], v[50:51]
	s_waitcnt lgkmcnt(1)
	v_fma_f64 v[30:31], -v[58:59], v[54:55], v[30:31]
	ds_read_b128 v[16:19], v32 offset:2768
	v_fma_f64 v[24:25], -v[6:7], v[24:25], v[62:63]
	ds_read_b128 v[62:65], v32 offset:3104
	;; [unrolled: 2-line block ×3, first 2 shown]
	s_waitcnt lgkmcnt(1)
	v_fma_f64 v[62:63], -v[8:9], v[62:63], v[80:81]
	v_fma_f64 v[24:25], -v[8:9], v[42:43], v[24:25]
	;; [unrolled: 1-line block ×4, first 2 shown]
	ds_read_b128 v[42:45], v32 offset:3312
	v_fma_f64 v[70:71], -v[4:5], v[70:71], v[82:83]
	v_add_u32_e32 v82, 0x800, v33
	ds_read2_b64 v[62:65], v82 offset0:44 offset1:94
	s_waitcnt lgkmcnt(2)
	v_fma_f64 v[54:55], -v[12:13], v[54:55], v[78:79]
	s_waitcnt lgkmcnt(1)
	v_fma_f64 v[24:25], -v[12:13], v[42:43], v[24:25]
	v_fma_f64 v[80:81], -v[6:7], v[72:73], v[70:71]
	s_waitcnt lgkmcnt(0)
	v_mul_f64 v[70:71], v[62:63], v[38:39]
	v_fma_f64 v[38:39], -v[12:13], v[66:67], v[76:77]
	v_fma_f64 v[78:79], -v[14:15], v[56:57], v[54:55]
	ds_read_b128 v[54:57], v32 offset:2960
	v_fma_f64 v[24:25], -v[14:15], v[44:45], v[24:25]
	ds_read_b128 v[42:45], v32 offset:3152
	v_fma_f64 v[33:34], -v[70:71], v[34:35], v[74:75]
	v_fma_f64 v[38:39], -v[14:15], v[68:69], v[38:39]
	ds_read_b128 v[66:69], v32 offset:3488
	v_fma_f64 v[20:21], -v[70:71], v[20:21], v[30:31]
	ds_read_b128 v[74:77], v32 offset:2944
	v_mul_f64 v[72:73], v[36:37], v[33:34]
	ds_read_b128 v[33:36], v32 offset:3504
	s_waitcnt lgkmcnt(2)
	v_fma_f64 v[62:63], -v[8:9], v[66:67], v[80:81]
	v_fma_f64 v[62:63], -v[10:11], v[68:69], v[62:63]
	ds_read_b128 v[66:69], v32 offset:3328
	s_waitcnt lgkmcnt(0)
	v_fma_f64 v[24:25], -v[26:27], v[66:67], v[24:25]
	v_fma_f64 v[30:31], -v[12:13], v[33:34], v[62:63]
	;; [unrolled: 1-line block ×3, first 2 shown]
	ds_read_b128 v[20:23], v32 offset:2800
	v_fma_f64 v[16:17], -v[58:59], v[16:17], v[50:51]
	v_fma_f64 v[24:25], -v[28:29], v[68:69], v[24:25]
	;; [unrolled: 1-line block ×4, first 2 shown]
	ds_read_b128 v[16:19], v32 offset:2784
	v_fma_f64 v[37:38], -v[26:27], v[74:75], v[38:39]
	v_fma_f64 v[37:38], -v[28:29], v[76:77], v[37:38]
	ds_read_b128 v[74:77], v32 offset:3136
	s_waitcnt lgkmcnt(0)
	v_fma_f64 v[50:51], -v[26:27], v[74:75], v[78:79]
	v_fma_f64 v[78:79], -v[70:71], v[16:17], v[33:34]
	;; [unrolled: 1-line block ×3, first 2 shown]
	ds_read_b128 v[33:36], v32 offset:3520
	v_mul_f64 v[16:17], v[64:65], v[62:63]
	v_fma_f64 v[50:51], -v[28:29], v[76:77], v[50:51]
	s_waitcnt lgkmcnt(0)
	v_fma_f64 v[30:31], -v[26:27], v[33:34], v[30:31]
	v_fma_f64 v[37:38], -v[60:61], v[56:57], v[37:38]
	ds_read_b128 v[54:57], v32 offset:2976
	ds_read_b128 v[66:69], v32 offset:3536
	v_fma_f64 v[18:19], -v[72:73], v[18:19], v[78:79]
	ds_read_b128 v[74:77], v32 offset:3344
	ds_read_b128 v[62:65], v32 offset:2992
	v_fma_f64 v[42:43], -v[58:59], v[42:43], v[50:51]
	v_fma_f64 v[30:31], -v[28:29], v[35:36], v[30:31]
	s_waitcnt lgkmcnt(3)
	v_fma_f64 v[37:38], -v[70:71], v[54:55], v[37:38]
	ds_read_b128 v[33:36], v32 offset:3168
	v_fma_f64 v[18:19], -v[16:17], v[20:21], v[18:19]
	v_fma_f64 v[50:51], -v[60:61], v[44:45], v[42:43]
	s_waitcnt lgkmcnt(3)
	v_fma_f64 v[30:31], -v[58:59], v[66:67], v[30:31]
	v_fma_f64 v[20:21], -v[72:73], v[56:57], v[37:38]
	ds_read_b128 v[54:57], v32 offset:3184
	s_waitcnt lgkmcnt(3)
	v_fma_f64 v[24:25], -v[58:59], v[74:75], v[24:25]
	v_mul_f64 v[18:19], v[22:23], v[18:19]
	ds_read_b128 v[42:45], v32 offset:3360
	s_waitcnt lgkmcnt(2)
	v_fma_f64 v[33:34], -v[70:71], v[33:34], v[50:51]
	v_fma_f64 v[30:31], -v[60:61], v[68:69], v[30:31]
	;; [unrolled: 1-line block ×3, first 2 shown]
	ds_read_b128 v[20:23], v32 offset:3552
	v_fma_f64 v[24:25], -v[60:61], v[76:77], v[24:25]
	v_fma_f64 v[33:34], -v[72:73], v[35:36], v[33:34]
	s_waitcnt lgkmcnt(0)
	v_fma_f64 v[30:31], -v[70:71], v[20:21], v[30:31]
	v_fma_f64 v[37:38], -v[18:19], v[64:65], v[37:38]
	ds_read_b128 v[62:65], v32 offset:3376
	v_fma_f64 v[24:25], -v[70:71], v[42:43], v[24:25]
	v_fma_f64 v[50:51], -v[16:17], v[54:55], v[33:34]
	ds_read2_b64 v[33:36], v82 offset0:144 offset1:194
	v_fma_f64 v[22:23], -v[72:73], v[22:23], v[30:31]
	v_fma_f64 v[24:25], -v[72:73], v[44:45], v[24:25]
	ds_read_b128 v[42:45], v32 offset:3568
	s_waitcnt lgkmcnt(1)
	v_mul_f64 v[20:21], v[33:34], v[37:38]
	v_fma_f64 v[33:34], -v[18:19], v[56:57], v[50:51]
	ds_read_b128 v[54:57], v32 offset:3392
	v_fma_f64 v[24:25], -v[16:17], v[62:63], v[24:25]
	v_fma_f64 v[30:31], -v[20:21], v[46:47], v[33:34]
	s_waitcnt lgkmcnt(1)
	v_fma_f64 v[33:34], -v[16:17], v[42:43], v[22:23]
	v_fma_f64 v[24:25], -v[18:19], v[64:65], v[24:25]
	v_mul_f64 v[22:23], v[48:49], v[30:31]
	v_fma_f64 v[37:38], -v[18:19], v[44:45], v[33:34]
	ds_read_b128 v[42:45], v32 offset:3584
	ds_read_b128 v[30:33], v32 offset:3600
	s_waitcnt lgkmcnt(2)
	v_fma_f64 v[24:25], -v[20:21], v[54:55], v[24:25]
	global_store_dwordx4 v[40:41], v[0:3], off
	global_store_dwordx4 v[40:41], v[4:7], off offset:16
	s_waitcnt lgkmcnt(1)
	v_fma_f64 v[37:38], -v[20:21], v[42:43], v[37:38]
	v_fma_f64 v[24:25], -v[22:23], v[56:57], v[24:25]
	v_mul_f64 v[34:35], v[35:36], v[24:25]
	v_fma_f64 v[24:25], -v[22:23], v[44:45], v[37:38]
	s_waitcnt lgkmcnt(0)
	v_fma_f64 v[24:25], -v[34:35], v[30:31], v[24:25]
	v_mul_f64 v[36:37], v[32:33], v[24:25]
	global_store_dwordx4 v[40:41], v[8:11], off offset:32
	global_store_dwordx4 v[40:41], v[12:15], off offset:48
	;; [unrolled: 1-line block ×8, first 2 shown]
.LBB93_19:
	s_cmp_ge_i32 s8, s22
	s_cbranch_scc1 .LBB93_24
; %bb.20:
	s_mul_i32 s2, s8, 0xc0
	s_mov_b32 s9, 0
	s_branch .LBB93_22
.LBB93_21:                              ;   in Loop: Header=BB93_22 Depth=1
	s_mul_i32 s3, s8, 0xc8
	v_mov_b32_e32 v4, s3
	ds_read_b64 v[4:5], v4
	s_add_i32 s8, s8, 1
	s_addk_i32 s2, 0xc0
	s_cmp_ge_i32 s8, s22
	s_waitcnt lgkmcnt(0)
	v_mul_f64 v[2:3], v[4:5], v[2:3]
	global_store_dwordx2 v[0:1], v[2:3], off
	s_cbranch_scc1 .LBB93_24
.LBB93_22:                              ; =>This Loop Header: Depth=1
                                        ;     Child Loop BB93_23 Depth 2
	s_lshl_b64 s[4:5], s[8:9], 3
	v_mov_b32_e32 v1, s5
	v_add_co_u32_e32 v0, vcc, s4, v52
	v_addc_co_u32_e32 v1, vcc, v53, v1, vcc
	global_load_dwordx2 v[2:3], v[0:1], off
	v_mov_b32_e32 v4, v52
	s_cmp_eq_u32 s8, 0
	v_mov_b32_e32 v5, v53
	s_mov_b32 s3, s8
	s_mov_b32 s4, s2
	s_waitcnt vmcnt(0)
	v_mul_f64 v[2:3], s[0:1], v[2:3]
	s_cbranch_scc1 .LBB93_21
.LBB93_23:                              ;   Parent Loop BB93_22 Depth=1
                                        ; =>  This Inner Loop Header: Depth=2
	global_load_dwordx2 v[6:7], v[4:5], off
	v_mov_b32_e32 v8, s4
	ds_read_b64 v[8:9], v8
	s_add_i32 s4, s4, 8
	s_add_i32 s3, s3, -1
	v_add_co_u32_e32 v4, vcc, 8, v4
	s_cmp_lg_u32 s3, 0
	v_addc_co_u32_e32 v5, vcc, 0, v5, vcc
	s_waitcnt vmcnt(0) lgkmcnt(0)
	v_fma_f64 v[2:3], -v[6:7], v[8:9], v[2:3]
	s_cbranch_scc1 .LBB93_23
	s_branch .LBB93_21
.LBB93_24:
	s_mov_b64 s[6:7], 0
.LBB93_25:
	s_and_b64 vcc, exec, s[6:7]
	s_cbranch_vccz .LBB93_47
; %bb.26:
	s_add_i32 s12, s22, -1
	s_cmp_gt_i32 s10, 23
	s_mov_b32 s2, s12
	s_cbranch_scc0 .LBB93_28
; %bb.27:
	global_load_dwordx4 v[0:3], v[52:53], off offset:176
	global_load_dwordx4 v[12:15], v[52:53], off offset:160
	global_load_dwordx4 v[24:27], v[52:53], off offset:144
	global_load_dwordx4 v[8:11], v[52:53], off offset:128
	v_mov_b32_e32 v40, 0
	ds_read_b128 v[4:7], v40 offset:4592
	ds_read_b128 v[16:19], v40 offset:4576
	s_movk_i32 s2, 0xc00
	s_waitcnt vmcnt(3)
	v_mul_f64 v[2:3], s[0:1], v[2:3]
	s_waitcnt lgkmcnt(1)
	v_mul_f64 v[2:3], v[6:7], v[2:3]
	v_mul_f64 v[4:5], v[2:3], v[4:5]
	s_waitcnt lgkmcnt(0)
	v_mul_f64 v[18:19], v[2:3], v[18:19]
	v_mul_f64 v[28:29], v[2:3], v[16:17]
	v_fma_f64 v[0:1], s[0:1], v[0:1], -v[4:5]
	v_add_u32_e64 v4, s2, 0
	ds_read2_b64 v[4:7], v4 offset0:116 offset1:166
	s_waitcnt vmcnt(2)
	v_fma_f64 v[18:19], s[0:1], v[14:15], -v[18:19]
	ds_read_b128 v[14:17], v40 offset:4560
	ds_read_b128 v[20:23], v40 offset:4384
	v_fma_f64 v[12:13], s[0:1], v[12:13], -v[28:29]
	s_movk_i32 s2, 0x800
	v_add_u32_e64 v51, s2, 0
	s_waitcnt lgkmcnt(2)
	v_mul_f64 v[0:1], v[6:7], v[0:1]
	s_waitcnt lgkmcnt(1)
	v_mul_f64 v[6:7], v[2:3], v[16:17]
	v_mul_f64 v[14:15], v[2:3], v[14:15]
	s_mov_b32 s2, -1
	s_waitcnt lgkmcnt(0)
	v_fma_f64 v[22:23], -v[0:1], v[22:23], v[18:19]
	ds_read_b128 v[32:35], v40 offset:4192
	ds_read_b128 v[16:19], v40 offset:4544
	s_waitcnt vmcnt(1)
	v_fma_f64 v[26:27], s[0:1], v[26:27], -v[6:7]
	v_fma_f64 v[12:13], -v[0:1], v[20:21], v[12:13]
	v_fma_f64 v[28:29], s[0:1], v[24:25], -v[14:15]
	s_waitcnt lgkmcnt(0)
	v_mul_f64 v[30:31], v[2:3], v[18:19]
	v_mul_f64 v[38:39], v[2:3], v[16:17]
	;; [unrolled: 1-line block ×3, first 2 shown]
	ds_read_b128 v[20:23], v40 offset:4368
	global_load_dwordx4 v[34:37], v[52:53], off offset:80
	s_waitcnt lgkmcnt(0)
	v_fma_f64 v[26:27], -v[0:1], v[22:23], v[26:27]
	global_load_dwordx4 v[22:25], v[52:53], off offset:112
	v_fma_f64 v[18:19], -v[6:7], v[32:33], v[12:13]
	ds_read_b128 v[12:15], v40 offset:4176
	s_waitcnt vmcnt(2)
	v_fma_f64 v[10:11], s[0:1], v[10:11], -v[30:31]
	v_fma_f64 v[20:21], -v[0:1], v[20:21], v[28:29]
	ds_read_b128 v[30:33], v40 offset:3984
	v_fma_f64 v[38:39], s[0:1], v[8:9], -v[38:39]
	s_waitcnt lgkmcnt(1)
	v_fma_f64 v[14:15], -v[6:7], v[14:15], v[26:27]
	ds_read_b128 v[26:29], v40 offset:4352
	v_mul_f64 v[4:5], v[4:5], v[18:19]
	global_load_dwordx4 v[16:19], v[52:53], off offset:96
	v_fma_f64 v[20:21], -v[6:7], v[12:13], v[20:21]
	s_waitcnt lgkmcnt(0)
	v_fma_f64 v[28:29], -v[0:1], v[28:29], v[10:11]
	v_fma_f64 v[38:39], -v[0:1], v[26:27], v[38:39]
	;; [unrolled: 1-line block ×3, first 2 shown]
	ds_read_b128 v[8:11], v40 offset:4160
	ds_read_b128 v[12:15], v40 offset:3792
	v_fma_f64 v[20:21], -v[4:5], v[30:31], v[20:21]
	s_waitcnt lgkmcnt(1)
	v_fma_f64 v[41:42], -v[6:7], v[10:11], v[28:29]
	ds_read_b128 v[26:29], v40 offset:3968
	v_fma_f64 v[8:9], -v[6:7], v[8:9], v[38:39]
	s_waitcnt lgkmcnt(1)
	v_mul_f64 v[10:11], v[14:15], v[32:33]
	s_waitcnt lgkmcnt(0)
	v_fma_f64 v[32:33], -v[4:5], v[28:29], v[41:42]
	v_fma_f64 v[26:27], -v[4:5], v[26:27], v[8:9]
	;; [unrolled: 1-line block ×3, first 2 shown]
	ds_read_b128 v[12:15], v40 offset:3776
	ds_read2_b64 v[28:31], v51 offset0:144 offset1:194
	s_waitcnt lgkmcnt(1)
	v_fma_f64 v[14:15], -v[10:11], v[14:15], v[32:33]
	s_waitcnt lgkmcnt(0)
	v_mul_f64 v[8:9], v[30:31], v[20:21]
	ds_read_b128 v[30:33], v40 offset:3584
	v_fma_f64 v[20:21], -v[10:11], v[12:13], v[26:27]
	s_waitcnt lgkmcnt(0)
	v_fma_f64 v[26:27], -v[8:9], v[32:33], v[14:15]
	ds_read_b128 v[12:15], v40 offset:3392
	v_fma_f64 v[20:21], -v[8:9], v[30:31], v[20:21]
	global_load_dwordx4 v[30:33], v[52:53], off offset:64
	ds_read_b128 v[41:44], v40 offset:4528
	ds_read_b128 v[45:48], v40 offset:4512
	;; [unrolled: 1-line block ×7, first 2 shown]
	s_waitcnt lgkmcnt(6)
	v_mul_f64 v[38:39], v[2:3], v[41:42]
	s_waitcnt lgkmcnt(5)
	v_mul_f64 v[41:42], v[2:3], v[47:48]
	;; [unrolled: 2-line block ×3, first 2 shown]
	v_mul_f64 v[14:15], v[14:15], v[26:27]
	s_waitcnt lgkmcnt(3)
	v_mul_f64 v[49:50], v[2:3], v[60:61]
	v_mul_f64 v[54:55], v[2:3], v[58:59]
	s_waitcnt lgkmcnt(2)
	v_mul_f64 v[58:59], v[2:3], v[62:63]
	s_waitcnt lgkmcnt(1)
	v_mul_f64 v[60:61], v[2:3], v[68:69]
	v_mul_f64 v[62:63], v[2:3], v[66:67]
	s_waitcnt lgkmcnt(0)
	v_mul_f64 v[66:67], v[2:3], v[70:71]
	v_fma_f64 v[12:13], -v[14:15], v[12:13], v[20:21]
	v_mul_f64 v[20:21], v[2:3], v[43:44]
	v_mul_f64 v[43:44], v[2:3], v[45:46]
	;; [unrolled: 1-line block ×6, first 2 shown]
	ds_read_b128 v[26:29], v40 offset:4416
	s_waitcnt vmcnt(3)
	v_fma_f64 v[47:48], s[0:1], v[34:35], -v[47:48]
	v_fma_f64 v[45:46], s[0:1], v[36:37], -v[45:46]
	global_load_dwordx4 v[34:37], v[52:53], off
	s_waitcnt lgkmcnt(0)
	v_mul_f64 v[68:69], v[2:3], v[28:29]
	v_mul_f64 v[70:71], v[2:3], v[26:27]
	global_load_dwordx4 v[26:29], v[52:53], off offset:48
	s_waitcnt vmcnt(4)
	v_fma_f64 v[72:73], s[0:1], v[24:25], -v[20:21]
	v_fma_f64 v[38:39], s[0:1], v[22:23], -v[38:39]
	global_load_dwordx4 v[20:23], v[52:53], off offset:32
	s_waitcnt vmcnt(4)
	v_fma_f64 v[74:75], s[0:1], v[18:19], -v[41:42]
	v_fma_f64 v[76:77], s[0:1], v[16:17], -v[43:44]
	global_load_dwordx4 v[16:19], v[52:53], off offset:16
	ds_read_b128 v[41:44], v40 offset:4336
	s_waitcnt vmcnt(4)
	v_fma_f64 v[49:50], s[0:1], v[32:33], -v[49:50]
	v_fma_f64 v[54:55], s[0:1], v[30:31], -v[54:55]
	s_waitcnt vmcnt(3)
	v_fma_f64 v[32:33], s[0:1], v[36:37], -v[68:69]
	v_fma_f64 v[34:35], s[0:1], v[34:35], -v[70:71]
	s_waitcnt vmcnt(2)
	v_fma_f64 v[58:59], s[0:1], v[26:27], -v[58:59]
	ds_read_b128 v[24:27], v40 offset:4320
	s_waitcnt lgkmcnt(1)
	v_fma_f64 v[70:71], -v[0:1], v[41:42], v[38:39]
	s_waitcnt vmcnt(1)
	v_fma_f64 v[60:61], s[0:1], v[22:23], -v[60:61]
	v_fma_f64 v[62:63], s[0:1], v[20:21], -v[62:63]
	ds_read_b128 v[20:23], v40 offset:4304
	ds_read_b128 v[36:39], v40 offset:4288
	v_fma_f64 v[68:69], -v[0:1], v[43:44], v[72:73]
	v_fma_f64 v[56:57], s[0:1], v[28:29], -v[56:57]
	s_waitcnt lgkmcnt(2)
	v_fma_f64 v[72:73], -v[0:1], v[26:27], v[74:75]
	v_fma_f64 v[74:75], -v[0:1], v[24:25], v[76:77]
	s_waitcnt vmcnt(0)
	v_fma_f64 v[64:65], s[0:1], v[18:19], -v[64:65]
	v_fma_f64 v[66:67], s[0:1], v[16:17], -v[66:67]
	ds_read_b128 v[16:19], v40 offset:4144
	s_waitcnt lgkmcnt(1)
	v_fma_f64 v[49:50], -v[0:1], v[38:39], v[49:50]
	v_fma_f64 v[54:55], -v[0:1], v[36:37], v[54:55]
	ds_read_b128 v[36:39], v40 offset:4240
	ds_read_b128 v[24:27], v40 offset:4272
	v_fma_f64 v[45:46], -v[0:1], v[22:23], v[45:46]
	v_fma_f64 v[47:48], -v[0:1], v[20:21], v[47:48]
	ds_read_b128 v[20:23], v40 offset:4256
	ds_read_b128 v[28:31], v40 offset:4128
	ds_read_b128 v[41:44], v40 offset:4112
	s_waitcnt lgkmcnt(4)
	v_fma_f64 v[38:39], -v[0:1], v[38:39], v[64:65]
	v_fma_f64 v[64:65], -v[6:7], v[18:19], v[68:69]
	s_waitcnt lgkmcnt(2)
	v_fma_f64 v[60:61], -v[0:1], v[22:23], v[60:61]
	v_fma_f64 v[62:63], -v[0:1], v[20:21], v[62:63]
	;; [unrolled: 1-line block ×4, first 2 shown]
	ds_read_b128 v[24:27], v40 offset:3952
	s_waitcnt lgkmcnt(1)
	v_fma_f64 v[45:46], -v[6:7], v[43:44], v[45:46]
	v_fma_f64 v[47:48], -v[6:7], v[41:42], v[47:48]
	ds_read_b128 v[41:44], v40 offset:4064
	v_fma_f64 v[36:37], -v[0:1], v[36:37], v[66:67]
	v_fma_f64 v[66:67], -v[6:7], v[16:17], v[70:71]
	ds_read_b128 v[16:19], v40 offset:4096
	s_waitcnt lgkmcnt(2)
	v_fma_f64 v[64:65], -v[4:5], v[26:27], v[64:65]
	ds_read_b128 v[20:23], v40 offset:3936
	s_waitcnt lgkmcnt(2)
	v_fma_f64 v[60:61], -v[6:7], v[43:44], v[60:61]
	v_fma_f64 v[62:63], -v[6:7], v[41:42], v[62:63]
	ds_read_b128 v[41:44], v40 offset:3920
	v_fma_f64 v[68:69], -v[6:7], v[30:31], v[72:73]
	v_fma_f64 v[70:71], -v[6:7], v[28:29], v[74:75]
	ds_read_b128 v[28:31], v40 offset:4080
	s_waitcnt lgkmcnt(3)
	v_fma_f64 v[49:50], -v[6:7], v[18:19], v[49:50]
	v_fma_f64 v[54:55], -v[6:7], v[16:17], v[54:55]
	ds_read_b128 v[16:19], v40 offset:3760
	s_waitcnt lgkmcnt(2)
	v_fma_f64 v[45:46], -v[4:5], v[43:44], v[45:46]
	v_fma_f64 v[47:48], -v[4:5], v[41:42], v[47:48]
	ds_read_b128 v[41:44], v40 offset:3872
	v_fma_f64 v[66:67], -v[4:5], v[24:25], v[66:67]
	s_waitcnt lgkmcnt(1)
	v_fma_f64 v[64:65], -v[10:11], v[18:19], v[64:65]
	v_fma_f64 v[56:57], -v[6:7], v[30:31], v[56:57]
	;; [unrolled: 1-line block ×3, first 2 shown]
	ds_read_b128 v[28:31], v40 offset:3568
	ds_read_b128 v[24:27], v40 offset:3904
	s_waitcnt lgkmcnt(2)
	v_fma_f64 v[60:61], -v[4:5], v[43:44], v[60:61]
	v_fma_f64 v[62:63], -v[4:5], v[41:42], v[62:63]
	ds_read_b128 v[41:44], v40 offset:3728
	v_fma_f64 v[68:69], -v[4:5], v[22:23], v[68:69]
	v_fma_f64 v[70:71], -v[4:5], v[20:21], v[70:71]
	ds_read_b128 v[20:23], v40 offset:3888
	s_waitcnt lgkmcnt(2)
	v_fma_f64 v[49:50], -v[4:5], v[26:27], v[49:50]
	v_fma_f64 v[54:55], -v[4:5], v[24:25], v[54:55]
	v_fma_f64 v[66:67], -v[10:11], v[16:17], v[66:67]
	ds_read_b128 v[16:19], v40 offset:3712
	s_waitcnt lgkmcnt(2)
	v_fma_f64 v[72:73], -v[10:11], v[43:44], v[45:46]
	v_fma_f64 v[74:75], -v[10:11], v[41:42], v[47:48]
	ds_read_b128 v[41:44], v40 offset:3696
	v_fma_f64 v[45:46], -v[8:9], v[30:31], v[64:65]
	ds_read_b128 v[24:27], v40 offset:3744
	s_waitcnt lgkmcnt(3)
	v_fma_f64 v[56:57], -v[4:5], v[22:23], v[56:57]
	v_fma_f64 v[58:59], -v[4:5], v[20:21], v[58:59]
	ds_read_b128 v[20:23], v40 offset:3376
	s_waitcnt lgkmcnt(3)
	v_fma_f64 v[49:50], -v[10:11], v[18:19], v[49:50]
	;; [unrolled: 4-line block ×5, first 2 shown]
	v_fma_f64 v[62:63], -v[10:11], v[16:17], v[62:63]
	ds_read_b128 v[16:19], v40 offset:3536
	v_fma_f64 v[20:21], -v[14:15], v[20:21], v[47:48]
	s_waitcnt lgkmcnt(1)
	v_fma_f64 v[26:27], -v[8:9], v[26:27], v[68:69]
	v_fma_f64 v[30:31], -v[12:13], v[30:31], v[45:46]
	;; [unrolled: 1-line block ×4, first 2 shown]
	ds_read_b128 v[41:44], v40 offset:3360
	ds_read_b128 v[45:48], v40 offset:2992
	v_fma_f64 v[66:67], -v[8:9], v[24:25], v[70:71]
	ds_read_b128 v[22:25], v40 offset:3520
	ds_read_b128 v[54:57], v40 offset:3504
	s_waitcnt lgkmcnt(4)
	v_fma_f64 v[68:69], -v[8:9], v[18:19], v[72:73]
	v_fma_f64 v[70:71], -v[8:9], v[16:17], v[74:75]
	;; [unrolled: 1-line block ×3, first 2 shown]
	s_waitcnt lgkmcnt(2)
	v_mul_f64 v[18:19], v[47:48], v[30:31]
	v_fma_f64 v[47:48], -v[14:15], v[43:44], v[26:27]
	s_waitcnt lgkmcnt(1)
	v_fma_f64 v[64:65], -v[8:9], v[22:23], v[64:65]
	ds_read_b128 v[20:23], v40 offset:3168
	ds_read_b128 v[28:31], v40 offset:2976
	v_fma_f64 v[49:50], -v[8:9], v[24:25], v[49:50]
	s_waitcnt lgkmcnt(2)
	v_fma_f64 v[58:59], -v[8:9], v[54:55], v[58:59]
	ds_read_b128 v[24:27], v40 offset:3488
	v_fma_f64 v[54:55], -v[14:15], v[41:42], v[66:67]
	v_fma_f64 v[16:17], -v[18:19], v[45:46], v[16:17]
	s_waitcnt lgkmcnt(2)
	v_fma_f64 v[66:67], -v[12:13], v[22:23], v[47:48]
	ds_read_b128 v[41:44], v40 offset:3344
	s_waitcnt lgkmcnt(1)
	v_fma_f64 v[62:63], -v[8:9], v[24:25], v[62:63]
	ds_read_b128 v[22:25], v40 offset:2784
	ds_read2_b64 v[45:48], v51 offset0:44 offset1:94
	v_fma_f64 v[72:73], -v[8:9], v[56:57], v[76:77]
	v_fma_f64 v[60:61], -v[8:9], v[26:27], v[60:61]
	;; [unrolled: 1-line block ×3, first 2 shown]
	ds_read_b128 v[54:57], v40 offset:3328
	s_waitcnt lgkmcnt(3)
	v_fma_f64 v[68:69], -v[14:15], v[43:44], v[68:69]
	v_fma_f64 v[30:31], -v[18:19], v[30:31], v[66:67]
	s_waitcnt lgkmcnt(1)
	v_mul_f64 v[16:17], v[47:48], v[16:17]
	v_fma_f64 v[66:67], -v[14:15], v[41:42], v[70:71]
	ds_read_b128 v[41:44], v40 offset:3312
	s_waitcnt lgkmcnt(1)
	v_fma_f64 v[56:57], -v[14:15], v[56:57], v[49:50]
	ds_read_b128 v[47:50], v40 offset:3152
	v_fma_f64 v[54:55], -v[14:15], v[54:55], v[64:65]
	v_fma_f64 v[20:21], -v[18:19], v[28:29], v[20:21]
	s_waitcnt lgkmcnt(1)
	v_fma_f64 v[64:65], -v[14:15], v[43:44], v[72:73]
	v_fma_f64 v[24:25], -v[16:17], v[24:25], v[30:31]
	;; [unrolled: 1-line block ×3, first 2 shown]
	ds_read_b128 v[41:44], v40 offset:3296
	s_waitcnt lgkmcnt(1)
	v_fma_f64 v[68:69], -v[12:13], v[49:50], v[68:69]
	v_fma_f64 v[66:67], -v[12:13], v[47:48], v[66:67]
	ds_read_b128 v[26:29], v40 offset:2592
	ds_read_b128 v[47:50], v40 offset:2960
	v_fma_f64 v[20:21], -v[16:17], v[22:23], v[20:21]
	s_waitcnt lgkmcnt(2)
	v_fma_f64 v[60:61], -v[14:15], v[43:44], v[60:61]
	v_fma_f64 v[62:63], -v[14:15], v[41:42], v[62:63]
	ds_read_b128 v[41:44], v40 offset:3136
	s_waitcnt lgkmcnt(1)
	v_fma_f64 v[68:69], -v[18:19], v[49:50], v[68:69]
	v_fma_f64 v[66:67], -v[18:19], v[47:48], v[66:67]
	ds_read_b128 v[47:50], v40 offset:2944
	v_mul_f64 v[22:23], v[28:29], v[24:25]
	ds_read_b128 v[28:31], v40 offset:2768
	s_waitcnt lgkmcnt(2)
	v_fma_f64 v[70:71], -v[12:13], v[43:44], v[56:57]
	v_fma_f64 v[72:73], -v[12:13], v[41:42], v[54:55]
	ds_read_b128 v[41:44], v40 offset:3120
	ds_read_b128 v[54:57], v40 offset:2384
	s_waitcnt lgkmcnt(2)
	v_fma_f64 v[68:69], -v[16:17], v[30:31], v[68:69]
	v_fma_f64 v[66:67], -v[16:17], v[28:29], v[66:67]
	;; [unrolled: 1-line block ×3, first 2 shown]
	ds_read_b128 v[24:27], v40 offset:2576
	v_fma_f64 v[49:50], -v[18:19], v[49:50], v[70:71]
	v_fma_f64 v[70:71], -v[18:19], v[47:48], v[72:73]
	ds_read_b128 v[28:31], v40 offset:2752
	s_waitcnt lgkmcnt(3)
	v_fma_f64 v[64:65], -v[12:13], v[43:44], v[64:65]
	v_fma_f64 v[58:59], -v[12:13], v[41:42], v[58:59]
	ds_read_b128 v[41:44], v40 offset:3104
	v_mul_f64 v[20:21], v[45:46], v[20:21]
	ds_read_b128 v[45:48], v40 offset:2736
	s_waitcnt lgkmcnt(3)
	v_fma_f64 v[68:69], -v[22:23], v[26:27], v[68:69]
	v_fma_f64 v[66:67], -v[22:23], v[24:25], v[66:67]
	ds_read_b128 v[24:27], v40 offset:2192
	s_waitcnt lgkmcnt(3)
	v_fma_f64 v[49:50], -v[16:17], v[30:31], v[49:50]
	s_waitcnt lgkmcnt(2)
	v_fma_f64 v[62:63], -v[12:13], v[41:42], v[62:63]
	v_fma_f64 v[56:57], -v[20:21], v[56:57], v[68:69]
	;; [unrolled: 1-line block ×4, first 2 shown]
	ds_read_b128 v[28:31], v40 offset:2928
	v_fma_f64 v[66:67], -v[20:21], v[54:55], v[66:67]
	ds_read_b128 v[41:44], v40 offset:2560
	s_waitcnt lgkmcnt(2)
	v_mul_f64 v[26:27], v[26:27], v[56:57]
	s_waitcnt lgkmcnt(1)
	v_fma_f64 v[64:65], -v[18:19], v[30:31], v[64:65]
	v_fma_f64 v[70:71], -v[18:19], v[28:29], v[58:59]
	ds_read_b128 v[28:31], v40 offset:2912
	ds_read_b128 v[54:57], v40 offset:2368
	v_fma_f64 v[24:25], -v[26:27], v[24:25], v[66:67]
	s_waitcnt lgkmcnt(1)
	v_fma_f64 v[66:67], -v[18:19], v[30:31], v[68:69]
	v_fma_f64 v[62:63], -v[18:19], v[28:29], v[62:63]
	;; [unrolled: 1-line block ×4, first 2 shown]
	ds_read_b128 v[45:48], v40 offset:2544
	v_fma_f64 v[49:50], -v[22:23], v[43:44], v[49:50]
	v_fma_f64 v[72:73], -v[22:23], v[41:42], v[60:61]
	ds_read2_b64 v[58:61], v40 offset0:200 offset1:250
	ds_read_b128 v[28:31], v40 offset:2720
	ds_read_b128 v[41:44], v40 offset:2176
	s_waitcnt lgkmcnt(3)
	v_fma_f64 v[64:65], -v[22:23], v[47:48], v[64:65]
	s_waitcnt lgkmcnt(2)
	v_mul_f64 v[24:25], v[60:61], v[24:25]
	s_waitcnt lgkmcnt(1)
	v_fma_f64 v[60:61], -v[16:17], v[30:31], v[66:67]
	v_fma_f64 v[62:63], -v[16:17], v[28:29], v[62:63]
	ds_read_b128 v[28:31], v40 offset:2528
	v_fma_f64 v[49:50], -v[20:21], v[56:57], v[49:50]
	v_fma_f64 v[70:71], -v[20:21], v[54:55], v[72:73]
	ds_read_b128 v[54:57], v40 offset:1984
	s_waitcnt lgkmcnt(1)
	v_fma_f64 v[28:29], -v[22:23], v[28:29], v[62:63]
	v_fma_f64 v[49:50], -v[26:27], v[43:44], v[49:50]
	;; [unrolled: 1-line block ×3, first 2 shown]
	ds_read_b128 v[41:44], v40 offset:2352
	s_waitcnt lgkmcnt(1)
	v_fma_f64 v[49:50], -v[24:25], v[56:57], v[49:50]
	v_fma_f64 v[56:57], -v[22:23], v[45:46], v[68:69]
	;; [unrolled: 1-line block ×3, first 2 shown]
	ds_read_b128 v[45:48], v40 offset:1792
	ds_read_b128 v[60:63], v40 offset:2336
	s_waitcnt lgkmcnt(2)
	v_fma_f64 v[64:65], -v[20:21], v[43:44], v[64:65]
	v_fma_f64 v[66:67], -v[24:25], v[54:55], v[66:67]
	;; [unrolled: 1-line block ×3, first 2 shown]
	s_waitcnt lgkmcnt(0)
	v_fma_f64 v[68:69], -v[20:21], v[62:63], v[68:69]
	v_fma_f64 v[28:29], -v[20:21], v[60:61], v[28:29]
	ds_read_b128 v[60:63], v40 offset:1968
	v_mul_f64 v[30:31], v[47:48], v[49:50]
	ds_read_b128 v[47:50], v40 offset:2160
	ds_read_b128 v[54:57], v40 offset:2144
	;; [unrolled: 1-line block ×3, first 2 shown]
	s_waitcnt lgkmcnt(2)
	v_fma_f64 v[49:50], -v[26:27], v[49:50], v[64:65]
	s_waitcnt lgkmcnt(1)
	v_fma_f64 v[68:69], -v[26:27], v[56:57], v[68:69]
	v_fma_f64 v[64:65], -v[30:31], v[45:46], v[66:67]
	;; [unrolled: 1-line block ×3, first 2 shown]
	ds_read_b128 v[45:48], v40 offset:4048
	v_fma_f64 v[70:71], -v[26:27], v[54:55], v[28:29]
	ds_read_b128 v[54:57], v40 offset:3456
	v_fma_f64 v[49:50], -v[24:25], v[62:63], v[49:50]
	s_waitcnt lgkmcnt(1)
	v_fma_f64 v[47:48], -v[6:7], v[47:48], v[38:39]
	v_mul_f64 v[28:29], v[58:59], v[64:65]
	ds_read_b128 v[62:65], v40 offset:1952
	v_fma_f64 v[45:46], -v[6:7], v[45:46], v[36:37]
	ds_read_b128 v[36:39], v40 offset:3856
	v_fma_f64 v[58:59], -v[24:25], v[60:61], v[66:67]
	v_fma_f64 v[66:67], -v[0:1], v[41:42], v[34:35]
	s_waitcnt lgkmcnt(1)
	v_fma_f64 v[60:61], -v[24:25], v[64:65], v[68:69]
	v_fma_f64 v[64:65], -v[0:1], v[43:44], v[32:33]
	ds_read_b128 v[32:35], v40 offset:4032
	s_waitcnt lgkmcnt(1)
	v_fma_f64 v[47:48], -v[4:5], v[38:39], v[47:48]
	v_fma_f64 v[68:69], -v[4:5], v[36:37], v[45:46]
	ds_read_b128 v[36:39], v40 offset:3664
	ds_read_b128 v[41:44], v40 offset:1776
	v_fma_f64 v[62:63], -v[24:25], v[62:63], v[70:71]
	s_waitcnt lgkmcnt(2)
	v_fma_f64 v[66:67], -v[6:7], v[32:33], v[66:67]
	v_fma_f64 v[64:65], -v[6:7], v[34:35], v[64:65]
	ds_read_b128 v[32:35], v40 offset:3840
	s_waitcnt lgkmcnt(2)
	v_fma_f64 v[70:71], -v[10:11], v[38:39], v[47:48]
	ds_read_b128 v[45:48], v40 offset:3472
	v_fma_f64 v[68:69], -v[10:11], v[36:37], v[68:69]
	ds_read_b128 v[36:39], v40 offset:2704
	s_waitcnt lgkmcnt(2)
	v_fma_f64 v[66:67], -v[4:5], v[32:33], v[66:67]
	v_fma_f64 v[49:50], -v[30:31], v[43:44], v[49:50]
	;; [unrolled: 1-line block ×3, first 2 shown]
	ds_read_b128 v[32:35], v40 offset:3648
	s_waitcnt lgkmcnt(2)
	v_fma_f64 v[70:71], -v[8:9], v[47:48], v[70:71]
	v_fma_f64 v[58:59], -v[30:31], v[41:42], v[58:59]
	v_fma_f64 v[68:69], -v[8:9], v[45:46], v[68:69]
	ds_read_b128 v[41:44], v40 offset:3280
	ds_read_b128 v[45:48], v40 offset:1760
	s_waitcnt lgkmcnt(2)
	v_fma_f64 v[66:67], -v[10:11], v[32:33], v[66:67]
	v_fma_f64 v[64:65], -v[10:11], v[34:35], v[64:65]
	ds_read_b128 v[32:35], v40 offset:1584
	s_waitcnt lgkmcnt(2)
	v_fma_f64 v[70:71], -v[14:15], v[43:44], v[70:71]
	s_waitcnt lgkmcnt(1)
	v_fma_f64 v[62:63], -v[30:31], v[45:46], v[62:63]
	ds_read_b128 v[43:46], v40 offset:3088
	v_fma_f64 v[41:42], -v[14:15], v[41:42], v[68:69]
	s_waitcnt lgkmcnt(1)
	v_fma_f64 v[72:73], -v[28:29], v[34:35], v[49:50]
	v_fma_f64 v[66:67], -v[8:9], v[54:55], v[66:67]
	v_fma_f64 v[49:50], -v[8:9], v[56:57], v[64:65]
	v_fma_f64 v[60:61], -v[30:31], v[47:48], v[60:61]
	s_waitcnt lgkmcnt(0)
	v_fma_f64 v[64:65], -v[12:13], v[45:46], v[70:71]
	v_fma_f64 v[58:59], -v[28:29], v[32:33], v[58:59]
	ds_read_b128 v[32:35], v40 offset:3264
	ds_read_b128 v[45:48], v40 offset:2896
	;; [unrolled: 1-line block ×3, first 2 shown]
	v_fma_f64 v[68:69], -v[12:13], v[43:44], v[41:42]
	ds_read_b128 v[41:44], v40 offset:1392
	s_waitcnt lgkmcnt(3)
	v_fma_f64 v[32:33], -v[14:15], v[32:33], v[66:67]
	v_fma_f64 v[70:71], -v[14:15], v[34:35], v[49:50]
	s_waitcnt lgkmcnt(1)
	v_fma_f64 v[60:61], -v[28:29], v[56:57], v[60:61]
	v_fma_f64 v[64:65], -v[18:19], v[47:48], v[64:65]
	ds_read_b128 v[47:50], v40 offset:3072
	s_waitcnt lgkmcnt(1)
	v_mul_f64 v[34:35], v[43:44], v[72:73]
	v_fma_f64 v[66:67], -v[18:19], v[45:46], v[68:69]
	v_fma_f64 v[62:63], -v[28:29], v[54:55], v[62:63]
	s_waitcnt lgkmcnt(0)
	v_fma_f64 v[68:69], -v[12:13], v[49:50], v[70:71]
	v_fma_f64 v[32:33], -v[12:13], v[47:48], v[32:33]
	;; [unrolled: 1-line block ×3, first 2 shown]
	ds_read_b128 v[43:46], v40 offset:2880
	ds_read_b128 v[47:50], v40 offset:2512
	;; [unrolled: 1-line block ×3, first 2 shown]
	v_fma_f64 v[66:67], -v[16:17], v[36:37], v[66:67]
	ds_read_b128 v[36:39], v40 offset:1376
	s_waitcnt lgkmcnt(3)
	v_fma_f64 v[68:69], -v[18:19], v[45:46], v[68:69]
	v_fma_f64 v[32:33], -v[18:19], v[43:44], v[32:33]
	s_waitcnt lgkmcnt(2)
	v_fma_f64 v[49:50], -v[22:23], v[49:50], v[64:65]
	v_fma_f64 v[64:65], -v[34:35], v[41:42], v[58:59]
	ds_read_b128 v[41:44], v40 offset:2320
	s_waitcnt lgkmcnt(1)
	v_fma_f64 v[70:71], -v[34:35], v[38:39], v[60:61]
	v_fma_f64 v[38:39], -v[22:23], v[47:48], v[66:67]
	ds_read2_b64 v[45:48], v40 offset0:100 offset1:150
	v_fma_f64 v[66:67], -v[16:17], v[56:57], v[68:69]
	v_fma_f64 v[68:69], -v[16:17], v[54:55], v[32:33]
	s_waitcnt lgkmcnt(1)
	v_fma_f64 v[49:50], -v[20:21], v[43:44], v[49:50]
	ds_read_b128 v[54:57], v40 offset:2496
	ds_read_b128 v[58:61], v40 offset:2128
	s_waitcnt lgkmcnt(2)
	v_mul_f64 v[32:33], v[47:48], v[64:65]
	v_fma_f64 v[62:63], -v[34:35], v[36:37], v[62:63]
	v_fma_f64 v[64:65], -v[20:21], v[41:42], v[38:39]
	ds_read_b128 v[41:44], v40 offset:1184
	s_waitcnt lgkmcnt(2)
	v_fma_f64 v[56:57], -v[22:23], v[56:57], v[66:67]
	v_fma_f64 v[54:55], -v[22:23], v[54:55], v[68:69]
	s_waitcnt lgkmcnt(1)
	v_fma_f64 v[60:61], -v[26:27], v[60:61], v[49:50]
	ds_read_b128 v[47:50], v40 offset:1936
	ds_read_b128 v[36:39], v40 offset:2304
	s_waitcnt lgkmcnt(2)
	v_fma_f64 v[66:67], -v[32:33], v[43:44], v[70:71]
	v_fma_f64 v[58:59], -v[26:27], v[58:59], v[64:65]
	;; [unrolled: 1-line block ×3, first 2 shown]
	s_waitcnt lgkmcnt(0)
	v_fma_f64 v[64:65], -v[20:21], v[36:37], v[54:55]
	v_fma_f64 v[49:50], -v[24:25], v[49:50], v[60:61]
	;; [unrolled: 1-line block ×3, first 2 shown]
	ds_read_b128 v[36:39], v40 offset:1744
	ds_read_b128 v[54:57], v40 offset:2112
	;; [unrolled: 1-line block ×3, first 2 shown]
	v_fma_f64 v[58:59], -v[24:25], v[47:48], v[58:59]
	s_waitcnt lgkmcnt(1)
	v_fma_f64 v[64:65], -v[26:27], v[54:55], v[64:65]
	v_fma_f64 v[68:69], -v[30:31], v[38:39], v[49:50]
	;; [unrolled: 1-line block ×3, first 2 shown]
	ds_read_b128 v[47:50], v40 offset:1552
	ds_read_b128 v[54:57], v40 offset:1920
	s_waitcnt lgkmcnt(2)
	v_mul_f64 v[38:39], v[43:44], v[66:67]
	v_fma_f64 v[36:37], -v[30:31], v[36:37], v[58:59]
	s_waitcnt lgkmcnt(0)
	v_fma_f64 v[64:65], -v[24:25], v[54:55], v[64:65]
	v_fma_f64 v[43:44], -v[28:29], v[49:50], v[68:69]
	;; [unrolled: 1-line block ×3, first 2 shown]
	ds_read_b128 v[54:57], v40 offset:1360
	ds_read_b128 v[58:61], v40 offset:1728
	v_fma_f64 v[62:63], -v[38:39], v[41:42], v[62:63]
	v_fma_f64 v[36:37], -v[28:29], v[47:48], v[36:37]
	s_waitcnt lgkmcnt(0)
	v_fma_f64 v[64:65], -v[30:31], v[58:59], v[64:65]
	v_fma_f64 v[56:57], -v[34:35], v[56:57], v[43:44]
	;; [unrolled: 1-line block ×3, first 2 shown]
	ds_read_b128 v[47:50], v40 offset:1168
	ds_read_b128 v[41:44], v40 offset:1536
	v_fma_f64 v[66:67], -v[34:35], v[54:55], v[36:37]
	v_mul_f64 v[36:37], v[45:46], v[62:63]
	s_waitcnt lgkmcnt(1)
	v_fma_f64 v[49:50], -v[32:33], v[49:50], v[56:57]
	s_waitcnt lgkmcnt(0)
	v_fma_f64 v[43:44], -v[28:29], v[43:44], v[60:61]
	ds_read_b128 v[54:57], v40 offset:976
	ds_read_b128 v[58:61], v40 offset:1344
	v_fma_f64 v[62:63], -v[28:29], v[41:42], v[64:65]
	v_fma_f64 v[64:65], -v[32:33], v[47:48], v[66:67]
	s_waitcnt lgkmcnt(1)
	v_fma_f64 v[49:50], -v[38:39], v[56:57], v[49:50]
	s_waitcnt lgkmcnt(0)
	v_fma_f64 v[56:57], -v[34:35], v[60:61], v[43:44]
	ds_read_b128 v[41:44], v40 offset:784
	ds_read_b128 v[45:48], v40 offset:1152
	v_fma_f64 v[58:59], -v[34:35], v[58:59], v[62:63]
	v_fma_f64 v[60:61], -v[38:39], v[54:55], v[64:65]
	;; [unrolled: 8-line block ×3, first 2 shown]
	s_waitcnt lgkmcnt(1)
	v_mul_f64 v[43:44], v[49:50], v[43:44]
	s_waitcnt lgkmcnt(0)
	v_fma_f64 v[49:50], -v[38:39], v[56:57], v[62:63]
	ds_read_b128 v[56:59], v40 offset:768
	v_fma_f64 v[54:55], -v[38:39], v[54:55], v[45:46]
	v_fma_f64 v[41:42], -v[43:44], v[47:48], v[41:42]
	s_waitcnt lgkmcnt(0)
	v_fma_f64 v[49:50], -v[36:37], v[58:59], v[49:50]
	ds_read2_b64 v[45:48], v40 offset1:50
	ds_read_b128 v[58:61], v40 offset:576
	v_fma_f64 v[54:55], -v[36:37], v[56:57], v[54:55]
	s_waitcnt lgkmcnt(1)
	v_mul_f64 v[41:42], v[47:48], v[41:42]
	s_waitcnt lgkmcnt(0)
	v_fma_f64 v[56:57], -v[43:44], v[60:61], v[49:50]
	ds_read_b128 v[47:50], v40 offset:384
	v_fma_f64 v[58:59], -v[43:44], v[58:59], v[54:55]
	s_waitcnt lgkmcnt(0)
	v_fma_f64 v[49:50], -v[41:42], v[49:50], v[56:57]
	ds_read_b128 v[54:57], v40 offset:192
	v_fma_f64 v[58:59], -v[41:42], v[47:48], v[58:59]
	global_store_dwordx4 v[52:53], v[0:3], off offset:176
	global_store_dwordx4 v[52:53], v[4:7], off offset:160
	;; [unrolled: 1-line block ×4, first 2 shown]
	s_waitcnt lgkmcnt(0)
	v_mul_f64 v[47:48], v[56:57], v[49:50]
	v_fma_f64 v[49:50], -v[47:48], v[54:55], v[58:59]
	v_mul_f64 v[45:46], v[45:46], v[49:50]
	global_store_dwordx4 v[52:53], v[16:19], off offset:112
	global_store_dwordx4 v[52:53], v[20:23], off offset:96
	global_store_dwordx4 v[52:53], v[24:27], off offset:80
	global_store_dwordx4 v[52:53], v[28:31], off offset:64
	global_store_dwordx4 v[52:53], v[32:35], off offset:48
	global_store_dwordx4 v[52:53], v[36:39], off offset:32
	global_store_dwordx4 v[52:53], v[41:44], off offset:16
	global_store_dwordx4 v[52:53], v[45:48], off
.LBB93_28:
	s_cmp_gt_i32 s2, -1
	s_cbranch_scc0 .LBB93_47
; %bb.29:
	s_cmp_lt_u32 s2, 19
	s_cbranch_scc1 .LBB93_34
; %bb.30:
	s_mov_b32 s5, 0
	s_mov_b32 s3, s5
	s_lshl_b64 s[6:7], s[2:3], 3
	v_mov_b32_e32 v0, s7
	v_add_co_u32_e32 v12, vcc, s6, v52
	v_addc_co_u32_e32 v13, vcc, v53, v0, vcc
	global_load_dwordx4 v[0:3], v[12:13], off offset:-8
	global_load_dwordx4 v[14:17], v[12:13], off offset:-24
	;; [unrolled: 1-line block ×10, first 2 shown]
	s_cmp_le_i32 s12, s2
	s_waitcnt vmcnt(9)
	v_mul_f64 v[6:7], s[0:1], v[2:3]
	v_mul_f64 v[40:41], s[0:1], v[0:1]
	s_waitcnt vmcnt(8)
	v_mul_f64 v[8:9], s[0:1], v[16:17]
	v_mul_f64 v[10:11], s[0:1], v[14:15]
	;; [unrolled: 3-line block ×10, first 2 shown]
	s_cbranch_scc1 .LBB93_33
; %bb.31:
	s_mul_i32 s3, s22, 0xc0
	s_lshl_b32 s4, s2, 3
	s_add_i32 s3, s3, s4
	s_addk_i32 s3, 0xfea8
	s_mov_b32 s4, s12
.LBB93_32:                              ; =>This Inner Loop Header: Depth=1
	s_lshl_b64 s[6:7], s[4:5], 3
	v_mov_b32_e32 v43, s7
	v_add_co_u32_e32 v42, vcc, s6, v52
	v_addc_co_u32_e32 v43, vcc, v53, v43, vcc
	global_load_dwordx2 v[50:51], v[42:43], off
	v_mov_b32_e32 v78, s3
	ds_read2_b64 v[42:45], v78 offset0:18 offset1:19
	ds_read2_b64 v[46:49], v78 offset0:16 offset1:17
	;; [unrolled: 1-line block ×8, first 2 shown]
	s_add_i32 s4, s4, -1
	s_addk_i32 s3, 0xff40
	s_cmp_gt_i32 s4, s2
	s_waitcnt vmcnt(0) lgkmcnt(7)
	v_fma_f64 v[6:7], -v[50:51], v[44:45], v[6:7]
	v_fma_f64 v[40:41], -v[50:51], v[42:43], v[40:41]
	ds_read2_b64 v[42:45], v78 offset0:2 offset1:3
	ds_read2_b64 v[78:81], v78 offset1:1
	s_waitcnt lgkmcnt(8)
	v_fma_f64 v[8:9], -v[50:51], v[48:49], v[8:9]
	v_fma_f64 v[10:11], -v[50:51], v[46:47], v[10:11]
	s_waitcnt lgkmcnt(7)
	v_fma_f64 v[38:39], -v[50:51], v[56:57], v[38:39]
	v_fma_f64 v[36:37], -v[50:51], v[54:55], v[36:37]
	;; [unrolled: 3-line block ×9, first 2 shown]
	s_cbranch_scc1 .LBB93_32
.LBB93_33:
	s_add_i32 s4, s2, -1
	s_lshl_b32 s5, s4, 3
	s_mul_i32 s3, s2, 0xc0
	s_add_i32 s6, s5, s3
	v_mov_b32_e32 v42, s6
	ds_read2_b64 v[42:45], v42 offset1:1
	s_add_i32 s15, s3, 0xffffff40
	s_add_i32 s5, s5, s15
	v_mov_b32_e32 v46, s5
	ds_read_b64 v[48:49], v46
	s_waitcnt lgkmcnt(1)
	v_mul_f64 v[6:7], v[44:45], v[6:7]
	s_add_i32 s6, s2, -3
	s_lshl_b32 s7, s6, 3
	s_add_i32 s8, s7, s3
	s_mov_b32 s5, 0
	s_add_i32 s14, s3, 0xfffffe80
	s_add_i32 s10, s2, -5
	s_add_i32 s13, s3, 0xfffffdc0
	v_fma_f64 v[50:51], -v[6:7], v[42:43], v[40:41]
	v_mov_b32_e32 v40, s8
	ds_read2_b64 v[40:43], v40 offset1:1
	s_lshl_b64 s[8:9], s[4:5], 3
	s_add_i32 s4, s7, s15
	v_mov_b32_e32 v44, s4
	ds_read2_b64 v[44:47], v44 offset1:1
	s_waitcnt lgkmcnt(1)
	v_fma_f64 v[42:43], -v[6:7], v[42:43], v[8:9]
	v_mul_f64 v[8:9], v[48:49], v[50:51]
	v_fma_f64 v[10:11], -v[6:7], v[40:41], v[10:11]
	v_mov_b32_e32 v56, s9
	s_add_i32 s9, s7, s14
	v_mov_b32_e32 v40, s9
	s_lshl_b32 s11, s10, 3
	s_add_i32 s7, s7, s13
	s_add_i32 s9, s11, s3
	s_waitcnt lgkmcnt(0)
	v_fma_f64 v[46:47], -v[8:9], v[46:47], v[42:43]
	ds_read2_b64 v[40:43], v40 offset1:1
	v_mov_b32_e32 v48, s7
	ds_read_b64 v[50:51], v48
	v_fma_f64 v[54:55], -v[8:9], v[44:45], v[10:11]
	s_add_i32 s4, s2, -2
	s_lshl_b64 s[16:17], s[4:5], 3
	s_add_i32 s4, s11, s15
	s_waitcnt lgkmcnt(1)
	v_mul_f64 v[10:11], v[42:43], v[46:47]
	v_mov_b32_e32 v42, s9
	ds_read2_b64 v[42:45], v42 offset1:1
	v_mov_b32_e32 v46, s4
	ds_read2_b64 v[46:49], v46 offset1:1
	s_add_i32 s4, s11, s14
	s_mov_b32 s7, s5
	s_waitcnt lgkmcnt(1)
	v_fma_f64 v[38:39], -v[6:7], v[44:45], v[38:39]
	v_fma_f64 v[40:41], -v[10:11], v[40:41], v[54:55]
	v_add_co_u32_e32 v44, vcc, s8, v52
	v_fma_f64 v[36:37], -v[6:7], v[42:43], v[36:37]
	v_addc_co_u32_e32 v45, vcc, v53, v56, vcc
	global_store_dwordx2 v[12:13], v[6:7], off
	global_store_dwordx2 v[44:45], v[8:9], off
	s_waitcnt lgkmcnt(0)
	v_fma_f64 v[48:49], -v[8:9], v[48:49], v[38:39]
	v_mov_b32_e32 v38, s4
	v_mul_f64 v[12:13], v[50:51], v[40:41]
	ds_read2_b64 v[38:41], v38 offset1:1
	s_add_i32 s4, s11, s13
	v_mov_b32_e32 v42, s4
	ds_read2_b64 v[42:45], v42 offset1:1
	v_fma_f64 v[36:37], -v[8:9], v[46:47], v[36:37]
	s_waitcnt lgkmcnt(1)
	v_fma_f64 v[40:41], -v[10:11], v[40:41], v[48:49]
	v_add_co_u32_e32 v48, vcc, s16, v52
	s_add_i32 s16, s3, 0xfffffd00
	s_add_i32 s8, s2, -7
	s_add_i32 s4, s11, s16
	s_lshl_b32 s9, s8, 3
	v_mov_b32_e32 v54, s17
	s_waitcnt lgkmcnt(0)
	v_fma_f64 v[40:41], -v[12:13], v[44:45], v[40:41]
	v_mov_b32_e32 v44, s4
	s_add_i32 s4, s9, s3
	v_addc_co_u32_e32 v49, vcc, v53, v54, vcc
	v_fma_f64 v[54:55], -v[10:11], v[38:39], v[36:37]
	v_mov_b32_e32 v36, s4
	ds_read2_b64 v[44:47], v44 offset1:1
	ds_read2_b64 v[36:39], v36 offset1:1
	s_add_i32 s17, s3, 0xfffffc40
	s_add_i32 s4, s11, s17
	;; [unrolled: 1-line block ×3, first 2 shown]
	global_store_dwordx2 v[48:49], v[10:11], off
	s_waitcnt lgkmcnt(0)
	v_fma_f64 v[20:21], -v[6:7], v[38:39], v[20:21]
	v_mov_b32_e32 v48, s11
	v_fma_f64 v[36:37], -v[6:7], v[36:37], v[16:17]
	ds_read2_b64 v[48:51], v48 offset1:1
	v_mov_b32_e32 v38, s4
	v_mul_f64 v[16:17], v[46:47], v[40:41]
	v_fma_f64 v[40:41], -v[12:13], v[42:43], v[54:55]
	ds_read_b64 v[56:57], v38
	s_waitcnt lgkmcnt(1)
	v_fma_f64 v[20:21], -v[8:9], v[50:51], v[20:21]
	s_add_i32 s4, s9, s14
	v_fma_f64 v[46:47], -v[8:9], v[48:49], v[36:37]
	v_mov_b32_e32 v36, s4
	ds_read2_b64 v[36:39], v36 offset1:1
	s_add_i32 s4, s9, s13
	v_fma_f64 v[44:45], -v[16:17], v[44:45], v[40:41]
	v_mov_b32_e32 v40, s4
	ds_read2_b64 v[40:43], v40 offset1:1
	s_waitcnt lgkmcnt(1)
	v_fma_f64 v[38:39], -v[10:11], v[38:39], v[20:21]
	s_lshl_b64 s[6:7], s[6:7], 3
	v_mov_b32_e32 v54, s7
	v_add_co_u32_e32 v20, vcc, s6, v52
	v_addc_co_u32_e32 v21, vcc, v53, v54, vcc
	v_fma_f64 v[46:47], -v[10:11], v[36:37], v[46:47]
	global_store_dwordx2 v[20:21], v[12:13], off
	s_add_i32 s4, s2, -4
	v_mul_f64 v[20:21], v[56:57], v[44:45]
	s_waitcnt lgkmcnt(0)
	v_fma_f64 v[44:45], -v[12:13], v[42:43], v[38:39]
	s_lshl_b64 s[6:7], s[4:5], 3
	s_add_i32 s4, s9, s16
	v_mov_b32_e32 v36, s4
	ds_read2_b64 v[36:39], v36 offset1:1
	s_add_i32 s4, s9, s17
	v_fma_f64 v[46:47], -v[12:13], v[40:41], v[46:47]
	v_mov_b32_e32 v40, s4
	ds_read2_b64 v[40:43], v40 offset1:1
	s_waitcnt lgkmcnt(1)
	v_fma_f64 v[38:39], -v[16:17], v[38:39], v[44:45]
	v_add_co_u32_e32 v44, vcc, s6, v52
	s_add_i32 s6, s2, -9
	v_mov_b32_e32 v48, s7
	s_lshl_b32 s7, s6, 3
	s_add_i32 s4, s7, s3
	v_fma_f64 v[46:47], -v[16:17], v[36:37], v[46:47]
	v_mov_b32_e32 v36, s4
	v_addc_co_u32_e32 v45, vcc, v53, v48, vcc
	s_waitcnt lgkmcnt(0)
	v_fma_f64 v[48:49], -v[20:21], v[42:43], v[38:39]
	ds_read2_b64 v[36:39], v36 offset1:1
	s_mov_b32 s11, s5
	s_lshl_b64 s[10:11], s[10:11], 3
	v_mov_b32_e32 v60, s11
	s_add_i32 s11, s7, s15
	v_mov_b32_e32 v42, s11
	global_store_dwordx2 v[44:45], v[16:17], off
	ds_read2_b64 v[42:45], v42 offset1:1
	s_waitcnt lgkmcnt(1)
	v_fma_f64 v[22:23], -v[6:7], v[38:39], v[22:23]
	s_add_i32 s18, s3, 0xfffffb80
	s_add_i32 s4, s9, s18
	;; [unrolled: 1-line block ×3, first 2 shown]
	v_mov_b32_e32 v38, s4
	s_add_i32 s4, s9, s19
	v_fma_f64 v[54:55], -v[20:21], v[40:41], v[46:47]
	v_mov_b32_e32 v46, s4
	s_waitcnt lgkmcnt(0)
	v_fma_f64 v[58:59], -v[8:9], v[44:45], v[22:23]
	s_add_i32 s4, s7, s14
	v_mov_b32_e32 v22, s4
	ds_read2_b64 v[38:41], v38 offset1:1
	ds_read_b64 v[56:57], v46
	ds_read2_b64 v[44:47], v22 offset1:1
	s_add_i32 s4, s7, s13
	v_fma_f64 v[26:27], -v[6:7], v[36:37], v[26:27]
	s_waitcnt lgkmcnt(2)
	v_mul_f64 v[22:23], v[40:41], v[48:49]
	v_mov_b32_e32 v40, s4
	ds_read2_b64 v[48:51], v40 offset1:1
	s_waitcnt lgkmcnt(1)
	v_fma_f64 v[40:41], -v[10:11], v[46:47], v[58:59]
	s_add_i32 s4, s2, -6
	v_add_co_u32_e32 v46, vcc, s10, v52
	s_lshl_b64 s[10:11], s[4:5], 3
	s_add_i32 s4, s7, s16
	v_addc_co_u32_e32 v47, vcc, v53, v60, vcc
	s_waitcnt lgkmcnt(0)
	v_fma_f64 v[50:51], -v[12:13], v[50:51], v[40:41]
	v_mov_b32_e32 v36, s4
	global_store_dwordx2 v[46:47], v[20:21], off
	v_fma_f64 v[46:47], -v[22:23], v[38:39], v[54:55]
	ds_read2_b64 v[36:39], v36 offset1:1
	v_fma_f64 v[54:55], -v[8:9], v[42:43], v[26:27]
	s_add_i32 s4, s7, s17
	v_mov_b32_e32 v26, s4
	ds_read2_b64 v[40:43], v26 offset1:1
	s_waitcnt lgkmcnt(1)
	v_fma_f64 v[38:39], -v[16:17], v[38:39], v[50:51]
	v_mov_b32_e32 v58, s11
	v_add_co_u32_e32 v26, vcc, s10, v52
	v_fma_f64 v[44:45], -v[10:11], v[44:45], v[54:55]
	s_add_i32 s4, s7, s18
	s_add_i32 s10, s2, -11
	v_addc_co_u32_e32 v27, vcc, v53, v58, vcc
	s_waitcnt lgkmcnt(0)
	v_fma_f64 v[38:39], -v[20:21], v[42:43], v[38:39]
	v_mov_b32_e32 v42, s4
	s_add_i32 s4, s7, s19
	s_lshl_b32 s11, s10, 3
	global_store_dwordx2 v[26:27], v[22:23], off
	v_mul_f64 v[26:27], v[56:57], v[46:47]
	v_mov_b32_e32 v46, s4
	s_add_i32 s4, s11, s3
	v_mov_b32_e32 v54, s4
	v_fma_f64 v[50:51], -v[12:13], v[48:49], v[44:45]
	ds_read2_b64 v[42:45], v42 offset1:1
	ds_read2_b64 v[46:49], v46 offset1:1
	;; [unrolled: 1-line block ×3, first 2 shown]
	s_add_i32 s4, s11, s15
	s_mov_b32 s9, s5
	s_waitcnt lgkmcnt(2)
	v_fma_f64 v[38:39], -v[22:23], v[44:45], v[38:39]
	v_mov_b32_e32 v44, s4
	ds_read2_b64 v[58:61], v44 offset1:1
	s_waitcnt lgkmcnt(1)
	v_fma_f64 v[34:35], -v[6:7], v[56:57], v[34:35]
	s_lshl_b64 s[8:9], s[8:9], 3
	v_mov_b32_e32 v62, s9
	v_add_co_u32_e32 v44, vcc, s8, v52
	v_addc_co_u32_e32 v45, vcc, v53, v62, vcc
	global_store_dwordx2 v[44:45], v[26:27], off
	v_fma_f64 v[36:37], -v[16:17], v[36:37], v[50:51]
	v_fma_f64 v[44:45], -v[26:27], v[48:49], v[38:39]
	;; [unrolled: 1-line block ×3, first 2 shown]
	s_waitcnt lgkmcnt(0)
	v_fma_f64 v[50:51], -v[8:9], v[60:61], v[34:35]
	s_add_i32 s8, s11, s14
	v_mov_b32_e32 v32, s8
	ds_read2_b64 v[32:35], v32 offset1:1
	s_add_i32 s8, s11, s13
	v_fma_f64 v[40:41], -v[20:21], v[40:41], v[36:37]
	v_mov_b32_e32 v36, s8
	v_fma_f64 v[48:49], -v[8:9], v[58:59], v[48:49]
	ds_read2_b64 v[36:39], v36 offset1:1
	s_waitcnt lgkmcnt(1)
	v_fma_f64 v[34:35], -v[10:11], v[34:35], v[50:51]
	s_add_i32 s20, s3, 0xfffffa00
	s_add_i32 s8, s7, s20
	v_mov_b32_e32 v50, s8
	s_add_i32 s8, s11, s16
	v_fma_f64 v[58:59], -v[22:23], v[42:43], v[40:41]
	v_fma_f64 v[32:33], -v[10:11], v[32:33], v[48:49]
	ds_read2_b64 v[40:43], v50 offset1:1
	s_waitcnt lgkmcnt(1)
	v_fma_f64 v[34:35], -v[12:13], v[38:39], v[34:35]
	v_mov_b32_e32 v38, s8
	ds_read2_b64 v[48:51], v38 offset1:1
	s_add_i32 s8, s11, s17
	v_mov_b32_e32 v38, s8
	ds_read2_b64 v[54:57], v38 offset1:1
	v_fma_f64 v[36:37], -v[12:13], v[36:37], v[32:33]
	s_waitcnt lgkmcnt(2)
	v_mul_f64 v[32:33], v[42:43], v[44:45]
	s_waitcnt lgkmcnt(1)
	v_fma_f64 v[34:35], -v[16:17], v[50:51], v[34:35]
	v_fma_f64 v[42:43], -v[26:27], v[46:47], v[58:59]
	s_add_i32 s4, s2, -8
	s_add_i32 s21, s3, 0xfffff940
	s_add_i32 s7, s7, s21
	s_lshl_b64 s[8:9], s[4:5], 3
	v_fma_f64 v[44:45], -v[16:17], v[48:49], v[36:37]
	s_add_i32 s4, s11, s18
	s_waitcnt lgkmcnt(0)
	v_fma_f64 v[34:35], -v[20:21], v[56:57], v[34:35]
	v_mov_b32_e32 v38, s7
	v_mov_b32_e32 v36, s4
	ds_read_b64 v[50:51], v38
	ds_read2_b64 v[36:39], v36 offset1:1
	s_add_i32 s4, s11, s19
	v_fma_f64 v[46:47], -v[32:33], v[40:41], v[42:43]
	v_mov_b32_e32 v40, s4
	v_fma_f64 v[44:45], -v[20:21], v[54:55], v[44:45]
	ds_read2_b64 v[40:43], v40 offset1:1
	s_waitcnt lgkmcnt(1)
	v_fma_f64 v[38:39], -v[22:23], v[38:39], v[34:35]
	v_add_co_u32_e32 v34, vcc, s8, v52
	s_add_i32 s8, s2, -13
	v_mov_b32_e32 v58, s9
	s_lshl_b32 s9, s8, 3
	s_add_i32 s4, s9, s3
	v_addc_co_u32_e32 v35, vcc, v53, v58, vcc
	v_fma_f64 v[54:55], -v[22:23], v[36:37], v[44:45]
	v_mov_b32_e32 v36, s4
	global_store_dwordx2 v[34:35], v[32:33], off
	v_mul_f64 v[34:35], v[50:51], v[46:47]
	s_waitcnt lgkmcnt(0)
	v_fma_f64 v[50:51], -v[26:27], v[42:43], v[38:39]
	ds_read2_b64 v[36:39], v36 offset1:1
	s_add_i32 s23, s9, s15
	v_mov_b32_e32 v42, s23
	ds_read2_b64 v[42:45], v42 offset1:1
	s_add_i32 s4, s11, s20
	s_waitcnt lgkmcnt(1)
	v_fma_f64 v[30:31], -v[6:7], v[38:39], v[30:31]
	v_mov_b32_e32 v38, s4
	ds_read2_b64 v[46:49], v38 offset1:1
	s_add_i32 s4, s11, s21
	v_mov_b32_e32 v38, s4
	s_add_i32 s4, s9, s14
	v_fma_f64 v[36:37], -v[6:7], v[36:37], v[28:29]
	s_waitcnt lgkmcnt(0)
	v_fma_f64 v[56:57], -v[32:33], v[48:49], v[50:51]
	v_fma_f64 v[44:45], -v[8:9], v[44:45], v[30:31]
	v_mov_b32_e32 v30, s4
	ds_read2_b64 v[48:51], v30 offset1:1
	s_add_i32 s4, s9, s13
	v_fma_f64 v[54:55], -v[26:27], v[40:41], v[54:55]
	v_mov_b32_e32 v28, s4
	ds_read2_b64 v[38:41], v38 offset1:1
	ds_read2_b64 v[28:31], v28 offset1:1
	s_waitcnt lgkmcnt(2)
	v_fma_f64 v[44:45], -v[10:11], v[50:51], v[44:45]
	s_mov_b32 s7, s5
	s_lshl_b64 s[6:7], s[6:7], 3
	v_fma_f64 v[36:37], -v[8:9], v[42:43], v[36:37]
	v_mov_b32_e32 v60, s7
	s_add_i32 s7, s9, s16
	v_fma_f64 v[50:51], -v[32:33], v[46:47], v[54:55]
	s_waitcnt lgkmcnt(1)
	v_fma_f64 v[54:55], -v[34:35], v[40:41], v[56:57]
	s_waitcnt lgkmcnt(0)
	v_fma_f64 v[30:31], -v[12:13], v[30:31], v[44:45]
	v_mov_b32_e32 v40, s7
	ds_read2_b64 v[40:43], v40 offset1:1
	s_add_i32 s23, s3, 0xfffff880
	s_add_i32 s4, s11, s23
	v_mov_b32_e32 v56, s4
	s_add_i32 s4, s9, s17
	v_mov_b32_e32 v44, s4
	ds_read2_b64 v[44:47], v44 offset1:1
	s_waitcnt lgkmcnt(1)
	v_fma_f64 v[30:31], -v[16:17], v[42:43], v[30:31]
	v_fma_f64 v[48:49], -v[10:11], v[48:49], v[36:37]
	s_add_i32 s24, s3, 0xfffff7c0
	s_add_i32 s4, s11, s24
	v_fma_f64 v[42:43], -v[34:35], v[38:39], v[50:51]
	v_mov_b32_e32 v50, s4
	s_add_i32 s4, s9, s18
	ds_read2_b64 v[36:39], v56 offset1:1
	ds_read_b64 v[50:51], v50
	s_waitcnt lgkmcnt(2)
	v_fma_f64 v[30:31], -v[20:21], v[46:47], v[30:31]
	v_fma_f64 v[58:59], -v[12:13], v[28:29], v[48:49]
	v_mov_b32_e32 v28, s4
	ds_read2_b64 v[46:49], v28 offset1:1
	s_add_i32 s4, s9, s19
	s_waitcnt lgkmcnt(2)
	v_mul_f64 v[28:29], v[38:39], v[54:55]
	v_mov_b32_e32 v38, s4
	ds_read2_b64 v[54:57], v38 offset1:1
	s_waitcnt lgkmcnt(1)
	v_fma_f64 v[30:31], -v[22:23], v[48:49], v[30:31]
	v_fma_f64 v[38:39], -v[16:17], v[40:41], v[58:59]
	s_add_i32 s4, s2, -10
	v_add_co_u32_e32 v40, vcc, s6, v52
	s_lshl_b64 s[6:7], s[4:5], 3
	s_add_i32 s4, s9, s20
	v_fma_f64 v[48:49], -v[28:29], v[36:37], v[42:43]
	s_waitcnt lgkmcnt(0)
	v_fma_f64 v[30:31], -v[26:27], v[56:57], v[30:31]
	v_fma_f64 v[44:45], -v[20:21], v[44:45], v[38:39]
	v_mov_b32_e32 v36, s4
	ds_read2_b64 v[36:39], v36 offset1:1
	v_addc_co_u32_e32 v41, vcc, v53, v60, vcc
	s_add_i32 s4, s9, s21
	global_store_dwordx2 v[40:41], v[34:35], off
	v_mov_b32_e32 v40, s4
	ds_read2_b64 v[40:43], v40 offset1:1
	s_waitcnt lgkmcnt(1)
	v_fma_f64 v[38:39], -v[32:33], v[38:39], v[30:31]
	v_fma_f64 v[44:45], -v[22:23], v[46:47], v[44:45]
	v_mov_b32_e32 v56, s7
	v_add_co_u32_e32 v30, vcc, s6, v52
	v_addc_co_u32_e32 v31, vcc, v53, v56, vcc
	s_add_i32 s6, s2, -15
	s_waitcnt lgkmcnt(0)
	v_fma_f64 v[56:57], -v[34:35], v[42:43], v[38:39]
	v_fma_f64 v[38:39], -v[26:27], v[54:55], v[44:45]
	s_add_i32 s4, s9, s23
	s_lshl_b32 s7, s6, 3
	v_mov_b32_e32 v46, s4
	s_add_i32 s4, s7, s3
	v_mov_b32_e32 v42, s4
	ds_read2_b64 v[42:45], v42 offset1:1
	s_add_i32 s4, s7, s15
	v_fma_f64 v[54:55], -v[32:33], v[36:37], v[38:39]
	v_mov_b32_e32 v36, s4
	ds_read2_b64 v[36:39], v36 offset1:1
	s_waitcnt lgkmcnt(1)
	v_fma_f64 v[24:25], -v[6:7], v[44:45], v[24:25]
	ds_read2_b64 v[44:47], v46 offset1:1
	s_add_i32 s4, s9, s24
	v_fma_f64 v[18:19], -v[6:7], v[42:43], v[18:19]
	v_mov_b32_e32 v42, s4
	s_add_i32 s4, s7, s14
	global_store_dwordx2 v[30:31], v[28:29], off
	v_mul_f64 v[30:31], v[50:51], v[48:49]
	s_waitcnt lgkmcnt(1)
	v_fma_f64 v[24:25], -v[8:9], v[38:39], v[24:25]
	v_mov_b32_e32 v38, s4
	ds_read2_b64 v[48:51], v42 offset1:1
	s_waitcnt lgkmcnt(1)
	v_fma_f64 v[42:43], -v[28:29], v[46:47], v[56:57]
	v_fma_f64 v[46:47], -v[34:35], v[40:41], v[54:55]
	ds_read2_b64 v[38:41], v38 offset1:1
	s_add_i32 s4, s7, s13
	v_mov_b32_e32 v54, s4
	ds_read2_b64 v[54:57], v54 offset1:1
	v_fma_f64 v[18:19], -v[8:9], v[36:37], v[18:19]
	s_waitcnt lgkmcnt(1)
	v_fma_f64 v[24:25], -v[10:11], v[40:41], v[24:25]
	s_add_i32 s25, s3, 0xfffff700
	s_add_i32 s4, s9, s25
	v_mov_b32_e32 v40, s4
	s_add_i32 s4, s7, s16
	v_mov_b32_e32 v36, s4
	v_fma_f64 v[50:51], -v[30:31], v[50:51], v[42:43]
	v_fma_f64 v[18:19], -v[10:11], v[38:39], v[18:19]
	s_waitcnt lgkmcnt(0)
	v_fma_f64 v[24:25], -v[12:13], v[56:57], v[24:25]
	ds_read2_b64 v[36:39], v36 offset1:1
	ds_read2_b64 v[40:43], v40 offset1:1
	s_add_i32 s4, s7, s17
	v_fma_f64 v[58:59], -v[28:29], v[44:45], v[46:47]
	v_mov_b32_e32 v44, s4
	s_mov_b32 s11, s5
	ds_read2_b64 v[44:47], v44 offset1:1
	s_lshl_b64 s[10:11], s[10:11], 3
	s_waitcnt lgkmcnt(2)
	v_fma_f64 v[24:25], -v[16:17], v[38:39], v[24:25]
	v_mov_b32_e32 v60, s11
	s_mul_i32 s11, s2, 0xc8
	v_fma_f64 v[38:39], -v[12:13], v[54:55], v[18:19]
	s_add_i32 s4, s11, 0xfffff5d8
	v_mov_b32_e32 v18, s4
	ds_read_b64 v[54:55], v18
	s_add_i32 s4, s7, s18
	s_waitcnt lgkmcnt(1)
	v_fma_f64 v[24:25], -v[20:21], v[46:47], v[24:25]
	v_mov_b32_e32 v46, s4
	v_mul_f64 v[18:19], v[42:43], v[50:51]
	v_fma_f64 v[42:43], -v[30:31], v[48:49], v[58:59]
	ds_read2_b64 v[46:49], v46 offset1:1
	v_fma_f64 v[50:51], -v[16:17], v[36:37], v[38:39]
	s_add_i32 s4, s7, s19
	v_mov_b32_e32 v36, s4
	ds_read2_b64 v[36:39], v36 offset1:1
	s_waitcnt lgkmcnt(1)
	v_fma_f64 v[24:25], -v[22:23], v[48:49], v[24:25]
	s_add_i32 s4, s2, -12
	v_add_co_u32_e32 v48, vcc, s10, v52
	v_fma_f64 v[44:45], -v[20:21], v[44:45], v[50:51]
	s_lshl_b64 s[26:27], s[4:5], 3
	s_add_i32 s4, s7, s20
	v_addc_co_u32_e32 v49, vcc, v53, v60, vcc
	s_waitcnt lgkmcnt(0)
	v_fma_f64 v[24:25], -v[26:27], v[38:39], v[24:25]
	v_mov_b32_e32 v38, s4
	global_store_dwordx2 v[48:49], v[30:31], off
	v_fma_f64 v[48:49], -v[18:19], v[40:41], v[42:43]
	ds_read2_b64 v[38:41], v38 offset1:1
	v_fma_f64 v[46:47], -v[22:23], v[46:47], v[44:45]
	s_add_i32 s4, s7, s21
	v_mov_b32_e32 v42, s4
	ds_read2_b64 v[42:45], v42 offset1:1
	s_waitcnt lgkmcnt(1)
	v_fma_f64 v[40:41], -v[32:33], v[40:41], v[24:25]
	s_add_i32 s4, s7, s23
	v_mov_b32_e32 v50, s27
	v_add_co_u32_e32 v24, vcc, s26, v52
	v_fma_f64 v[36:37], -v[26:27], v[36:37], v[46:47]
	s_mov_b32 s9, s5
	v_addc_co_u32_e32 v25, vcc, v53, v50, vcc
	s_waitcnt lgkmcnt(0)
	v_fma_f64 v[40:41], -v[34:35], v[44:45], v[40:41]
	v_mov_b32_e32 v44, s4
	ds_read2_b64 v[44:47], v44 offset1:1
	s_lshl_b64 s[26:27], s[8:9], 3
	v_fma_f64 v[50:51], -v[32:33], v[38:39], v[36:37]
	s_sub_i32 s8, s2, 17
	s_add_i32 s4, s7, s24
	s_lshl_b32 s9, s8, 3
	global_store_dwordx2 v[24:25], v[18:19], off
	v_mul_f64 v[24:25], v[54:55], v[48:49]
	v_mov_b32_e32 v48, s4
	s_add_i32 s4, s9, s3
	ds_read2_b64 v[36:39], v48 offset1:1
	s_waitcnt lgkmcnt(1)
	v_fma_f64 v[54:55], -v[28:29], v[46:47], v[40:41]
	v_mov_b32_e32 v40, s4
	ds_read2_b64 v[46:49], v40 offset1:1
	v_fma_f64 v[50:51], -v[34:35], v[42:43], v[50:51]
	s_add_i32 s4, s9, s15
	v_mov_b32_e32 v40, s4
	ds_read2_b64 v[40:43], v40 offset1:1
	s_waitcnt lgkmcnt(1)
	v_fma_f64 v[14:15], -v[6:7], v[48:49], v[14:15]
	s_add_i32 s4, s7, s25
	v_fma_f64 v[54:55], -v[30:31], v[38:39], v[54:55]
	v_fma_f64 v[4:5], -v[6:7], v[46:47], v[4:5]
	;; [unrolled: 1-line block ×3, first 2 shown]
	v_mov_b32_e32 v44, s4
	ds_read2_b64 v[48:51], v44 offset1:1
	s_add_i32 s4, s9, s14
	s_waitcnt lgkmcnt(1)
	v_fma_f64 v[14:15], -v[8:9], v[42:43], v[14:15]
	v_mov_b32_e32 v42, s4
	ds_read2_b64 v[42:45], v42 offset1:1
	s_add_i32 s4, s9, s13
	v_fma_f64 v[58:59], -v[30:31], v[36:37], v[38:39]
	v_mov_b32_e32 v36, s4
	ds_read2_b64 v[36:39], v36 offset1:1
	v_add_co_u32_e32 v56, vcc, s26, v52
	s_waitcnt lgkmcnt(1)
	v_fma_f64 v[14:15], -v[10:11], v[44:45], v[14:15]
	s_add_i32 s26, s3, 0xfffff640
	v_fma_f64 v[4:5], -v[8:9], v[40:41], v[4:5]
	s_add_i32 s4, s7, s26
	v_mov_b32_e32 v40, s4
	ds_read2_b64 v[44:47], v40 offset1:1
	s_add_i32 s4, s9, s16
	v_fma_f64 v[54:55], -v[18:19], v[50:51], v[54:55]
	s_waitcnt lgkmcnt(1)
	v_fma_f64 v[14:15], -v[12:13], v[38:39], v[14:15]
	v_mov_b32_e32 v38, s4
	ds_read2_b64 v[38:41], v38 offset1:1
	v_fma_f64 v[4:5], -v[10:11], v[42:43], v[4:5]
	s_add_i32 s4, s9, s17
	v_mov_b32_e32 v42, s4
	v_fma_f64 v[58:59], -v[18:19], v[48:49], v[58:59]
	ds_read2_b64 v[48:51], v42 offset1:1
	s_waitcnt lgkmcnt(1)
	v_fma_f64 v[14:15], -v[16:17], v[40:41], v[14:15]
	v_mov_b32_e32 v57, s27
	s_add_i32 s27, s3, 0xfffff580
	v_fma_f64 v[4:5], -v[12:13], v[36:37], v[4:5]
	s_add_i32 s4, s7, s27
	v_mov_b32_e32 v36, s4
	s_add_i32 s4, s9, s18
	ds_read2_b64 v[40:43], v36 offset1:1
	s_waitcnt lgkmcnt(1)
	v_fma_f64 v[14:15], -v[20:21], v[50:51], v[14:15]
	v_mov_b32_e32 v36, s4
	v_fma_f64 v[54:55], -v[24:25], v[46:47], v[54:55]
	v_fma_f64 v[58:59], -v[24:25], v[44:45], v[58:59]
	ds_read2_b64 v[44:47], v36 offset1:1
	v_fma_f64 v[4:5], -v[16:17], v[38:39], v[4:5]
	s_add_i32 s4, s9, s19
	v_mov_b32_e32 v36, s4
	ds_read2_b64 v[36:39], v36 offset1:1
	s_waitcnt lgkmcnt(1)
	v_fma_f64 v[14:15], -v[22:23], v[46:47], v[14:15]
	s_add_i32 s4, s11, 0xfffff448
	v_addc_co_u32_e32 v57, vcc, v53, v57, vcc
	v_fma_f64 v[4:5], -v[20:21], v[48:49], v[4:5]
	v_mov_b32_e32 v46, s4
	global_store_dwordx2 v[56:57], v[24:25], off
	ds_read_b64 v[56:57], v46
	s_add_i32 s4, s2, -14
	s_waitcnt lgkmcnt(1)
	v_fma_f64 v[14:15], -v[26:27], v[38:39], v[14:15]
	s_lshl_b64 s[28:29], s[4:5], 3
	s_add_i32 s4, s9, s20
	v_mov_b32_e32 v38, s4
	v_mul_f64 v[54:55], v[42:43], v[54:55]
	ds_read2_b64 v[46:49], v38 offset1:1
	v_fma_f64 v[4:5], -v[22:23], v[44:45], v[4:5]
	s_add_i32 s4, s9, s21
	v_mov_b32_e32 v38, s4
	s_sub_i32 s10, s2, 19
	s_waitcnt lgkmcnt(0)
	v_fma_f64 v[14:15], -v[32:33], v[48:49], v[14:15]
	v_add_co_u32_e32 v42, vcc, s28, v52
	v_fma_f64 v[58:59], -v[54:55], v[40:41], v[58:59]
	ds_read2_b64 v[38:41], v38 offset1:1
	v_fma_f64 v[4:5], -v[26:27], v[36:37], v[4:5]
	s_lshl_b32 s28, s10, 3
	v_mov_b32_e32 v43, s29
	s_add_i32 s7, s28, s3
	v_addc_co_u32_e32 v43, vcc, v53, v43, vcc
	v_mov_b32_e32 v36, s7
	global_store_dwordx2 v[42:43], v[54:55], off
	s_waitcnt lgkmcnt(0)
	v_fma_f64 v[14:15], -v[34:35], v[40:41], v[14:15]
	ds_read2_b64 v[40:43], v36 offset1:1
	s_add_i32 s4, s9, s23
	v_mov_b32_e32 v60, s4
	s_add_i32 s4, s28, s15
	v_mov_b32_e32 v36, s4
	ds_read2_b64 v[48:51], v36 offset1:1
	s_waitcnt lgkmcnt(1)
	v_fma_f64 v[36:37], -v[6:7], v[42:43], v[2:3]
	v_fma_f64 v[44:45], -v[32:33], v[46:47], v[4:5]
	ds_read2_b64 v[2:5], v60 offset1:1
	s_add_i32 s4, s9, s24
	v_fma_f64 v[0:1], -v[6:7], v[40:41], v[0:1]
	v_mov_b32_e32 v42, s4
	ds_read2_b64 v[40:43], v42 offset1:1
	s_waitcnt lgkmcnt(1)
	v_fma_f64 v[14:15], -v[28:29], v[4:5], v[14:15]
	v_fma_f64 v[46:47], -v[8:9], v[50:51], v[36:37]
	;; [unrolled: 1-line block ×3, first 2 shown]
	s_add_i32 s4, s28, s14
	v_mov_b32_e32 v4, s4
	ds_read2_b64 v[4:7], v4 offset1:1
	s_add_i32 s4, s28, s13
	v_mov_b32_e32 v36, s4
	s_add_i32 s4, s9, s25
	ds_read2_b64 v[36:39], v36 offset1:1
	s_waitcnt lgkmcnt(2)
	v_fma_f64 v[14:15], -v[30:31], v[42:43], v[14:15]
	v_mov_b32_e32 v42, s4
	s_add_i32 s4, s28, s16
	v_fma_f64 v[8:9], -v[8:9], v[48:49], v[0:1]
	v_mov_b32_e32 v0, s4
	v_fma_f64 v[48:49], -v[28:29], v[2:3], v[44:45]
	ds_read2_b64 v[0:3], v0 offset1:1
	s_waitcnt lgkmcnt(2)
	v_fma_f64 v[6:7], -v[10:11], v[6:7], v[46:47]
	s_add_i32 s4, s28, s17
	v_mul_f64 v[46:47], v[56:57], v[58:59]
	s_mov_b32 s7, s5
	v_fma_f64 v[50:51], -v[10:11], v[4:5], v[8:9]
	v_mov_b32_e32 v4, s4
	ds_read2_b64 v[8:11], v42 offset1:1
	s_add_i32 s4, s9, s26
	s_waitcnt lgkmcnt(2)
	v_fma_f64 v[38:39], -v[12:13], v[38:39], v[6:7]
	ds_read2_b64 v[4:7], v4 offset1:1
	s_lshl_b64 s[6:7], s[6:7], 3
	s_waitcnt lgkmcnt(1)
	v_fma_f64 v[14:15], -v[18:19], v[10:11], v[14:15]
	v_fma_f64 v[36:37], -v[12:13], v[36:37], v[50:51]
	;; [unrolled: 1-line block ×3, first 2 shown]
	v_mov_b32_e32 v38, s4
	s_add_i32 s4, s28, s18
	ds_read2_b64 v[42:45], v38 offset1:1
	v_fma_f64 v[16:17], -v[16:17], v[0:1], v[36:37]
	s_waitcnt lgkmcnt(1)
	v_fma_f64 v[6:7], -v[20:21], v[6:7], v[2:3]
	v_mov_b32_e32 v2, s4
	ds_read2_b64 v[10:13], v2 offset1:1
	s_add_i32 s4, s28, s19
	v_fma_f64 v[16:17], -v[20:21], v[4:5], v[16:17]
	v_fma_f64 v[38:39], -v[30:31], v[40:41], v[48:49]
	v_mov_b32_e32 v0, s4
	ds_read2_b64 v[0:3], v0 offset1:1
	s_waitcnt lgkmcnt(1)
	v_fma_f64 v[12:13], -v[22:23], v[12:13], v[6:7]
	s_add_i32 s4, s9, s27
	v_mov_b32_e32 v6, s4
	ds_read2_b64 v[4:7], v6 offset1:1
	v_fma_f64 v[22:23], -v[22:23], v[10:11], v[16:17]
	s_add_i32 s4, s28, s20
	v_fma_f64 v[20:21], -v[18:19], v[8:9], v[38:39]
	v_mov_b32_e32 v8, s4
	s_waitcnt lgkmcnt(1)
	v_fma_f64 v[2:3], -v[26:27], v[2:3], v[12:13]
	v_fma_f64 v[36:37], -v[24:25], v[44:45], v[14:15]
	ds_read2_b64 v[12:15], v8 offset1:1
	s_add_i32 s4, s28, s21
	v_fma_f64 v[22:23], -v[26:27], v[0:1], v[22:23]
	v_mov_b32_e32 v8, s4
	ds_read2_b64 v[8:11], v8 offset1:1
	s_add_i32 s4, s3, 0xfffff4c0
	s_waitcnt lgkmcnt(1)
	v_fma_f64 v[2:3], -v[32:33], v[14:15], v[2:3]
	s_add_i32 s13, s9, s4
	v_mov_b32_e32 v14, s13
	v_fma_f64 v[6:7], -v[54:55], v[6:7], v[36:37]
	v_fma_f64 v[22:23], -v[32:33], v[12:13], v[22:23]
	ds_read2_b64 v[14:17], v14 offset1:1
	s_add_i32 s13, s28, s23
	v_mov_b32_e32 v0, s13
	s_waitcnt lgkmcnt(1)
	v_fma_f64 v[26:27], -v[34:35], v[10:11], v[2:3]
	ds_read2_b64 v[0:3], v0 offset1:1
	s_add_i32 s13, s28, s24
	v_mov_b32_e32 v10, s13
	s_waitcnt lgkmcnt(1)
	v_fma_f64 v[16:17], -v[46:47], v[16:17], v[6:7]
	v_fma_f64 v[6:7], -v[34:35], v[8:9], v[22:23]
	ds_read2_b64 v[10:13], v10 offset1:1
	v_fma_f64 v[20:21], -v[24:25], v[42:43], v[20:21]
	s_waitcnt lgkmcnt(1)
	v_fma_f64 v[2:3], -v[28:29], v[2:3], v[26:27]
	s_addk_i32 s3, 0xf400
	v_mov_b32_e32 v32, s7
	s_add_i32 s7, s9, s3
	v_mov_b32_e32 v22, s7
	v_fma_f64 v[0:1], -v[28:29], v[0:1], v[6:7]
	s_add_i32 s7, s28, s25
	v_fma_f64 v[26:27], -v[54:55], v[4:5], v[20:21]
	s_waitcnt lgkmcnt(0)
	v_fma_f64 v[12:13], -v[30:31], v[12:13], v[2:3]
	v_mov_b32_e32 v2, s7
	ds_read2_b64 v[2:5], v2 offset1:1
	ds_read2_b64 v[20:23], v22 offset1:1
	s_add_i32 s7, s28, s26
	v_fma_f64 v[0:1], -v[30:31], v[10:11], v[0:1]
	v_mov_b32_e32 v6, s7
	ds_read2_b64 v[6:9], v6 offset1:1
	s_waitcnt lgkmcnt(2)
	v_fma_f64 v[4:5], -v[18:19], v[4:5], v[12:13]
	s_add_i32 s4, s28, s4
	s_add_i32 s7, s11, 0xfffff2b8
	v_mov_b32_e32 v12, s7
	s_add_i32 s7, s28, s27
	v_fma_f64 v[18:19], -v[18:19], v[2:3], v[0:1]
	v_mov_b32_e32 v0, s4
	ds_read2_b64 v[0:3], v0 offset1:1
	s_waitcnt lgkmcnt(1)
	v_fma_f64 v[4:5], -v[24:25], v[8:9], v[4:5]
	v_mov_b32_e32 v8, s7
	ds_read_b64 v[12:13], v12
	ds_read2_b64 v[8:11], v8 offset1:1
	v_mul_f64 v[16:17], v[22:23], v[16:17]
	v_fma_f64 v[14:15], -v[46:47], v[14:15], v[26:27]
	v_fma_f64 v[6:7], -v[24:25], v[6:7], v[18:19]
	s_add_i32 s3, s28, s3
	s_waitcnt lgkmcnt(0)
	v_fma_f64 v[4:5], -v[54:55], v[10:11], v[4:5]
	v_add_co_u32_e32 v10, vcc, s6, v52
	v_addc_co_u32_e32 v11, vcc, v53, v32, vcc
	global_store_dwordx2 v[10:11], v[46:47], off
	v_fma_f64 v[10:11], -v[16:17], v[20:21], v[14:15]
	v_fma_f64 v[18:19], -v[54:55], v[8:9], v[6:7]
	;; [unrolled: 1-line block ×3, first 2 shown]
	v_mov_b32_e32 v2, s3
	ds_read2_b64 v[2:5], v2 offset1:1
	s_add_i32 s4, s2, -16
	s_lshl_b64 s[6:7], s[4:5], 3
	s_add_i32 s4, s3, 0xffffff40
	v_mov_b32_e32 v6, s4
	v_mul_f64 v[10:11], v[12:13], v[10:11]
	ds_read2_b64 v[6:9], v6 offset1:1
	s_waitcnt lgkmcnt(1)
	v_fma_f64 v[4:5], -v[16:17], v[4:5], v[14:15]
	v_fma_f64 v[0:1], -v[46:47], v[0:1], v[18:19]
	s_addk_i32 s3, 0xfe80
	v_mov_b32_e32 v20, s7
	v_add_co_u32_e32 v12, vcc, s6, v52
	v_addc_co_u32_e32 v13, vcc, v53, v20, vcc
	s_waitcnt lgkmcnt(0)
	v_fma_f64 v[4:5], -v[10:11], v[8:9], v[4:5]
	v_fma_f64 v[8:9], -v[16:17], v[2:3], v[0:1]
	v_mov_b32_e32 v0, s3
	ds_read2_b64 v[0:3], v0 offset1:1
	s_add_i32 s3, s11, 0xfffff128
	global_store_dwordx2 v[12:13], v[16:17], off
	v_mov_b32_e32 v12, s3
	ds_read_b64 v[12:13], v12
	s_waitcnt lgkmcnt(1)
	v_mul_f64 v[2:3], v[2:3], v[4:5]
	v_fma_f64 v[4:5], -v[10:11], v[6:7], v[8:9]
	s_mov_b32 s9, s5
	s_lshl_b64 s[6:7], s[8:9], 3
	v_mov_b32_e32 v7, s7
	v_add_co_u32_e32 v6, vcc, s6, v52
	s_sub_i32 s4, s2, 18
	v_addc_co_u32_e32 v7, vcc, v53, v7, vcc
	v_fma_f64 v[0:1], -v[2:3], v[0:1], v[4:5]
	s_lshl_b64 s[6:7], s[4:5], 3
	v_mov_b32_e32 v5, s7
	v_add_co_u32_e32 v4, vcc, s6, v52
	s_mov_b32 s11, s5
	v_addc_co_u32_e32 v5, vcc, v53, v5, vcc
	s_waitcnt lgkmcnt(0)
	v_mul_f64 v[0:1], v[12:13], v[0:1]
	s_lshl_b64 s[4:5], s[10:11], 3
	global_store_dwordx2 v[4:5], v[2:3], off
	v_mov_b32_e32 v3, s5
	v_add_co_u32_e32 v2, vcc, s4, v52
	v_addc_co_u32_e32 v3, vcc, v53, v3, vcc
	s_sub_i32 s2, s2, 20
	global_store_dwordx2 v[6:7], v[10:11], off
	global_store_dwordx2 v[2:3], v[0:1], off
.LBB93_34:
	s_cmp_lt_i32 s2, 0
	s_cbranch_scc1 .LBB93_47
; %bb.35:
	s_bitcmp1_b32 s2, 0
	s_cselect_b64 s[4:5], -1, 0
	s_and_b64 vcc, exec, s[4:5]
	s_mov_b32 s4, s2
	s_cbranch_vccnz .LBB93_40
; %bb.36:
	s_mov_b32 s5, 0
	s_mov_b32 s3, s5
	s_lshl_b64 s[6:7], s[2:3], 3
	v_mov_b32_e32 v1, s7
	v_add_co_u32_e32 v0, vcc, s6, v52
	v_addc_co_u32_e32 v1, vcc, v53, v1, vcc
	global_load_dwordx2 v[2:3], v[0:1], off
	s_cmp_le_i32 s12, s2
	s_waitcnt vmcnt(0)
	v_mul_f64 v[2:3], s[0:1], v[2:3]
	s_cbranch_scc1 .LBB93_39
; %bb.37:
	s_mul_i32 s3, s22, 0xc0
	s_lshl_b32 s4, s2, 3
	s_add_i32 s3, s3, s4
	s_addk_i32 s3, 0xff40
	s_mov_b32 s4, s12
.LBB93_38:                              ; =>This Inner Loop Header: Depth=1
	s_lshl_b64 s[6:7], s[4:5], 3
	v_mov_b32_e32 v5, s7
	v_add_co_u32_e32 v4, vcc, s6, v52
	v_addc_co_u32_e32 v5, vcc, v53, v5, vcc
	global_load_dwordx2 v[4:5], v[4:5], off
	v_mov_b32_e32 v6, s3
	ds_read_b64 v[6:7], v6
	s_add_i32 s4, s4, -1
	s_addk_i32 s3, 0xff40
	s_cmp_gt_i32 s4, s2
	s_waitcnt vmcnt(0) lgkmcnt(0)
	v_fma_f64 v[2:3], -v[4:5], v[6:7], v[2:3]
	s_cbranch_scc1 .LBB93_38
.LBB93_39:
	s_mul_i32 s3, s2, 0xc8
	v_mov_b32_e32 v4, s3
	ds_read_b64 v[4:5], v4
	s_add_i32 s4, s2, -1
	s_waitcnt lgkmcnt(0)
	v_mul_f64 v[2:3], v[4:5], v[2:3]
	global_store_dwordx2 v[0:1], v[2:3], off
.LBB93_40:
	s_cmp_eq_u32 s2, 0
	s_mov_b32 s3, 0
	s_cbranch_scc1 .LBB93_47
; %bb.41:
	s_mul_i32 s2, s22, 0xc0
	s_lshl_b32 s5, s4, 3
	s_add_i32 s2, s2, s5
	s_add_i32 s6, s2, 0xffffff40
	;; [unrolled: 1-line block ×3, first 2 shown]
	s_branch .LBB93_43
.LBB93_42:                              ;   in Loop: Header=BB93_43 Depth=1
	s_add_i32 s2, s5, 0xffffff38
	v_mov_b32_e32 v0, s2
	ds_read_b64 v[0:1], v0
	s_add_i32 s2, s4, -2
	s_add_i32 s6, s6, -16
	;; [unrolled: 1-line block ×3, first 2 shown]
	s_cmp_lt_i32 s4, 2
	s_waitcnt lgkmcnt(0)
	v_mul_f64 v[0:1], v[0:1], v[4:5]
	s_mov_b32 s4, s2
	global_store_dwordx2 v[2:3], v[0:1], off
	s_cbranch_scc1 .LBB93_47
.LBB93_43:                              ; =>This Loop Header: Depth=1
                                        ;     Child Loop BB93_44 Depth 2
                                        ;     Child Loop BB93_46 Depth 2
	s_mov_b32 s5, s3
	s_lshl_b64 s[8:9], s[4:5], 3
	v_mov_b32_e32 v1, s9
	v_add_co_u32_e32 v0, vcc, s8, v52
	v_addc_co_u32_e32 v1, vcc, v53, v1, vcc
	global_load_dwordx2 v[2:3], v[0:1], off
	s_cmp_le_i32 s12, s4
	s_mov_b32 s5, s6
	s_mov_b32 s2, s12
	s_waitcnt vmcnt(0)
	v_mul_f64 v[4:5], s[0:1], v[2:3]
	s_cbranch_scc1 .LBB93_45
.LBB93_44:                              ;   Parent Loop BB93_43 Depth=1
                                        ; =>  This Inner Loop Header: Depth=2
	s_lshl_b64 s[8:9], s[2:3], 3
	v_mov_b32_e32 v3, s9
	v_add_co_u32_e32 v2, vcc, s8, v52
	v_addc_co_u32_e32 v3, vcc, v53, v3, vcc
	global_load_dwordx2 v[2:3], v[2:3], off
	v_mov_b32_e32 v6, s5
	ds_read_b64 v[6:7], v6
	s_add_i32 s2, s2, -1
	s_addk_i32 s5, 0xff40
	s_cmp_gt_i32 s2, s4
	s_waitcnt vmcnt(0) lgkmcnt(0)
	v_fma_f64 v[4:5], -v[2:3], v[6:7], v[4:5]
	s_cbranch_scc1 .LBB93_44
.LBB93_45:                              ;   in Loop: Header=BB93_43 Depth=1
	s_add_i32 s2, s4, -1
	s_lshl_b64 s[8:9], s[2:3], 3
	v_mov_b32_e32 v3, s9
	v_add_co_u32_e32 v2, vcc, s8, v52
	v_addc_co_u32_e32 v3, vcc, v53, v3, vcc
	global_load_dwordx2 v[6:7], v[2:3], off
	s_mul_i32 s5, s4, 0xc8
	v_mov_b32_e32 v8, s5
	ds_read_b64 v[8:9], v8
	s_cmp_le_i32 s22, s4
	s_mov_b32 s8, s7
	s_mov_b32 s2, s22
	s_waitcnt lgkmcnt(0)
	v_mul_f64 v[8:9], v[8:9], v[4:5]
	global_store_dwordx2 v[0:1], v[8:9], off
	s_waitcnt vmcnt(1)
	v_mul_f64 v[4:5], s[0:1], v[6:7]
	s_cbranch_scc1 .LBB93_42
.LBB93_46:                              ;   Parent Loop BB93_43 Depth=1
                                        ; =>  This Inner Loop Header: Depth=2
	s_add_i32 s2, s2, -1
	s_lshl_b64 s[10:11], s[2:3], 3
	v_mov_b32_e32 v1, s11
	v_add_co_u32_e32 v0, vcc, s10, v52
	v_addc_co_u32_e32 v1, vcc, v53, v1, vcc
	global_load_dwordx2 v[0:1], v[0:1], off
	v_mov_b32_e32 v6, s8
	ds_read_b64 v[6:7], v6
	s_addk_i32 s8, 0xff40
	s_cmp_gt_i32 s2, s4
	s_waitcnt vmcnt(0) lgkmcnt(0)
	v_fma_f64 v[4:5], -v[0:1], v[6:7], v[4:5]
	s_cbranch_scc1 .LBB93_46
	s_branch .LBB93_42
.LBB93_47:
	s_endpgm
	.section	.rodata,"a",@progbits
	.p2align	6, 0x0
	.amdhsa_kernel _ZL30rocblas_trsm_small_left_deviceILi24ELi24ELb0EddPKdPdEv13rocblas_fill_18rocblas_operation_17rocblas_diagonal_iiT3_T4_lilT5_lili
		.amdhsa_group_segment_fixed_size 4608
		.amdhsa_private_segment_fixed_size 0
		.amdhsa_kernarg_size 360
		.amdhsa_user_sgpr_count 6
		.amdhsa_user_sgpr_private_segment_buffer 1
		.amdhsa_user_sgpr_dispatch_ptr 0
		.amdhsa_user_sgpr_queue_ptr 0
		.amdhsa_user_sgpr_kernarg_segment_ptr 1
		.amdhsa_user_sgpr_dispatch_id 0
		.amdhsa_user_sgpr_flat_scratch_init 0
		.amdhsa_user_sgpr_private_segment_size 0
		.amdhsa_uses_dynamic_stack 0
		.amdhsa_system_sgpr_private_segment_wavefront_offset 0
		.amdhsa_system_sgpr_workgroup_id_x 1
		.amdhsa_system_sgpr_workgroup_id_y 0
		.amdhsa_system_sgpr_workgroup_id_z 1
		.amdhsa_system_sgpr_workgroup_info 0
		.amdhsa_system_vgpr_workitem_id 0
		.amdhsa_next_free_vgpr 84
		.amdhsa_next_free_sgpr 98
		.amdhsa_reserve_vcc 1
		.amdhsa_reserve_flat_scratch 0
		.amdhsa_float_round_mode_32 0
		.amdhsa_float_round_mode_16_64 0
		.amdhsa_float_denorm_mode_32 3
		.amdhsa_float_denorm_mode_16_64 3
		.amdhsa_dx10_clamp 1
		.amdhsa_ieee_mode 1
		.amdhsa_fp16_overflow 0
		.amdhsa_exception_fp_ieee_invalid_op 0
		.amdhsa_exception_fp_denorm_src 0
		.amdhsa_exception_fp_ieee_div_zero 0
		.amdhsa_exception_fp_ieee_overflow 0
		.amdhsa_exception_fp_ieee_underflow 0
		.amdhsa_exception_fp_ieee_inexact 0
		.amdhsa_exception_int_div_zero 0
	.end_amdhsa_kernel
	.section	.text._ZL30rocblas_trsm_small_left_deviceILi24ELi24ELb0EddPKdPdEv13rocblas_fill_18rocblas_operation_17rocblas_diagonal_iiT3_T4_lilT5_lili,"axG",@progbits,_ZL30rocblas_trsm_small_left_deviceILi24ELi24ELb0EddPKdPdEv13rocblas_fill_18rocblas_operation_17rocblas_diagonal_iiT3_T4_lilT5_lili,comdat
.Lfunc_end93:
	.size	_ZL30rocblas_trsm_small_left_deviceILi24ELi24ELb0EddPKdPdEv13rocblas_fill_18rocblas_operation_17rocblas_diagonal_iiT3_T4_lilT5_lili, .Lfunc_end93-_ZL30rocblas_trsm_small_left_deviceILi24ELi24ELb0EddPKdPdEv13rocblas_fill_18rocblas_operation_17rocblas_diagonal_iiT3_T4_lilT5_lili
                                        ; -- End function
	.set _ZL30rocblas_trsm_small_left_deviceILi24ELi24ELb0EddPKdPdEv13rocblas_fill_18rocblas_operation_17rocblas_diagonal_iiT3_T4_lilT5_lili.num_vgpr, 84
	.set _ZL30rocblas_trsm_small_left_deviceILi24ELi24ELb0EddPKdPdEv13rocblas_fill_18rocblas_operation_17rocblas_diagonal_iiT3_T4_lilT5_lili.num_agpr, 0
	.set _ZL30rocblas_trsm_small_left_deviceILi24ELi24ELb0EddPKdPdEv13rocblas_fill_18rocblas_operation_17rocblas_diagonal_iiT3_T4_lilT5_lili.numbered_sgpr, 30
	.set _ZL30rocblas_trsm_small_left_deviceILi24ELi24ELb0EddPKdPdEv13rocblas_fill_18rocblas_operation_17rocblas_diagonal_iiT3_T4_lilT5_lili.num_named_barrier, 0
	.set _ZL30rocblas_trsm_small_left_deviceILi24ELi24ELb0EddPKdPdEv13rocblas_fill_18rocblas_operation_17rocblas_diagonal_iiT3_T4_lilT5_lili.private_seg_size, 0
	.set _ZL30rocblas_trsm_small_left_deviceILi24ELi24ELb0EddPKdPdEv13rocblas_fill_18rocblas_operation_17rocblas_diagonal_iiT3_T4_lilT5_lili.uses_vcc, 1
	.set _ZL30rocblas_trsm_small_left_deviceILi24ELi24ELb0EddPKdPdEv13rocblas_fill_18rocblas_operation_17rocblas_diagonal_iiT3_T4_lilT5_lili.uses_flat_scratch, 0
	.set _ZL30rocblas_trsm_small_left_deviceILi24ELi24ELb0EddPKdPdEv13rocblas_fill_18rocblas_operation_17rocblas_diagonal_iiT3_T4_lilT5_lili.has_dyn_sized_stack, 0
	.set _ZL30rocblas_trsm_small_left_deviceILi24ELi24ELb0EddPKdPdEv13rocblas_fill_18rocblas_operation_17rocblas_diagonal_iiT3_T4_lilT5_lili.has_recursion, 0
	.set _ZL30rocblas_trsm_small_left_deviceILi24ELi24ELb0EddPKdPdEv13rocblas_fill_18rocblas_operation_17rocblas_diagonal_iiT3_T4_lilT5_lili.has_indirect_call, 0
	.section	.AMDGPU.csdata,"",@progbits
; Kernel info:
; codeLenInByte = 19584
; TotalNumSgprs: 34
; NumVgprs: 84
; ScratchSize: 0
; MemoryBound: 1
; FloatMode: 240
; IeeeMode: 1
; LDSByteSize: 4608 bytes/workgroup (compile time only)
; SGPRBlocks: 12
; VGPRBlocks: 20
; NumSGPRsForWavesPerEU: 102
; NumVGPRsForWavesPerEU: 84
; Occupancy: 3
; WaveLimiterHint : 1
; COMPUTE_PGM_RSRC2:SCRATCH_EN: 0
; COMPUTE_PGM_RSRC2:USER_SGPR: 6
; COMPUTE_PGM_RSRC2:TRAP_HANDLER: 0
; COMPUTE_PGM_RSRC2:TGID_X_EN: 1
; COMPUTE_PGM_RSRC2:TGID_Y_EN: 0
; COMPUTE_PGM_RSRC2:TGID_Z_EN: 1
; COMPUTE_PGM_RSRC2:TIDIG_COMP_CNT: 0
	.section	.text._ZL38rocblas_trsm_small_left_device_sharedBILi24ELi24ELb1EddPKdPdEv13rocblas_fill_18rocblas_operation_17rocblas_diagonal_iiT3_T4_lilT5_lili,"axG",@progbits,_ZL38rocblas_trsm_small_left_device_sharedBILi24ELi24ELb1EddPKdPdEv13rocblas_fill_18rocblas_operation_17rocblas_diagonal_iiT3_T4_lilT5_lili,comdat
	.globl	_ZL38rocblas_trsm_small_left_device_sharedBILi24ELi24ELb1EddPKdPdEv13rocblas_fill_18rocblas_operation_17rocblas_diagonal_iiT3_T4_lilT5_lili ; -- Begin function _ZL38rocblas_trsm_small_left_device_sharedBILi24ELi24ELb1EddPKdPdEv13rocblas_fill_18rocblas_operation_17rocblas_diagonal_iiT3_T4_lilT5_lili
	.p2align	8
	.type	_ZL38rocblas_trsm_small_left_device_sharedBILi24ELi24ELb1EddPKdPdEv13rocblas_fill_18rocblas_operation_17rocblas_diagonal_iiT3_T4_lilT5_lili,@function
_ZL38rocblas_trsm_small_left_device_sharedBILi24ELi24ELb1EddPKdPdEv13rocblas_fill_18rocblas_operation_17rocblas_diagonal_iiT3_T4_lilT5_lili: ; @_ZL38rocblas_trsm_small_left_device_sharedBILi24ELi24ELb1EddPKdPdEv13rocblas_fill_18rocblas_operation_17rocblas_diagonal_iiT3_T4_lilT5_lili
; %bb.0:
	s_load_dwordx4 s[8:11], s[4:5], 0x4
	s_load_dwordx4 s[12:15], s[4:5], 0x18
	s_load_dwordx2 s[20:21], s[4:5], 0x28
	s_load_dwordx4 s[0:3], s[4:5], 0x38
	s_load_dwordx2 s[16:17], s[4:5], 0x48
	s_waitcnt lgkmcnt(0)
	s_min_i32 s22, s10, 24
	v_cmp_gt_i32_e32 vcc, s22, v0
	s_and_saveexec_b64 s[18:19], vcc
	s_cbranch_execz .LBB94_6
; %bb.1:
	s_load_dword s24, s[4:5], 0x30
	s_mul_i32 s1, s1, s7
	s_mul_hi_u32 s23, s0, s7
	s_mul_i32 s0, s0, s7
	s_add_i32 s1, s23, s1
	s_waitcnt lgkmcnt(0)
	s_ashr_i32 s25, s24, 31
	s_lshl_b64 s[0:1], s[0:1], 3
	s_add_u32 s14, s14, s0
	s_addc_u32 s15, s15, s1
	s_lshl_b64 s[0:1], s[20:21], 3
	s_add_u32 s0, s14, s0
	s_addc_u32 s1, s15, s1
	v_lshlrev_b32_e32 v3, 3, v0
	v_mov_b32_e32 v2, s1
	v_add_co_u32_e32 v1, vcc, s0, v3
	s_lshl_b64 s[0:1], s[24:25], 3
	v_addc_co_u32_e32 v2, vcc, 0, v2, vcc
	v_mov_b32_e32 v4, s1
	v_mov_b32_e32 v5, v3
	s_mov_b32 s1, s22
.LBB94_2:                               ; =>This Inner Loop Header: Depth=1
	global_load_dwordx2 v[6:7], v[1:2], off
	v_add_co_u32_e32 v1, vcc, s0, v1
	s_add_i32 s1, s1, -1
	v_addc_co_u32_e32 v2, vcc, v2, v4, vcc
	s_cmp_eq_u32 s1, 0
	s_waitcnt vmcnt(0)
	ds_write_b64 v5, v[6:7]
	v_add_u32_e32 v5, 0xc0, v5
	s_cbranch_scc0 .LBB94_2
; %bb.3:
	v_mul_u32_u24_e32 v4, 0xc0, v0
	v_mov_b32_e32 v1, 0
	s_cmpk_lg_i32 s9, 0x84
	v_mov_b32_e32 v2, 0x3ff00000
	v_add_u32_e32 v3, v3, v4
	s_cbranch_scc0 .LBB94_5
; %bb.4:
	ds_read_b64 v[1:2], v3
	s_waitcnt lgkmcnt(0)
	v_div_scale_f64 v[4:5], s[0:1], v[1:2], v[1:2], 1.0
	v_div_scale_f64 v[10:11], vcc, 1.0, v[1:2], 1.0
	v_rcp_f64_e32 v[6:7], v[4:5]
	v_fma_f64 v[8:9], -v[4:5], v[6:7], 1.0
	v_fma_f64 v[6:7], v[6:7], v[8:9], v[6:7]
	v_fma_f64 v[8:9], -v[4:5], v[6:7], 1.0
	v_fma_f64 v[6:7], v[6:7], v[8:9], v[6:7]
	v_mul_f64 v[8:9], v[10:11], v[6:7]
	v_fma_f64 v[4:5], -v[4:5], v[8:9], v[10:11]
	v_div_fmas_f64 v[4:5], v[4:5], v[6:7], v[8:9]
	v_div_fixup_f64 v[1:2], v[4:5], v[1:2], 1.0
.LBB94_5:
	ds_write_b64 v3, v[1:2]
.LBB94_6:
	s_or_b64 exec, exec, s[18:19]
	s_load_dword s0, s[4:5], 0x68
	s_load_dwordx2 s[14:15], s[4:5], 0x58
	s_load_dword s9, s[4:5], 0x50
	s_waitcnt lgkmcnt(0)
	s_mul_i32 s1, s15, s7
	s_mul_hi_u32 s5, s14, s7
	s_mul_i32 s4, s14, s7
	s_add_i32 s5, s5, s1
	s_lshl_b64 s[4:5], s[4:5], 3
	s_add_u32 s1, s2, s4
	s_addc_u32 s4, s3, s5
	s_lshl_b64 s[2:3], s[16:17], 3
	s_add_u32 s2, s1, s2
	s_mul_i32 s1, s6, 0xffffffe8
	s_addc_u32 s3, s4, s3
	s_add_i32 s0, s0, -1
	s_add_i32 s1, s11, s1
	s_cmp_ge_u32 s6, s0
	s_mul_i32 s6, s6, 24
	s_cselect_b32 s4, s1, 24
	s_mul_hi_i32 s1, s9, s6
	s_mul_i32 s0, s9, s6
	s_lshl_b64 s[0:1], s[0:1], 3
	s_add_u32 s6, s2, s0
	s_addc_u32 s7, s3, s1
	s_cmp_gt_i32 s10, 0
	v_cmp_gt_i32_e64 s[0:1], s4, v0
	s_cselect_b64 s[2:3], -1, 0
	s_and_b64 s[14:15], s[0:1], s[2:3]
	s_and_saveexec_b64 s[4:5], s[14:15]
	s_cbranch_execz .LBB94_9
; %bb.7:
	v_mad_i64_i32 v[1:2], s[14:15], s9, v0, 0
	v_mov_b32_e32 v3, s7
	s_mov_b32 s11, s22
	v_lshlrev_b64 v[1:2], 3, v[1:2]
	v_add_co_u32_e32 v1, vcc, s6, v1
	v_addc_co_u32_e32 v2, vcc, v3, v2, vcc
	v_mov_b32_e32 v3, 0x1200
	v_lshl_or_b32 v3, v0, 3, v3
.LBB94_8:                               ; =>This Inner Loop Header: Depth=1
	global_load_dwordx2 v[4:5], v[1:2], off
	s_add_i32 s11, s11, -1
	v_add_co_u32_e32 v1, vcc, 8, v1
	v_addc_co_u32_e32 v2, vcc, 0, v2, vcc
	s_cmp_lg_u32 s11, 0
	s_waitcnt vmcnt(0)
	v_mul_f64 v[4:5], s[12:13], v[4:5]
	ds_write_b64 v3, v[4:5]
	v_add_u32_e32 v3, 0xc0, v3
	s_cbranch_scc1 .LBB94_8
.LBB94_9:
	s_or_b64 exec, exec, s[4:5]
	v_mov_b32_e32 v1, 0x1200
	s_cmpk_eq_i32 s8, 0x6f
	v_lshl_or_b32 v77, v0, 3, v1
	s_mov_b64 s[4:5], -1
	s_waitcnt lgkmcnt(0)
	; wave barrier
	s_cbranch_scc1 .LBB94_32
; %bb.10:
	s_add_i32 s4, s22, -1
	s_cmp_gt_i32 s10, 23
	s_mov_b32 s5, s4
	s_cbranch_scc0 .LBB94_12
; %bb.11:
	s_movk_i32 s5, 0x1000
	v_add_u32_e32 v31, 0x1000, v77
	v_add_u32_e64 v1, s5, 0
	ds_read2_b64 v[3:6], v31 offset0:16 offset1:40
	ds_read2_b64 v[7:10], v1 offset0:15 offset1:63
	v_mov_b32_e32 v33, 0
	v_add_u32_e32 v32, 0x800, v77
	ds_read2_b64 v[17:20], v32 offset0:224 offset1:248
	s_movk_i32 s8, 0x800
	s_waitcnt lgkmcnt(1)
	v_mul_f64 v[1:2], v[9:10], v[5:6]
	ds_read_b128 v[9:12], v33 offset:4400
	v_mov_b32_e32 v5, 0x1068
	ds_read2_b64 v[13:16], v5 offset1:1
	v_add_u32_e64 v57, s8, 0
	v_mov_b32_e32 v27, 0xee8
	v_mov_b32_e32 v39, 0xed8
	;; [unrolled: 1-line block ×3, first 2 shown]
	s_waitcnt lgkmcnt(1)
	v_fma_f64 v[3:4], -v[1:2], v[11:12], v[3:4]
	v_fma_f64 v[23:24], -v[1:2], v[7:8], v[19:20]
	ds_read_b128 v[5:8], v33 offset:4016
	v_mov_b32_e32 v54, 0xd58
	v_mov_b32_e32 v55, 0xd48
	;; [unrolled: 1-line block ×4, first 2 shown]
	s_waitcnt lgkmcnt(0)
	v_fma_f64 v[7:8], -v[1:2], v[7:8], v[17:18]
	v_mul_f64 v[3:4], v[9:10], v[3:4]
	ds_read2_b64 v[9:12], v32 offset0:176 offset1:200
	ds_read_b128 v[19:22], v33 offset:4000
	v_mov_b32_e32 v64, 0xbc8
	v_mov_b32_e32 v73, 0xbb8
	;; [unrolled: 1-line block ×3, first 2 shown]
	v_add_u32_e32 v34, 0x400, v77
	v_mov_b32_e32 v75, 0xa58
	v_mov_b32_e32 v76, 0xa48
	v_fma_f64 v[23:24], -v[3:4], v[15:16], v[23:24]
	ds_read2_b64 v[15:18], v57 offset0:175 offset1:223
	v_fma_f64 v[7:8], -v[3:4], v[5:6], v[7:8]
	s_movk_i32 s5, 0x400
	v_mov_b32_e32 v78, 0x8e8
	s_waitcnt lgkmcnt(0)
	v_fma_f64 v[17:18], -v[1:2], v[17:18], v[11:12]
	v_mul_f64 v[5:6], v[13:14], v[23:24]
	ds_read_b128 v[11:14], v33 offset:3616
	ds_read_b128 v[23:26], v33 offset:3632
	ds_read2_b64 v[27:30], v27 offset1:1
	ds_read2_b64 v[35:38], v32 offset0:128 offset1:152
	ds_read2_b64 v[39:42], v39 offset1:1
	ds_read_b128 v[43:46], v33 offset:3600
	ds_read_b128 v[47:50], v33 offset:3248
	s_waitcnt lgkmcnt(5)
	v_fma_f64 v[9:10], -v[1:2], v[25:26], v[9:10]
	s_waitcnt lgkmcnt(4)
	v_fma_f64 v[17:18], -v[3:4], v[29:30], v[17:18]
	s_waitcnt lgkmcnt(3)
	v_fma_f64 v[37:38], -v[1:2], v[15:16], v[37:38]
	v_fma_f64 v[7:8], -v[5:6], v[21:22], v[7:8]
	s_waitcnt lgkmcnt(0)
	v_fma_f64 v[61:62], -v[1:2], v[49:50], v[35:36]
	v_fma_f64 v[9:10], -v[3:4], v[23:24], v[9:10]
	;; [unrolled: 1-line block ×3, first 2 shown]
	v_mul_f64 v[7:8], v[19:20], v[7:8]
	ds_read2_b64 v[15:18], v53 offset1:1
	ds_read2_b64 v[19:22], v32 offset0:80 offset1:104
	ds_read2_b64 v[23:26], v54 offset1:1
	ds_read2_b64 v[27:30], v57 offset0:79 offset1:127
	s_waitcnt lgkmcnt(3)
	v_fma_f64 v[17:18], -v[3:4], v[17:18], v[37:38]
	v_fma_f64 v[9:10], -v[5:6], v[13:14], v[9:10]
	s_waitcnt lgkmcnt(0)
	v_fma_f64 v[21:22], -v[1:2], v[29:30], v[21:22]
	v_fma_f64 v[29:30], -v[3:4], v[47:48], v[61:62]
	;; [unrolled: 1-line block ×3, first 2 shown]
	ds_read2_b64 v[35:38], v55 offset1:1
	ds_read2_b64 v[49:52], v56 offset1:1
	ds_read_b128 v[53:56], v33 offset:3200
	ds_read_b128 v[57:60], v33 offset:2864
	v_fma_f64 v[47:48], -v[5:6], v[15:16], v[17:18]
	v_fma_f64 v[61:62], -v[7:8], v[11:12], v[9:10]
	s_waitcnt lgkmcnt(0)
	v_fma_f64 v[67:68], -v[1:2], v[59:60], v[19:20]
	v_fma_f64 v[51:52], -v[3:4], v[51:52], v[21:22]
	v_mul_f64 v[9:10], v[39:40], v[13:14]
	ds_read_b128 v[11:14], v33 offset:3232
	ds_read2_b64 v[15:18], v32 offset0:32 offset1:56
	ds_read_b128 v[39:42], v33 offset:3216
	v_fma_f64 v[25:26], -v[7:8], v[25:26], v[47:48]
	s_waitcnt lgkmcnt(2)
	v_fma_f64 v[13:14], -v[5:6], v[13:14], v[29:30]
	s_waitcnt lgkmcnt(1)
	v_fma_f64 v[17:18], -v[1:2], v[27:28], v[17:18]
	v_fma_f64 v[69:70], -v[5:6], v[49:50], v[51:52]
	;; [unrolled: 1-line block ×3, first 2 shown]
	ds_read2_b64 v[19:22], v63 offset1:1
	ds_read2_b64 v[45:48], v64 offset1:1
	ds_read_b128 v[59:62], v33 offset:2832
	ds_read_b128 v[63:66], v33 offset:2848
	v_fma_f64 v[71:72], -v[9:10], v[23:24], v[25:26]
	v_fma_f64 v[13:14], -v[7:8], v[11:12], v[13:14]
	s_waitcnt lgkmcnt(3)
	v_fma_f64 v[21:22], -v[7:8], v[21:22], v[69:70]
	v_mul_f64 v[11:12], v[43:44], v[29:30]
	v_fma_f64 v[43:44], -v[3:4], v[57:58], v[67:68]
	ds_read2_b64 v[23:26], v73 offset1:1
	ds_read2_b64 v[27:30], v74 offset1:1
	ds_read_b128 v[49:52], v33 offset:2480
	v_mov_b32_e32 v69, 0x8d8
	v_fma_f64 v[13:14], -v[9:10], v[41:42], v[13:14]
	s_waitcnt lgkmcnt(1)
	v_fma_f64 v[17:18], -v[3:4], v[29:30], v[17:18]
	s_waitcnt lgkmcnt(0)
	v_fma_f64 v[15:16], -v[1:2], v[51:52], v[15:16]
	v_fma_f64 v[37:38], -v[11:12], v[37:38], v[71:72]
	;; [unrolled: 1-line block ×4, first 2 shown]
	ds_read_b128 v[41:44], v33 offset:2464
	v_fma_f64 v[39:40], -v[11:12], v[39:40], v[13:14]
	v_fma_f64 v[17:18], -v[5:6], v[27:28], v[17:18]
	;; [unrolled: 1-line block ×3, first 2 shown]
	v_mul_f64 v[13:14], v[35:36], v[37:38]
	v_fma_f64 v[57:58], -v[7:8], v[63:64], v[57:58]
	ds_read2_b64 v[19:22], v34 offset0:112 offset1:136
	ds_read2_b64 v[27:30], v75 offset1:1
	ds_read2_b64 v[35:38], v76 offset1:1
	v_fma_f64 v[51:52], -v[11:12], v[47:48], v[51:52]
	s_waitcnt lgkmcnt(1)
	v_fma_f64 v[17:18], -v[7:8], v[29:30], v[17:18]
	v_add_u32_e64 v29, s5, 0
	v_fma_f64 v[39:40], -v[13:14], v[55:56], v[39:40]
	v_fma_f64 v[61:62], -v[9:10], v[61:62], v[57:58]
	ds_read_b128 v[47:50], v33 offset:2800
	ds_read_b128 v[55:58], v33 offset:2816
	v_fma_f64 v[63:64], -v[5:6], v[43:44], v[15:16]
	v_fma_f64 v[65:66], -v[13:14], v[45:46], v[51:52]
	ds_read2_b64 v[43:46], v29 offset0:111 offset1:159
	v_fma_f64 v[17:18], -v[9:10], v[27:28], v[17:18]
	s_mov_b32 s5, -1
	v_mul_f64 v[15:16], v[53:54], v[39:40]
	v_fma_f64 v[39:40], -v[11:12], v[59:60], v[61:62]
	s_waitcnt lgkmcnt(0)
	v_fma_f64 v[21:22], -v[1:2], v[45:46], v[21:22]
	ds_read_b128 v[27:30], v33 offset:2448
	ds_read_b128 v[51:54], v33 offset:2432
	v_fma_f64 v[67:68], -v[7:8], v[41:42], v[63:64]
	v_fma_f64 v[37:38], -v[11:12], v[37:38], v[17:18]
	v_fma_f64 v[25:26], -v[15:16], v[25:26], v[65:66]
	v_fma_f64 v[45:46], -v[13:14], v[57:58], v[39:40]
	ds_read2_b64 v[39:42], v78 offset1:1
	ds_read2_b64 v[57:60], v69 offset1:1
	ds_read_b128 v[61:64], v33 offset:2096
	s_waitcnt lgkmcnt(4)
	v_fma_f64 v[29:30], -v[9:10], v[29:30], v[67:68]
	s_waitcnt lgkmcnt(2)
	v_fma_f64 v[41:42], -v[3:4], v[41:42], v[21:22]
	v_mul_f64 v[17:18], v[23:24], v[25:26]
	v_fma_f64 v[45:46], -v[15:16], v[55:56], v[45:46]
	v_fma_f64 v[55:56], -v[13:14], v[35:36], v[37:38]
	v_mov_b32_e32 v35, 0xa28
	ds_read2_b64 v[35:38], v35 offset1:1
	s_waitcnt lgkmcnt(1)
	v_fma_f64 v[19:20], -v[1:2], v[63:64], v[19:20]
	v_fma_f64 v[39:40], -v[5:6], v[39:40], v[41:42]
	;; [unrolled: 1-line block ×3, first 2 shown]
	ds_read_b128 v[21:24], v33 offset:2080
	v_mov_b32_e32 v25, 0xa38
	ds_read2_b64 v[25:28], v25 offset1:1
	v_fma_f64 v[41:42], -v[17:18], v[49:50], v[45:46]
	v_fma_f64 v[19:20], -v[3:4], v[61:62], v[19:20]
	;; [unrolled: 1-line block ×4, first 2 shown]
	s_waitcnt lgkmcnt(0)
	v_fma_f64 v[45:46], -v[15:16], v[27:28], v[55:56]
	ds_read2_b64 v[27:30], v77 offset0:192 offset1:216
	v_fma_f64 v[53:54], -v[5:6], v[23:24], v[19:20]
	v_fma_f64 v[55:56], -v[9:10], v[57:58], v[39:40]
	v_mov_b32_e32 v39, 0x8c8
	v_mul_f64 v[19:20], v[47:48], v[41:42]
	ds_read2_b64 v[39:42], v39 offset1:1
	s_waitcnt lgkmcnt(1)
	v_fma_f64 v[29:30], -v[1:2], v[43:44], v[29:30]
	v_fma_f64 v[59:60], -v[17:18], v[25:26], v[45:46]
	v_fma_f64 v[61:62], -v[15:16], v[51:52], v[49:50]
	v_fma_f64 v[21:22], -v[7:8], v[21:22], v[53:54]
	ds_read_b128 v[23:26], v33 offset:2416
	ds_read_b128 v[45:48], v33 offset:2064
	v_mov_b32_e32 v49, 0x8b8
	ds_read2_b64 v[49:52], v49 offset1:1
	s_waitcnt lgkmcnt(3)
	v_fma_f64 v[63:64], -v[11:12], v[41:42], v[55:56]
	ds_read2_b64 v[41:44], v33 offset0:237 offset1:238
	ds_read_b128 v[53:56], v33 offset:2048
	s_waitcnt lgkmcnt(4)
	v_fma_f64 v[25:26], -v[17:18], v[25:26], v[61:62]
	s_waitcnt lgkmcnt(3)
	v_fma_f64 v[21:22], -v[9:10], v[47:48], v[21:22]
	v_fma_f64 v[37:38], -v[19:20], v[37:38], v[59:60]
	s_waitcnt lgkmcnt(1)
	v_fma_f64 v[29:30], -v[3:4], v[43:44], v[29:30]
	ds_read_b128 v[57:60], v33 offset:2400
	v_fma_f64 v[39:40], -v[13:14], v[39:40], v[63:64]
	v_fma_f64 v[43:44], -v[11:12], v[45:46], v[21:22]
	;; [unrolled: 1-line block ×4, first 2 shown]
	ds_read2_b64 v[23:26], v33 offset0:235 offset1:236
	v_mul_f64 v[21:22], v[35:36], v[37:38]
	v_fma_f64 v[47:48], -v[15:16], v[51:52], v[39:40]
	ds_read2_b64 v[35:38], v33 offset0:233 offset1:234
	ds_read_b128 v[39:42], v33 offset:1712
	s_waitcnt lgkmcnt(4)
	v_fma_f64 v[51:52], -v[13:14], v[55:56], v[43:44]
	s_waitcnt lgkmcnt(2)
	v_fma_f64 v[29:30], -v[7:8], v[25:26], v[29:30]
	;; [unrolled: 2-line block ×3, first 2 shown]
	v_fma_f64 v[55:56], -v[21:22], v[59:60], v[45:46]
	v_fma_f64 v[59:60], -v[17:18], v[49:50], v[47:48]
	v_mov_b32_e32 v25, 0x8a8
	ds_read2_b64 v[25:28], v25 offset1:1
	v_fma_f64 v[61:62], -v[15:16], v[53:54], v[51:52]
	ds_read_b128 v[47:50], v33 offset:2032
	v_fma_f64 v[23:24], -v[9:10], v[23:24], v[29:30]
	v_fma_f64 v[41:42], -v[3:4], v[39:40], v[41:42]
	ds_read_b128 v[43:46], v33 offset:1696
	v_mov_b32_e32 v29, 0x898
	ds_read2_b64 v[51:54], v29 offset1:1
	s_waitcnt lgkmcnt(3)
	v_fma_f64 v[63:64], -v[19:20], v[27:28], v[59:60]
	s_waitcnt lgkmcnt(2)
	v_fma_f64 v[49:50], -v[17:18], v[49:50], v[61:62]
	ds_read_b128 v[27:30], v33 offset:2016
	v_fma_f64 v[65:66], -v[11:12], v[37:38], v[23:24]
	ds_read2_b64 v[37:40], v77 offset0:144 offset1:168
	ds_read2_b64 v[59:62], v33 offset0:143 offset1:191
	s_waitcnt lgkmcnt(4)
	v_fma_f64 v[67:68], -v[5:6], v[45:46], v[41:42]
	v_mul_f64 v[23:24], v[57:58], v[55:56]
	v_fma_f64 v[25:26], -v[21:22], v[25:26], v[63:64]
	s_waitcnt lgkmcnt(0)
	v_fma_f64 v[69:70], -v[1:2], v[61:62], v[39:40]
	v_fma_f64 v[49:50], -v[19:20], v[47:48], v[49:50]
	;; [unrolled: 1-line block ×3, first 2 shown]
	ds_read2_b64 v[39:42], v33 offset0:189 offset1:190
	ds_read2_b64 v[45:48], v33 offset0:231 offset1:232
	;; [unrolled: 1-line block ×3, first 2 shown]
	v_fma_f64 v[71:72], -v[7:8], v[43:44], v[67:68]
	ds_read_b128 v[61:64], v33 offset:1680
	ds_read2_b64 v[65:68], v33 offset0:187 offset1:188
	v_fma_f64 v[25:26], -v[23:24], v[53:54], v[25:26]
	s_waitcnt lgkmcnt(4)
	v_fma_f64 v[69:70], -v[3:4], v[41:42], v[69:70]
	v_fma_f64 v[29:30], -v[21:22], v[29:30], v[49:50]
	s_waitcnt lgkmcnt(3)
	v_fma_f64 v[35:36], -v[15:16], v[47:48], v[35:36]
	ds_read_b128 v[41:44], v33 offset:1664
	s_waitcnt lgkmcnt(2)
	v_fma_f64 v[47:48], -v[9:10], v[63:64], v[71:72]
	v_mul_f64 v[25:26], v[51:52], v[25:26]
	v_fma_f64 v[39:40], -v[5:6], v[39:40], v[69:70]
	v_fma_f64 v[35:36], -v[17:18], v[45:46], v[35:36]
	;; [unrolled: 1-line block ×4, first 2 shown]
	ds_read_b128 v[27:30], v33 offset:1328
	ds_read_b128 v[45:48], v33 offset:2000
	;; [unrolled: 1-line block ×3, first 2 shown]
	s_waitcnt lgkmcnt(4)
	v_fma_f64 v[39:40], -v[7:8], v[67:68], v[39:40]
	v_fma_f64 v[35:36], -v[19:20], v[57:58], v[35:36]
	s_waitcnt lgkmcnt(2)
	v_fma_f64 v[29:30], -v[1:2], v[29:30], v[37:38]
	v_fma_f64 v[43:44], -v[13:14], v[43:44], v[53:54]
	;; [unrolled: 3-line block ×3, first 2 shown]
	v_fma_f64 v[65:66], -v[21:22], v[55:56], v[35:36]
	ds_read2_b64 v[35:38], v33 offset0:227 offset1:228
	ds_read2_b64 v[53:56], v33 offset0:185 offset1:186
	v_fma_f64 v[27:28], -v[3:4], v[27:28], v[29:30]
	v_fma_f64 v[29:30], -v[15:16], v[41:42], v[43:44]
	ds_read_b128 v[39:42], v33 offset:1648
	ds_read2_b64 v[61:64], v33 offset0:183 offset1:184
	s_waitcnt lgkmcnt(2)
	v_fma_f64 v[69:70], -v[11:12], v[55:56], v[57:58]
	ds_read2_b64 v[55:58], v33 offset0:225 offset1:226
	v_fma_f64 v[37:38], -v[23:24], v[37:38], v[65:66]
	v_fma_f64 v[51:52], -v[5:6], v[51:52], v[27:28]
	s_waitcnt lgkmcnt(2)
	v_fma_f64 v[29:30], -v[17:18], v[41:42], v[29:30]
	ds_read2_b64 v[41:44], v77 offset0:96 offset1:120
	ds_read_b128 v[65:68], v33 offset:1632
	v_mul_f64 v[27:28], v[45:46], v[47:48]
	v_fma_f64 v[53:54], -v[13:14], v[53:54], v[69:70]
	s_waitcnt lgkmcnt(1)
	v_fma_f64 v[59:60], -v[1:2], v[59:60], v[43:44]
	v_fma_f64 v[69:70], -v[25:26], v[35:36], v[37:38]
	v_fma_f64 v[51:52], -v[7:8], v[49:50], v[51:52]
	ds_read2_b64 v[35:38], v33 offset0:141 offset1:142
	ds_read_b128 v[43:46], v33 offset:1296
	v_fma_f64 v[29:30], -v[19:20], v[39:40], v[29:30]
	ds_read_b128 v[47:50], v33 offset:1280
	v_fma_f64 v[39:40], -v[15:16], v[63:64], v[53:54]
	s_waitcnt lgkmcnt(2)
	v_fma_f64 v[59:60], -v[3:4], v[37:38], v[59:60]
	v_fma_f64 v[73:74], -v[27:28], v[57:58], v[69:70]
	s_waitcnt lgkmcnt(1)
	v_fma_f64 v[45:46], -v[9:10], v[45:46], v[51:52]
	v_fma_f64 v[29:30], -v[21:22], v[67:68], v[29:30]
	;; [unrolled: 1-line block ×3, first 2 shown]
	ds_read_b128 v[37:40], v33 offset:1616
	ds_read2_b64 v[51:54], v33 offset0:181 offset1:182
	v_fma_f64 v[35:36], -v[5:6], v[35:36], v[59:60]
	v_fma_f64 v[69:70], -v[11:12], v[43:44], v[45:46]
	ds_read2_b64 v[43:46], v33 offset0:139 offset1:140
	ds_read2_b64 v[57:60], v33 offset0:179 offset1:180
	v_fma_f64 v[29:30], -v[23:24], v[65:66], v[29:30]
	s_waitcnt lgkmcnt(2)
	v_fma_f64 v[53:54], -v[19:20], v[53:54], v[61:62]
	ds_read_b128 v[61:64], v33 offset:944
	ds_read2_b64 v[65:68], v33 offset0:137 offset1:138
	s_waitcnt lgkmcnt(3)
	v_fma_f64 v[35:36], -v[7:8], v[45:46], v[35:36]
	v_fma_f64 v[45:46], -v[13:14], v[49:50], v[69:70]
	s_waitcnt lgkmcnt(1)
	v_fma_f64 v[49:50], -v[1:2], v[63:64], v[41:42]
	v_fma_f64 v[63:64], -v[25:26], v[39:40], v[29:30]
	ds_read_b128 v[39:42], v33 offset:1600
	v_fma_f64 v[51:52], -v[21:22], v[51:52], v[53:54]
	ds_read_b128 v[69:72], v33 offset:928
	v_fma_f64 v[53:54], -v[9:10], v[43:44], v[35:36]
	v_mul_f64 v[29:30], v[55:56], v[73:74]
	v_fma_f64 v[47:48], -v[15:16], v[47:48], v[45:46]
	v_fma_f64 v[49:50], -v[3:4], v[61:62], v[49:50]
	ds_read_b128 v[43:46], v33 offset:1264
	v_fma_f64 v[55:56], -v[27:28], v[37:38], v[63:64]
	v_fma_f64 v[51:52], -v[23:24], v[59:60], v[51:52]
	ds_read_b128 v[35:38], v33 offset:1248
	s_waitcnt lgkmcnt(4)
	v_fma_f64 v[53:54], -v[11:12], v[67:68], v[53:54]
	s_waitcnt lgkmcnt(1)
	v_fma_f64 v[59:60], -v[17:18], v[45:46], v[47:48]
	v_fma_f64 v[49:50], -v[5:6], v[71:72], v[49:50]
	ds_read2_b64 v[45:48], v77 offset0:48 offset1:72
	v_fma_f64 v[78:79], -v[29:30], v[41:42], v[55:56]
	v_fma_f64 v[67:68], -v[25:26], v[57:58], v[51:52]
	;; [unrolled: 1-line block ×4, first 2 shown]
	ds_read2_b64 v[41:44], v33 offset0:135 offset1:136
	v_fma_f64 v[69:70], -v[7:8], v[69:70], v[49:50]
	ds_read2_b64 v[49:52], v33 offset0:177 offset1:178
	ds_read2_b64 v[53:56], v33 offset0:175 offset1:176
	;; [unrolled: 1-line block ×3, first 2 shown]
	ds_read_b128 v[61:64], v33 offset:912
	v_mul_f64 v[86:87], v[39:40], v[78:79]
	s_waitcnt lgkmcnt(3)
	v_fma_f64 v[51:52], -v[27:28], v[51:52], v[67:68]
	v_fma_f64 v[43:44], -v[15:16], v[43:44], v[65:66]
	ds_read_b128 v[65:68], v33 offset:896
	v_fma_f64 v[37:38], -v[21:22], v[37:38], v[71:72]
	s_waitcnt lgkmcnt(1)
	v_fma_f64 v[63:64], -v[9:10], v[63:64], v[69:70]
	ds_read2_b64 v[69:72], v33 offset0:47 offset1:95
	ds_read_b128 v[73:76], v33 offset:1200
	v_fma_f64 v[88:89], -v[29:30], v[49:50], v[51:52]
	v_fma_f64 v[43:44], -v[17:18], v[41:42], v[43:44]
	s_waitcnt lgkmcnt(1)
	v_fma_f64 v[51:52], -v[1:2], v[71:72], v[47:48]
	v_fma_f64 v[71:72], -v[23:24], v[35:36], v[37:38]
	ds_read2_b64 v[35:38], v33 offset0:93 offset1:94
	ds_read_b128 v[39:42], v33 offset:1216
	ds_read_b128 v[47:50], v33 offset:1232
	v_fma_f64 v[63:64], -v[11:12], v[61:62], v[63:64]
	ds_read_b128 v[78:81], v33 offset:560
	v_fma_f64 v[88:89], -v[86:87], v[55:56], v[88:89]
	v_fma_f64 v[43:44], -v[19:20], v[59:60], v[43:44]
	ds_read2_b64 v[59:62], v33 offset0:91 offset1:92
	s_waitcnt lgkmcnt(4)
	v_fma_f64 v[37:38], -v[3:4], v[37:38], v[51:52]
	s_waitcnt lgkmcnt(2)
	v_fma_f64 v[71:72], -v[25:26], v[49:50], v[71:72]
	v_fma_f64 v[63:64], -v[13:14], v[67:68], v[63:64]
	s_waitcnt lgkmcnt(1)
	v_fma_f64 v[67:68], -v[1:2], v[80:81], v[45:46]
	ds_read2_b64 v[49:52], v77 offset1:24
	ds_read_b128 v[82:85], v33 offset:544
	v_fma_f64 v[90:91], -v[21:22], v[57:58], v[43:44]
	v_fma_f64 v[80:81], -v[5:6], v[35:36], v[37:38]
	;; [unrolled: 1-line block ×5, first 2 shown]
	ds_read2_b64 v[35:38], v33 offset0:131 offset1:132
	ds_read2_b64 v[43:46], v33 offset0:129 offset1:130
	ds_read_b128 v[55:58], v33 offset:880
	s_waitcnt lgkmcnt(4)
	v_fma_f64 v[51:52], -v[1:2], v[69:70], v[51:52]
	ds_read2_b64 v[65:68], v33 offset0:45 offset1:46
	v_fma_f64 v[78:79], -v[7:8], v[61:62], v[80:81]
	ds_read_b128 v[61:64], v33 offset:864
	s_waitcnt lgkmcnt(2)
	v_fma_f64 v[47:48], -v[17:18], v[57:58], v[47:48]
	v_fma_f64 v[84:85], -v[5:6], v[84:85], v[71:72]
	ds_read_b128 v[69:72], v33 offset:176
	v_fma_f64 v[37:38], -v[23:24], v[37:38], v[90:91]
	v_fma_f64 v[41:42], -v[29:30], v[41:42], v[92:93]
	;; [unrolled: 1-line block ×3, first 2 shown]
	ds_read_b128 v[78:81], v33 offset:160
	s_waitcnt lgkmcnt(1)
	v_fma_f64 v[71:72], -v[1:2], v[71:72], v[49:50]
	v_fma_f64 v[94:95], -v[19:20], v[55:56], v[47:48]
	;; [unrolled: 1-line block ×3, first 2 shown]
	ds_read_b128 v[82:85], v33 offset:528
	v_fma_f64 v[51:52], -v[3:4], v[67:68], v[51:52]
	ds_read2_b64 v[57:60], v33 offset0:89 offset1:90
	ds_read2_b64 v[47:50], v33 offset0:87 offset1:88
	v_fma_f64 v[35:36], -v[25:26], v[35:36], v[37:38]
	v_fma_f64 v[63:64], -v[21:22], v[63:64], v[94:95]
	s_waitcnt lgkmcnt(1)
	v_fma_f64 v[59:60], -v[11:12], v[59:60], v[90:91]
	v_fma_f64 v[90:91], -v[3:4], v[69:70], v[71:72]
	;; [unrolled: 1-line block ×3, first 2 shown]
	ds_read2_b64 v[69:72], v33 offset0:43 offset1:44
	v_fma_f64 v[84:85], -v[9:10], v[84:85], v[55:56]
	ds_read_b128 v[65:68], v33 offset:512
	v_fma_f64 v[59:60], -v[13:14], v[57:58], v[59:60]
	ds_read2_b64 v[55:58], v33 offset0:41 offset1:42
	s_waitcnt lgkmcnt(2)
	v_fma_f64 v[51:52], -v[7:8], v[71:72], v[51:52]
	v_fma_f64 v[37:38], -v[5:6], v[80:81], v[90:91]
	;; [unrolled: 1-line block ×3, first 2 shown]
	v_mul_f64 v[80:81], v[53:54], v[88:89]
	v_fma_f64 v[82:83], -v[86:87], v[39:40], v[41:42]
	ds_read2_b64 v[39:42], v33 offset0:85 offset1:86
	v_fma_f64 v[49:50], -v[15:16], v[49:50], v[59:60]
	v_fma_f64 v[51:52], -v[9:10], v[69:70], v[51:52]
	;; [unrolled: 1-line block ×4, first 2 shown]
	ds_read_b128 v[35:38], v33 offset:144
	v_fma_f64 v[78:79], -v[23:24], v[61:62], v[63:64]
	s_waitcnt lgkmcnt(3)
	v_fma_f64 v[61:62], -v[13:14], v[67:68], v[71:72]
	v_fma_f64 v[67:68], -v[17:18], v[47:48], v[49:50]
	ds_read_b128 v[45:48], v33 offset:128
	s_waitcnt lgkmcnt(3)
	v_fma_f64 v[71:72], -v[11:12], v[57:58], v[51:52]
	s_waitcnt lgkmcnt(1)
	v_fma_f64 v[37:38], -v[9:10], v[37:38], v[53:54]
	ds_read_b128 v[49:52], v33 offset:832
	ds_read_b128 v[57:60], v33 offset:848
	v_fma_f64 v[92:93], -v[29:30], v[43:44], v[69:70]
	v_fma_f64 v[75:76], -v[80:81], v[75:76], v[82:83]
	;; [unrolled: 1-line block ×3, first 2 shown]
	ds_read2_b64 v[61:64], v33 offset0:83 offset1:84
	v_fma_f64 v[88:89], -v[19:20], v[41:42], v[67:68]
	v_fma_f64 v[71:72], -v[13:14], v[55:56], v[71:72]
	;; [unrolled: 1-line block ×3, first 2 shown]
	ds_read_b128 v[65:68], v33 offset:496
	ds_read_b128 v[53:56], v33 offset:480
	ds_read2_b64 v[35:38], v33 offset0:39 offset1:40
	s_waitcnt lgkmcnt(4)
	v_fma_f64 v[59:60], -v[25:26], v[59:60], v[78:79]
	s_waitcnt lgkmcnt(2)
	v_fma_f64 v[84:85], -v[17:18], v[67:68], v[84:85]
	ds_read2_b64 v[41:44], v33 offset0:127 offset1:128
	ds_read2_b64 v[67:70], v33 offset0:37 offset1:38
	s_waitcnt lgkmcnt(2)
	v_fma_f64 v[71:72], -v[15:16], v[37:38], v[71:72]
	v_fma_f64 v[47:48], -v[13:14], v[47:48], v[90:91]
	;; [unrolled: 1-line block ×3, first 2 shown]
	s_waitcnt lgkmcnt(1)
	v_fma_f64 v[82:83], -v[86:87], v[43:44], v[92:93]
	v_fma_f64 v[59:60], -v[27:28], v[57:58], v[59:60]
	ds_read2_b64 v[37:40], v33 offset0:125 offset1:126
	v_fma_f64 v[65:66], -v[19:20], v[65:66], v[84:85]
	v_fma_f64 v[35:36], -v[17:18], v[35:36], v[71:72]
	;; [unrolled: 1-line block ×3, first 2 shown]
	ds_read_b128 v[43:46], v33 offset:112
	v_fma_f64 v[63:64], -v[23:24], v[63:64], v[78:79]
	v_mul_f64 v[71:72], v[73:74], v[75:76]
	v_fma_f64 v[73:74], -v[80:81], v[41:42], v[82:83]
	v_fma_f64 v[65:66], -v[21:22], v[55:56], v[65:66]
	ds_read_b128 v[55:58], v33 offset:96
	s_waitcnt lgkmcnt(3)
	v_fma_f64 v[35:36], -v[19:20], v[69:70], v[35:36]
	s_waitcnt lgkmcnt(1)
	v_fma_f64 v[41:42], -v[17:18], v[45:46], v[47:48]
	v_fma_f64 v[75:76], -v[29:30], v[51:52], v[59:60]
	;; [unrolled: 1-line block ×5, first 2 shown]
	ds_read2_b64 v[45:48], v33 offset0:81 offset1:82
	ds_read2_b64 v[51:54], v33 offset0:79 offset1:80
	v_fma_f64 v[35:36], -v[21:22], v[67:68], v[35:36]
	v_fma_f64 v[78:79], -v[19:20], v[43:44], v[41:42]
	ds_read_b128 v[59:62], v33 offset:464
	ds_read2_b64 v[41:44], v33 offset0:35 offset1:36
	s_waitcnt lgkmcnt(3)
	v_fma_f64 v[47:48], -v[27:28], v[47:48], v[63:64]
	ds_read_b128 v[63:66], v33 offset:448
	v_fma_f64 v[49:50], -v[86:87], v[49:50], v[75:76]
	s_waitcnt lgkmcnt(2)
	v_fma_f64 v[61:62], -v[25:26], v[61:62], v[69:70]
	ds_read2_b64 v[67:70], v33 offset0:33 offset1:34
	s_waitcnt lgkmcnt(2)
	v_fma_f64 v[35:36], -v[23:24], v[43:44], v[35:36]
	v_fma_f64 v[57:58], -v[21:22], v[57:58], v[78:79]
	v_mul_f64 v[73:74], v[37:38], v[73:74]
	v_fma_f64 v[47:48], -v[29:30], v[45:46], v[47:48]
	ds_read_b128 v[43:46], v33 offset:816
	v_fma_f64 v[59:60], -v[27:28], v[59:60], v[61:62]
	v_fma_f64 v[35:36], -v[25:26], v[41:42], v[35:36]
	;; [unrolled: 1-line block ×3, first 2 shown]
	ds_read_b128 v[39:42], v33 offset:80
	s_waitcnt lgkmcnt(1)
	v_fma_f64 v[45:46], -v[80:81], v[45:46], v[49:50]
	v_fma_f64 v[47:48], -v[86:87], v[53:54], v[47:48]
	;; [unrolled: 1-line block ×4, first 2 shown]
	ds_read_b128 v[35:38], v33 offset:64
	s_waitcnt lgkmcnt(1)
	v_fma_f64 v[55:56], -v[25:26], v[41:42], v[55:56]
	v_fma_f64 v[57:58], -v[71:72], v[43:44], v[45:46]
	ds_read_b128 v[41:44], v33 offset:800
	v_fma_f64 v[61:62], -v[80:81], v[51:52], v[47:48]
	v_fma_f64 v[63:64], -v[86:87], v[63:64], v[49:50]
	ds_read2_b64 v[45:48], v33 offset0:77 offset1:78
	ds_read_b128 v[49:52], v33 offset:432
	v_fma_f64 v[65:66], -v[29:30], v[67:68], v[53:54]
	v_fma_f64 v[39:40], -v[27:28], v[39:40], v[55:56]
	s_waitcnt lgkmcnt(2)
	v_fma_f64 v[43:44], -v[73:74], v[43:44], v[57:58]
	ds_read2_b64 v[53:56], v33 offset0:31 offset1:32
	ds_read2_b64 v[57:60], v33 offset0:75 offset1:76
	s_waitcnt lgkmcnt(3)
	v_fma_f64 v[47:48], -v[71:72], v[47:48], v[61:62]
	s_waitcnt lgkmcnt(2)
	v_fma_f64 v[51:52], -v[80:81], v[51:52], v[63:64]
	ds_read2_b64 v[61:64], v33 offset0:29 offset1:30
	s_waitcnt lgkmcnt(2)
	v_fma_f64 v[55:56], -v[86:87], v[55:56], v[65:66]
	v_fma_f64 v[65:66], -v[29:30], v[37:38], v[39:40]
	v_mul_f64 v[67:68], v[41:42], v[43:44]
	ds_read_b128 v[37:40], v33 offset:416
	v_fma_f64 v[45:46], -v[73:74], v[45:46], v[47:48]
	v_fma_f64 v[47:48], -v[71:72], v[49:50], v[51:52]
	ds_read_b128 v[41:44], v33 offset:48
	v_fma_f64 v[49:50], -v[80:81], v[53:54], v[55:56]
	v_fma_f64 v[35:36], -v[86:87], v[35:36], v[65:66]
	s_waitcnt lgkmcnt(3)
	v_fma_f64 v[45:46], -v[67:68], v[59:60], v[45:46]
	s_waitcnt lgkmcnt(1)
	v_fma_f64 v[39:40], -v[73:74], v[39:40], v[47:48]
	v_fma_f64 v[47:48], -v[71:72], v[63:64], v[49:50]
	s_waitcnt lgkmcnt(0)
	v_fma_f64 v[43:44], -v[80:81], v[43:44], v[35:36]
	v_mul_f64 v[51:52], v[57:58], v[45:46]
	v_fma_f64 v[49:50], -v[67:68], v[37:38], v[39:40]
	ds_read_b128 v[35:38], v33 offset:400
	v_fma_f64 v[53:54], -v[73:74], v[61:62], v[47:48]
	v_fma_f64 v[55:56], -v[71:72], v[41:42], v[43:44]
	ds_read2_b64 v[39:42], v33 offset0:27 offset1:28
	ds_read_b128 v[43:46], v33 offset:32
	s_waitcnt lgkmcnt(2)
	v_fma_f64 v[37:38], -v[51:52], v[37:38], v[49:50]
	ds_read2_b64 v[47:50], v33 offset0:25 offset1:26
	s_waitcnt lgkmcnt(2)
	v_fma_f64 v[41:42], -v[67:68], v[41:42], v[53:54]
	s_waitcnt lgkmcnt(1)
	v_fma_f64 v[45:46], -v[73:74], v[45:46], v[55:56]
	v_mul_f64 v[53:54], v[35:36], v[37:38]
	ds_read_b128 v[35:38], v33 offset:16
	v_fma_f64 v[39:40], -v[51:52], v[39:40], v[41:42]
	v_fma_f64 v[41:42], -v[67:68], v[43:44], v[45:46]
	s_waitcnt lgkmcnt(0)
	v_fma_f64 v[37:38], -v[51:52], v[37:38], v[41:42]
	v_fma_f64 v[41:42], -v[53:54], v[35:36], v[37:38]
	ds_read_b128 v[35:38], v33
	v_fma_f64 v[39:40], -v[53:54], v[49:50], v[39:40]
	ds_write2_b64 v31, v[3:4], v[1:2] offset0:16 offset1:40
	ds_write2_b64 v32, v[7:8], v[5:6] offset0:224 offset1:248
	;; [unrolled: 1-line block ×4, first 2 shown]
	v_mul_f64 v[39:40], v[47:48], v[39:40]
	s_waitcnt lgkmcnt(4)
	v_fma_f64 v[37:38], -v[39:40], v[37:38], v[41:42]
	v_mul_f64 v[1:2], v[35:36], v[37:38]
	ds_write2_b64 v32, v[19:20], v[17:18] offset0:80 offset1:104
	ds_write2_b64 v32, v[23:24], v[21:22] offset0:32 offset1:56
	;; [unrolled: 1-line block ×7, first 2 shown]
	ds_write2_b64 v77, v[1:2], v[39:40] offset1:24
.LBB94_12:
	s_cmp_gt_i32 s5, -1
	s_cbranch_scc0 .LBB94_31
; %bb.13:
	s_cmp_lt_u32 s5, 19
	s_cbranch_scc1 .LBB94_18
; %bb.14:
	s_mul_i32 s11, s5, 0xc0
	v_add_u32_e32 v41, s11, v77
	v_add_u32_e32 v1, 0xffffff40, v41
	v_add_u32_e32 v2, 0xfffffe80, v41
	v_add_u32_e32 v3, 0xfffffdc0, v41
	ds_read_b64 v[5:6], v41
	ds_read_b64 v[39:40], v1
	ds_read_b64 v[9:10], v2
	ds_read_b64 v[7:8], v3
	v_add_u32_e32 v1, 0xfffffd00, v41
	v_add_u32_e32 v2, 0xfffffc40, v41
	v_add_u32_e32 v3, 0xfffffb80, v41
	v_add_u32_e32 v4, 0xfffffac0, v41
	ds_read_b64 v[37:38], v1
	ds_read_b64 v[13:14], v2
	ds_read_b64 v[23:24], v3
	ds_read_b64 v[15:16], v4
	;; [unrolled: 8-line block ×5, first 2 shown]
	s_cmp_le_i32 s4, s5
	s_cbranch_scc1 .LBB94_17
; %bb.15:
	s_mul_i32 s8, s22, 0xc0
	v_lshl_add_u32 v42, v0, 3, s8
	s_lshl_b32 s8, s22, 3
	s_add_i32 s8, s11, s8
	v_add_u32_e32 v42, 0x1140, v42
	s_addk_i32 s8, 0xf1b8
	s_mov_b32 s12, s4
.LBB94_16:                              ; =>This Inner Loop Header: Depth=1
	v_mov_b32_e32 v59, s8
	v_add_u32_e32 v78, 0x800, v59
	v_add_u32_e32 v82, 0x400, v59
	ds_read_b64 v[75:76], v42
	ds_read2_b64 v[43:46], v59 offset0:192 offset1:216
	ds_read2_b64 v[47:50], v59 offset0:144 offset1:168
	ds_read2_b64 v[51:54], v59 offset0:96 offset1:120
	ds_read2_b64 v[55:58], v59 offset0:48 offset1:72
	ds_read2_b64 v[59:62], v59 offset1:24
	ds_read2_b64 v[63:66], v78 offset0:176 offset1:200
	ds_read2_b64 v[67:70], v78 offset0:128 offset1:152
	;; [unrolled: 1-line block ×5, first 2 shown]
	s_add_i32 s12, s12, -1
	s_add_i32 s8, s8, -8
	s_cmp_gt_i32 s12, s5
	s_waitcnt lgkmcnt(9)
	v_fma_f64 v[35:36], -v[75:76], v[45:46], v[35:36]
	v_fma_f64 v[27:28], -v[75:76], v[43:44], v[27:28]
	s_waitcnt lgkmcnt(8)
	v_fma_f64 v[31:32], -v[75:76], v[49:50], v[31:32]
	v_fma_f64 v[33:34], -v[75:76], v[47:48], v[33:34]
	;; [unrolled: 3-line block ×10, first 2 shown]
	v_add_u32_e32 v42, 0xffffff40, v42
	s_cbranch_scc1 .LBB94_16
.LBB94_17:
	s_mul_i32 s8, s5, 0xc8
	v_mov_b32_e32 v42, s8
	ds_read_b64 v[46:47], v42
	s_addk_i32 s11, 0xff40
	s_lshl_b32 s8, s5, 3
	s_add_i32 s8, s11, s8
	s_add_i32 s12, s8, -8
	s_waitcnt lgkmcnt(0)
	v_mul_f64 v[5:6], v[46:47], v[5:6]
	v_mov_b32_e32 v42, s12
	ds_read2_b64 v[42:45], v42 offset1:1
	s_add_i32 s12, s8, 0xffffff40
	s_add_i32 s13, s8, 0xffffff30
	;; [unrolled: 1-line block ×5, first 2 shown]
	s_waitcnt lgkmcnt(0)
	v_fma_f64 v[39:40], -v[5:6], v[44:45], v[39:40]
	v_mov_b32_e32 v44, s12
	ds_read_b64 v[48:49], v44
	v_mov_b32_e32 v44, s13
	ds_read2_b64 v[44:47], v44 offset1:1
	s_add_i32 s12, s8, 0xfffffdb0
	s_add_i32 s13, s8, 0xfffffcf8
	s_waitcnt lgkmcnt(1)
	v_fma_f64 v[56:57], -v[5:6], v[48:49], v[9:10]
	v_mul_f64 v[9:10], v[42:43], v[39:40]
	v_mov_b32_e32 v39, s14
	ds_read2_b64 v[48:51], v39 offset1:1
	v_mov_b32_e32 v42, s16
	ds_read_b64 v[42:43], v42
	v_mov_b32_e32 v39, s15
	ds_read2_b64 v[52:55], v39 offset1:1
	s_waitcnt lgkmcnt(2)
	v_fma_f64 v[7:8], -v[5:6], v[50:51], v[7:8]
	v_fma_f64 v[39:40], -v[9:10], v[46:47], v[56:57]
	v_mov_b32_e32 v46, s12
	v_mov_b32_e32 v47, s13
	ds_read2_b64 v[56:59], v46 offset1:1
	ds_read2_b64 v[60:63], v47 offset1:1
	s_waitcnt lgkmcnt(3)
	v_fma_f64 v[42:43], -v[5:6], v[42:43], v[37:38]
	s_add_i32 s17, s8, 0xfffffda0
	s_add_i32 s12, s8, 0xfffffce8
	v_fma_f64 v[46:47], -v[9:10], v[48:49], v[7:8]
	v_mul_f64 v[7:8], v[44:45], v[39:40]
	s_waitcnt lgkmcnt(0)
	v_fma_f64 v[13:14], -v[5:6], v[62:63], v[13:14]
	s_add_i32 s13, s8, 0xfffffcd8
	s_add_i32 s14, s8, 0xfffffc40
	v_fma_f64 v[50:51], -v[9:10], v[58:59], v[42:43]
	v_mov_b32_e32 v37, s17
	v_mov_b32_e32 v42, s12
	ds_read2_b64 v[37:40], v37 offset1:1
	v_fma_f64 v[54:55], -v[7:8], v[54:55], v[46:47]
	v_fma_f64 v[58:59], -v[9:10], v[60:61], v[13:14]
	v_mov_b32_e32 v13, s13
	v_mov_b32_e32 v60, s14
	ds_read2_b64 v[42:45], v42 offset1:1
	ds_read2_b64 v[46:49], v13 offset1:1
	v_fma_f64 v[56:57], -v[7:8], v[56:57], v[50:51]
	s_add_i32 s12, s8, 0xfffffc30
	v_mov_b32_e32 v50, s12
	v_mul_f64 v[13:14], v[52:53], v[54:55]
	ds_read_b64 v[54:55], v60
	s_waitcnt lgkmcnt(2)
	v_fma_f64 v[44:45], -v[7:8], v[44:45], v[58:59]
	ds_read2_b64 v[50:53], v50 offset1:1
	s_add_i32 s12, s8, 0xfffffb78
	s_add_i32 s13, s8, 0xfffffc10
	s_waitcnt lgkmcnt(1)
	v_fma_f64 v[23:24], -v[5:6], v[54:55], v[23:24]
	s_add_i32 s14, s8, 0xfffff568
	v_fma_f64 v[39:40], -v[13:14], v[39:40], v[56:57]
	s_sub_i32 s5, s5, 20
	v_fma_f64 v[56:57], -v[13:14], v[42:43], v[44:45]
	v_mov_b32_e32 v42, s12
	ds_read2_b64 v[42:45], v42 offset1:1
	s_add_i32 s12, s8, 0xfffffb68
	s_waitcnt lgkmcnt(1)
	v_fma_f64 v[23:24], -v[9:10], v[52:53], v[23:24]
	v_mov_b32_e32 v52, s12
	s_add_i32 s12, s8, 0xfffffc20
	s_waitcnt lgkmcnt(0)
	v_fma_f64 v[44:45], -v[5:6], v[44:45], v[15:16]
	v_mul_f64 v[15:16], v[37:38], v[39:40]
	v_mov_b32_e32 v37, s12
	ds_read2_b64 v[37:40], v37 offset1:1
	s_add_i32 s12, s8, 0xfffffac0
	v_fma_f64 v[23:24], -v[7:8], v[50:51], v[23:24]
	ds_read2_b64 v[52:55], v52 offset1:1
	v_fma_f64 v[50:51], -v[9:10], v[42:43], v[44:45]
	v_mov_b32_e32 v42, s13
	ds_read2_b64 v[42:45], v42 offset1:1
	v_fma_f64 v[56:57], -v[15:16], v[48:49], v[56:57]
	s_add_i32 s13, s8, 0xfffff910
	s_waitcnt lgkmcnt(2)
	v_fma_f64 v[23:24], -v[13:14], v[39:40], v[23:24]
	v_mov_b32_e32 v39, s12
	ds_read_b64 v[39:40], v39
	s_add_i32 s12, s8, 0xfffffab0
	v_mov_b32_e32 v48, s12
	s_waitcnt lgkmcnt(2)
	v_fma_f64 v[54:55], -v[7:8], v[54:55], v[50:51]
	ds_read2_b64 v[48:51], v48 offset1:1
	s_waitcnt lgkmcnt(1)
	v_fma_f64 v[39:40], -v[5:6], v[39:40], v[17:18]
	v_mul_f64 v[17:18], v[46:47], v[56:57]
	v_fma_f64 v[23:24], -v[15:16], v[37:38], v[23:24]
	s_add_i32 s12, s8, 0xfffffb58
	v_mov_b32_e32 v37, s12
	s_add_i32 s12, s8, 0xfffffb48
	v_fma_f64 v[52:53], -v[13:14], v[52:53], v[54:55]
	s_waitcnt lgkmcnt(0)
	v_fma_f64 v[50:51], -v[9:10], v[50:51], v[39:40]
	ds_read2_b64 v[37:40], v37 offset1:1
	v_fma_f64 v[23:24], -v[17:18], v[44:45], v[23:24]
	v_mov_b32_e32 v44, s12
	s_add_i32 s12, s8, 0xfffffaa0
	ds_read2_b64 v[44:47], v44 offset1:1
	s_waitcnt lgkmcnt(1)
	v_fma_f64 v[39:40], -v[15:16], v[39:40], v[52:53]
	v_fma_f64 v[60:61], -v[7:8], v[48:49], v[50:51]
	v_mov_b32_e32 v48, s12
	s_add_i32 s12, s8, 0xfffffa90
	v_mov_b32_e32 v52, s12
	ds_read2_b64 v[48:51], v48 offset1:1
	ds_read2_b64 v[52:55], v52 offset1:1
	s_add_i32 s12, s8, 0xfffff9f8
	v_mov_b32_e32 v56, s12
	ds_read2_b64 v[56:59], v56 offset1:1
	s_waitcnt lgkmcnt(2)
	v_fma_f64 v[50:51], -v[13:14], v[50:51], v[60:61]
	s_add_i32 s12, s8, 0xfffff9e8
	v_mov_b32_e32 v60, s12
	ds_read2_b64 v[60:63], v60 offset1:1
	s_waitcnt lgkmcnt(1)
	v_fma_f64 v[58:59], -v[5:6], v[58:59], v[21:22]
	v_mul_f64 v[21:22], v[42:43], v[23:24]
	v_fma_f64 v[23:24], -v[17:18], v[37:38], v[39:40]
	s_add_i32 s12, s8, 0xfffff9d8
	v_fma_f64 v[37:38], -v[15:16], v[48:49], v[50:51]
	v_fma_f64 v[39:40], -v[9:10], v[56:57], v[58:59]
	;; [unrolled: 1-line block ×4, first 2 shown]
	v_mul_f64 v[23:24], v[44:45], v[23:24]
	v_fma_f64 v[58:59], -v[21:22], v[52:53], v[37:38]
	v_mov_b32_e32 v37, s12
	s_add_i32 s12, s8, 0xfffff940
	v_mov_b32_e32 v38, s12
	ds_read_b64 v[46:47], v38
	s_waitcnt lgkmcnt(1)
	v_fma_f64 v[39:40], -v[7:8], v[62:63], v[39:40]
	s_add_i32 s12, s8, 0xfffff9c8
	v_mov_b32_e32 v42, s12
	s_add_i32 s12, s8, 0xfffff930
	s_waitcnt lgkmcnt(0)
	v_fma_f64 v[35:36], -v[5:6], v[46:47], v[35:36]
	v_mov_b32_e32 v46, s12
	s_add_i32 s12, s8, 0xfffff920
	v_fma_f64 v[50:51], -v[13:14], v[60:61], v[39:40]
	ds_read2_b64 v[37:40], v37 offset1:1
	ds_read2_b64 v[42:45], v42 offset1:1
	;; [unrolled: 1-line block ×3, first 2 shown]
	s_waitcnt lgkmcnt(2)
	v_fma_f64 v[39:40], -v[15:16], v[39:40], v[50:51]
	v_mov_b32_e32 v50, s12
	ds_read2_b64 v[50:53], v50 offset1:1
	s_waitcnt lgkmcnt(1)
	v_fma_f64 v[48:49], -v[9:10], v[48:49], v[35:36]
	s_add_i32 s12, s8, 0xfffffa80
	v_mov_b32_e32 v35, s12
	s_add_i32 s12, s8, 0xfffff878
	ds_read2_b64 v[54:57], v35 offset1:1
	v_mov_b32_e32 v35, s12
	v_fma_f64 v[39:40], -v[17:18], v[37:38], v[39:40]
	ds_read2_b64 v[35:38], v35 offset1:1
	v_fma_f64 v[60:61], -v[7:8], v[46:47], v[48:49]
	s_add_i32 s12, s8, 0xfffff868
	v_mov_b32_e32 v46, s12
	ds_read2_b64 v[46:49], v46 offset1:1
	s_waitcnt lgkmcnt(1)
	v_fma_f64 v[27:28], -v[5:6], v[37:38], v[27:28]
	v_fma_f64 v[37:38], -v[23:24], v[56:57], v[58:59]
	;; [unrolled: 1-line block ×3, first 2 shown]
	s_add_i32 s12, s8, 0xfffff9b8
	v_fma_f64 v[44:45], -v[13:14], v[52:53], v[60:61]
	v_mov_b32_e32 v60, s12
	s_add_i32 s12, s8, 0xfffff900
	v_fma_f64 v[35:36], -v[9:10], v[35:36], v[27:28]
	v_mul_f64 v[27:28], v[54:55], v[37:38]
	v_fma_f64 v[62:63], -v[23:24], v[42:43], v[39:40]
	v_mov_b32_e32 v42, s12
	v_fma_f64 v[39:40], -v[15:16], v[50:51], v[44:45]
	s_add_i32 s12, s8, 0xfffff858
	ds_read2_b64 v[42:45], v42 offset1:1
	s_waitcnt lgkmcnt(1)
	v_fma_f64 v[48:49], -v[7:8], v[48:49], v[35:36]
	v_mov_b32_e32 v35, s13
	ds_read2_b64 v[35:38], v35 offset1:1
	s_add_i32 s13, s8, 0xfffff6e8
	s_waitcnt lgkmcnt(0)
	v_fma_f64 v[58:59], -v[17:18], v[37:38], v[39:40]
	v_mov_b32_e32 v37, s12
	s_add_i32 s12, s8, 0xfffff7c0
	v_mov_b32_e32 v38, s12
	v_fma_f64 v[54:55], -v[13:14], v[46:47], v[48:49]
	ds_read_b64 v[50:51], v38
	s_add_i32 s12, s8, 0xfffff848
	v_mov_b32_e32 v46, s12
	ds_read2_b64 v[37:40], v37 offset1:1
	ds_read2_b64 v[46:49], v46 offset1:1
	s_add_i32 s12, s8, 0xfffff7b0
	s_waitcnt lgkmcnt(2)
	v_fma_f64 v[31:32], -v[5:6], v[50:51], v[31:32]
	v_mov_b32_e32 v50, s12
	ds_read2_b64 v[50:53], v50 offset1:1
	s_waitcnt lgkmcnt(2)
	v_fma_f64 v[39:40], -v[15:16], v[39:40], v[54:55]
	s_add_i32 s12, s8, 0xfffff7a0
	v_mov_b32_e32 v54, s12
	ds_read2_b64 v[54:57], v54 offset1:1
	v_fma_f64 v[35:36], -v[21:22], v[35:36], v[58:59]
	s_waitcnt lgkmcnt(1)
	v_fma_f64 v[31:32], -v[9:10], v[52:53], v[31:32]
	ds_read2_b64 v[58:61], v60 offset1:1
	s_add_i32 s12, s8, 0xfffff8f0
	v_fma_f64 v[37:38], -v[17:18], v[37:38], v[39:40]
	s_waitcnt lgkmcnt(0)
	v_fma_f64 v[39:40], -v[27:28], v[60:61], v[62:63]
	v_fma_f64 v[35:36], -v[23:24], v[44:45], v[35:36]
	;; [unrolled: 1-line block ×4, first 2 shown]
	v_mul_f64 v[31:32], v[58:59], v[39:40]
	v_fma_f64 v[62:63], -v[27:28], v[42:43], v[35:36]
	v_fma_f64 v[39:40], -v[13:14], v[56:57], v[50:51]
	v_mov_b32_e32 v35, s12
	s_add_i32 s12, s8, 0xfffff838
	v_mov_b32_e32 v56, s12
	s_add_i32 s12, s8, 0xfffff6f8
	v_mov_b32_e32 v42, s12
	v_fma_f64 v[64:65], -v[23:24], v[46:47], v[44:45]
	ds_read2_b64 v[42:45], v42 offset1:1
	v_mov_b32_e32 v46, s13
	v_fma_f64 v[39:40], -v[15:16], v[54:55], v[39:40]
	ds_read2_b64 v[46:49], v46 offset1:1
	s_add_i32 s12, s8, 0xfffff790
	s_waitcnt lgkmcnt(1)
	v_fma_f64 v[33:34], -v[5:6], v[44:45], v[33:34]
	v_mov_b32_e32 v44, s12
	ds_read2_b64 v[35:38], v35 offset1:1
	ds_read2_b64 v[50:53], v44 offset1:1
	;; [unrolled: 1-line block ×3, first 2 shown]
	s_add_i32 s12, s8, 0xfffff780
	v_mov_b32_e32 v44, s12
	ds_read2_b64 v[58:61], v44 offset1:1
	s_waitcnt lgkmcnt(2)
	v_fma_f64 v[39:40], -v[17:18], v[52:53], v[39:40]
	v_fma_f64 v[33:34], -v[9:10], v[42:43], v[33:34]
	;; [unrolled: 1-line block ×3, first 2 shown]
	s_add_i32 s12, s8, 0xfffff828
	s_waitcnt lgkmcnt(1)
	v_fma_f64 v[42:43], -v[27:28], v[56:57], v[64:65]
	s_add_i32 s13, s8, 0xfffff578
	v_fma_f64 v[39:40], -v[21:22], v[50:51], v[39:40]
	v_fma_f64 v[44:45], -v[7:8], v[48:49], v[33:34]
	v_mov_b32_e32 v50, s12
	s_add_i32 s12, s8, 0xfffff6d8
	v_mul_f64 v[33:34], v[35:36], v[37:38]
	v_mov_b32_e32 v35, s12
	s_add_i32 s12, s8, 0xfffff640
	v_mov_b32_e32 v36, s12
	s_waitcnt lgkmcnt(0)
	v_fma_f64 v[52:53], -v[23:24], v[60:61], v[39:40]
	v_fma_f64 v[39:40], -v[13:14], v[46:47], v[44:45]
	ds_read_b64 v[46:47], v36
	s_add_i32 s12, s8, 0xfffff6c8
	v_fma_f64 v[56:57], -v[31:32], v[54:55], v[42:43]
	v_mov_b32_e32 v42, s12
	s_add_i32 s12, s8, 0xfffff630
	s_waitcnt lgkmcnt(0)
	v_fma_f64 v[29:30], -v[5:6], v[46:47], v[29:30]
	v_mov_b32_e32 v46, s12
	ds_read2_b64 v[35:38], v35 offset1:1
	ds_read2_b64 v[42:45], v42 offset1:1
	;; [unrolled: 1-line block ×3, first 2 shown]
	s_add_i32 s12, s8, 0xfffff620
	v_fma_f64 v[58:59], -v[27:28], v[58:59], v[52:53]
	s_waitcnt lgkmcnt(2)
	v_fma_f64 v[60:61], -v[15:16], v[37:38], v[39:40]
	v_mov_b32_e32 v37, s12
	ds_read2_b64 v[37:40], v37 offset1:1
	s_waitcnt lgkmcnt(1)
	v_fma_f64 v[29:30], -v[9:10], v[48:49], v[29:30]
	s_add_i32 s12, s8, 0xfffff770
	v_mov_b32_e32 v52, s12
	ds_read2_b64 v[48:51], v50 offset1:1
	ds_read2_b64 v[52:55], v52 offset1:1
	v_fma_f64 v[35:36], -v[17:18], v[35:36], v[60:61]
	s_add_i32 s12, s8, 0xfffff760
	v_fma_f64 v[29:30], -v[7:8], v[46:47], v[29:30]
	s_waitcnt lgkmcnt(1)
	v_fma_f64 v[46:47], -v[33:34], v[50:51], v[56:57]
	s_waitcnt lgkmcnt(0)
	v_fma_f64 v[50:51], -v[31:32], v[54:55], v[58:59]
	v_mov_b32_e32 v54, s12
	s_add_i32 s12, s8, 0xfffff6b8
	v_fma_f64 v[35:36], -v[21:22], v[44:45], v[35:36]
	v_fma_f64 v[39:40], -v[13:14], v[39:40], v[29:30]
	v_mul_f64 v[29:30], v[48:49], v[46:47]
	v_fma_f64 v[62:63], -v[33:34], v[52:53], v[50:51]
	v_mov_b32_e32 v52, s12
	s_add_i32 s12, s8, 0xfffff600
	v_fma_f64 v[64:65], -v[23:24], v[42:43], v[35:36]
	v_mov_b32_e32 v35, s13
	s_add_i32 s13, s8, 0xfffff610
	v_fma_f64 v[50:51], -v[15:16], v[37:38], v[39:40]
	ds_read2_b64 v[35:38], v35 offset1:1
	v_mov_b32_e32 v39, s14
	ds_read2_b64 v[42:45], v39 offset1:1
	v_mov_b32_e32 v46, s12
	ds_read2_b64 v[46:49], v46 offset1:1
	s_waitcnt lgkmcnt(2)
	v_fma_f64 v[25:26], -v[5:6], v[37:38], v[25:26]
	v_mov_b32_e32 v37, s13
	ds_read2_b64 v[37:40], v37 offset1:1
	s_add_i32 s12, s8, 0xfffff6a8
	s_add_i32 s13, s8, 0xfffff490
	s_waitcnt lgkmcnt(0)
	v_fma_f64 v[39:40], -v[17:18], v[39:40], v[50:51]
	v_fma_f64 v[25:26], -v[9:10], v[35:36], v[25:26]
	ds_read2_b64 v[50:53], v52 offset1:1
	ds_read2_b64 v[54:57], v54 offset1:1
	v_mov_b32_e32 v35, s12
	ds_read2_b64 v[58:61], v35 offset1:1
	s_add_i32 s12, s8, 0xfffff558
	s_waitcnt lgkmcnt(2)
	v_fma_f64 v[35:36], -v[27:28], v[52:53], v[64:65]
	s_waitcnt lgkmcnt(1)
	v_fma_f64 v[52:53], -v[29:30], v[56:57], v[62:63]
	v_fma_f64 v[37:38], -v[21:22], v[37:38], v[39:40]
	;; [unrolled: 1-line block ×4, first 2 shown]
	v_mov_b32_e32 v35, s12
	s_add_i32 s12, s8, 0xfffff4c0
	v_fma_f64 v[25:26], -v[13:14], v[42:43], v[25:26]
	v_mov_b32_e32 v39, s12
	v_fma_f64 v[56:57], -v[23:24], v[48:49], v[37:38]
	ds_read2_b64 v[35:38], v35 offset1:1
	ds_read_b64 v[39:40], v39
	s_add_i32 s12, s8, 0xfffff548
	v_mov_b32_e32 v42, s12
	s_add_i32 s12, s8, 0xfffff4b0
	s_waitcnt lgkmcnt(1)
	v_fma_f64 v[25:26], -v[15:16], v[37:38], v[25:26]
	s_waitcnt lgkmcnt(0)
	v_fma_f64 v[19:20], -v[5:6], v[39:40], v[19:20]
	v_mov_b32_e32 v37, s12
	ds_read2_b64 v[37:40], v37 offset1:1
	s_add_i32 s12, s8, 0xfffff4a0
	ds_read2_b64 v[42:45], v42 offset1:1
	v_mov_b32_e32 v48, s12
	v_fma_f64 v[64:65], -v[33:34], v[60:61], v[50:51]
	v_fma_f64 v[25:26], -v[17:18], v[35:36], v[25:26]
	s_waitcnt lgkmcnt(1)
	v_fma_f64 v[19:20], -v[9:10], v[39:40], v[19:20]
	v_fma_f64 v[39:40], -v[27:28], v[46:47], v[56:57]
	ds_read2_b64 v[48:51], v48 offset1:1
	s_add_i32 s12, s8, 0xfffff5f0
	v_mov_b32_e32 v35, s12
	ds_read2_b64 v[60:63], v35 offset1:1
	s_add_i32 s12, s8, 0xfffff5e0
	s_waitcnt lgkmcnt(2)
	v_fma_f64 v[25:26], -v[21:22], v[44:45], v[25:26]
	v_fma_f64 v[19:20], -v[7:8], v[37:38], v[19:20]
	v_mov_b32_e32 v35, s12
	s_waitcnt lgkmcnt(0)
	v_fma_f64 v[39:40], -v[31:32], v[62:63], v[39:40]
	s_add_i32 s12, s8, 0xfffff698
	v_mov_b32_e32 v44, s12
	s_add_i32 s12, s8, 0xfffff538
	v_mul_f64 v[74:75], v[54:55], v[52:53]
	v_fma_f64 v[25:26], -v[23:24], v[42:43], v[25:26]
	v_fma_f64 v[19:20], -v[13:14], v[50:51], v[19:20]
	v_mov_b32_e32 v42, s12
	ds_read2_b64 v[50:53], v42 offset1:1
	v_mov_b32_e32 v42, s13
	s_add_i32 s13, s8, 0xfffff480
	v_mov_b32_e32 v43, s13
	s_add_i32 s13, s8, 0xfffff3f8
	ds_read2_b64 v[35:38], v35 offset1:1
	v_fma_f64 v[19:20], -v[15:16], v[48:49], v[19:20]
	v_fma_f64 v[78:79], -v[29:30], v[58:59], v[64:65]
	ds_read2_b64 v[44:47], v44 offset1:1
	v_fma_f64 v[39:40], -v[33:34], v[60:61], v[39:40]
	ds_read2_b64 v[54:57], v42 offset1:1
	ds_read2_b64 v[58:61], v43 offset1:1
	v_mov_b32_e32 v42, s13
	ds_read2_b64 v[62:65], v42 offset1:1
	s_waitcnt lgkmcnt(5)
	v_fma_f64 v[25:26], -v[27:28], v[52:53], v[25:26]
	s_waitcnt lgkmcnt(2)
	v_fma_f64 v[19:20], -v[17:18], v[56:57], v[19:20]
	s_add_i32 s13, s8, 0xfffff3e8
	v_mov_b32_e32 v42, s13
	s_waitcnt lgkmcnt(0)
	v_fma_f64 v[11:12], -v[5:6], v[64:65], v[11:12]
	ds_read2_b64 v[66:69], v42 offset1:1
	s_add_i32 s13, s8, 0xfffff3c8
	s_add_i32 s12, s8, 0xfffff528
	v_fma_f64 v[25:26], -v[31:32], v[50:51], v[25:26]
	v_fma_f64 v[19:20], -v[21:22], v[54:55], v[19:20]
	v_mov_b32_e32 v50, s13
	v_fma_f64 v[37:38], -v[29:30], v[37:38], v[39:40]
	v_fma_f64 v[11:12], -v[9:10], v[62:63], v[11:12]
	ds_read2_b64 v[50:53], v50 offset1:1
	v_mov_b32_e32 v42, s12
	ds_read2_b64 v[70:73], v42 offset1:1
	v_fma_f64 v[42:43], -v[74:75], v[46:47], v[78:79]
	v_fma_f64 v[19:20], -v[23:24], v[60:61], v[19:20]
	s_add_i32 s12, s8, 0xfffff5d0
	v_fma_f64 v[39:40], -v[74:75], v[35:36], v[37:38]
	s_waitcnt lgkmcnt(2)
	v_fma_f64 v[11:12], -v[7:8], v[68:69], v[11:12]
	v_mov_b32_e32 v35, s12
	s_add_i32 s12, s8, 0xfffff470
	ds_read2_b64 v[35:38], v35 offset1:1
	v_mul_f64 v[64:65], v[44:45], v[42:43]
	v_fma_f64 v[19:20], -v[27:28], v[58:59], v[19:20]
	v_mov_b32_e32 v42, s12
	s_add_i32 s12, s8, 0xfffff3d8
	v_fma_f64 v[11:12], -v[13:14], v[66:67], v[11:12]
	v_mov_b32_e32 v46, s12
	ds_read2_b64 v[42:45], v42 offset1:1
	ds_read2_b64 v[46:49], v46 offset1:1
	s_add_i32 s12, s8, 0xfffff460
	s_waitcnt lgkmcnt(3)
	v_fma_f64 v[25:26], -v[33:34], v[72:73], v[25:26]
	s_add_i32 s13, s8, 0xfffff278
	s_waitcnt lgkmcnt(1)
	v_fma_f64 v[19:20], -v[31:32], v[44:45], v[19:20]
	s_waitcnt lgkmcnt(0)
	v_fma_f64 v[11:12], -v[15:16], v[48:49], v[11:12]
	v_mov_b32_e32 v48, s12
	s_add_i32 s12, s8, 0xfffff518
	v_fma_f64 v[44:45], -v[64:65], v[37:38], v[39:40]
	v_mov_b32_e32 v37, s12
	s_add_i32 s12, s8, 0xfffff340
	ds_read2_b64 v[54:57], v48 offset1:1
	v_fma_f64 v[19:20], -v[33:34], v[42:43], v[19:20]
	v_fma_f64 v[11:12], -v[17:18], v[46:47], v[11:12]
	v_mov_b32_e32 v42, s12
	ds_read_b64 v[42:43], v42
	s_add_i32 s12, s8, 0xfffff330
	v_mul_f64 v[66:67], v[35:36], v[44:45]
	v_mov_b32_e32 v35, s12
	s_add_i32 s12, s8, 0xfffff320
	s_waitcnt lgkmcnt(0)
	v_fma_f64 v[3:4], -v[5:6], v[42:43], v[3:4]
	v_fma_f64 v[11:12], -v[21:22], v[52:53], v[11:12]
	ds_read2_b64 v[42:45], v35 offset1:1
	v_fma_f64 v[25:26], -v[29:30], v[70:71], v[25:26]
	v_mov_b32_e32 v35, s12
	s_add_i32 s12, s8, 0xfffff3b8
	ds_read2_b64 v[46:49], v35 offset1:1
	v_mov_b32_e32 v35, s12
	s_waitcnt lgkmcnt(1)
	v_fma_f64 v[3:4], -v[9:10], v[44:45], v[3:4]
	v_fma_f64 v[11:12], -v[23:24], v[50:51], v[11:12]
	ds_read2_b64 v[50:53], v35 offset1:1
	v_mov_b32_e32 v35, s13
	ds_read2_b64 v[37:40], v37 offset1:1
	v_fma_f64 v[19:20], -v[29:30], v[56:57], v[19:20]
	ds_read2_b64 v[56:59], v35 offset1:1
	s_add_i32 s13, s8, 0xfffff268
	v_fma_f64 v[35:36], -v[7:8], v[42:43], v[3:4]
	s_waitcnt lgkmcnt(1)
	v_fma_f64 v[25:26], -v[74:75], v[39:40], v[25:26]
	v_fma_f64 v[11:12], -v[27:28], v[52:53], v[11:12]
	s_waitcnt lgkmcnt(0)
	v_fma_f64 v[39:40], -v[5:6], v[58:59], v[1:2]
	v_mov_b32_e32 v3, s13
	ds_read2_b64 v[42:45], v3 offset1:1
	s_add_i32 s12, s8, 0xfffff3a8
	v_mov_b32_e32 v1, s12
	v_fma_f64 v[48:49], -v[13:14], v[48:49], v[35:36]
	s_add_i32 s12, s8, 0xfffff508
	v_fma_f64 v[19:20], -v[74:75], v[54:55], v[19:20]
	v_fma_f64 v[39:40], -v[9:10], v[56:57], v[39:40]
	;; [unrolled: 1-line block ×3, first 2 shown]
	v_mov_b32_e32 v35, s12
	s_add_i32 s12, s8, 0xfffff310
	ds_read2_b64 v[1:4], v1 offset1:1
	v_fma_f64 v[54:55], -v[15:16], v[46:47], v[48:49]
	v_mov_b32_e32 v46, s12
	ds_read2_b64 v[46:49], v46 offset1:1
	s_waitcnt lgkmcnt(2)
	v_fma_f64 v[39:40], -v[7:8], v[44:45], v[39:40]
	s_add_i32 s12, s8, 0xfffff300
	v_mov_b32_e32 v44, s12
	ds_read2_b64 v[50:53], v44 offset1:1
	s_add_i32 s12, s8, 0xfffff450
	s_waitcnt lgkmcnt(1)
	v_fma_f64 v[48:49], -v[17:18], v[48:49], v[54:55]
	v_fma_f64 v[3:4], -v[33:34], v[3:4], v[11:12]
	v_mov_b32_e32 v54, s12
	v_fma_f64 v[11:12], -v[13:14], v[42:43], v[39:40]
	s_add_i32 s12, s8, 0xfffff258
	v_mov_b32_e32 v39, s12
	ds_read2_b64 v[42:45], v39 offset1:1
	v_fma_f64 v[25:26], -v[64:65], v[37:38], v[25:26]
	v_fma_f64 v[39:40], -v[21:22], v[46:47], v[48:49]
	ds_read2_b64 v[35:38], v35 offset1:1
	s_add_i32 s12, s8, 0xfffff248
	s_waitcnt lgkmcnt(1)
	v_fma_f64 v[11:12], -v[15:16], v[44:45], v[11:12]
	v_mov_b32_e32 v46, s12
	ds_read2_b64 v[46:49], v46 offset1:1
	ds_read2_b64 v[54:57], v54 offset1:1
	s_waitcnt lgkmcnt(2)
	v_fma_f64 v[25:26], -v[66:67], v[37:38], v[25:26]
	v_fma_f64 v[37:38], -v[23:24], v[52:53], v[39:40]
	;; [unrolled: 1-line block ×3, first 2 shown]
	s_add_i32 s12, s8, 0xfffff398
	v_fma_f64 v[1:2], -v[17:18], v[42:43], v[11:12]
	s_waitcnt lgkmcnt(0)
	v_fma_f64 v[19:20], -v[64:65], v[56:57], v[19:20]
	v_mov_b32_e32 v39, s12
	s_add_i32 s12, s8, 0xfffff388
	v_mov_b32_e32 v42, s12
	v_fma_f64 v[11:12], -v[27:28], v[50:51], v[37:38]
	s_add_i32 s12, s8, 0xfffff2f0
	v_mov_b32_e32 v3, s12
	v_fma_f64 v[56:57], -v[21:22], v[48:49], v[1:2]
	ds_read2_b64 v[1:4], v3 offset1:1
	ds_read2_b64 v[37:40], v39 offset1:1
	;; [unrolled: 1-line block ×3, first 2 shown]
	s_add_i32 s12, s8, 0xfffff2e0
	v_mov_b32_e32 v48, s12
	s_add_i32 s12, s8, 0xfffff238
	s_waitcnt lgkmcnt(2)
	v_fma_f64 v[3:4], -v[31:32], v[3:4], v[11:12]
	s_waitcnt lgkmcnt(1)
	v_fma_f64 v[39:40], -v[74:75], v[39:40], v[52:53]
	v_mul_f64 v[25:26], v[35:36], v[25:26]
	v_fma_f64 v[11:12], -v[23:24], v[46:47], v[56:57]
	v_mov_b32_e32 v46, s12
	ds_read2_b64 v[56:59], v46 offset1:1
	s_add_i32 s12, s8, 0xfffff228
	v_mov_b32_e32 v46, s12
	ds_read2_b64 v[60:63], v46 offset1:1
	v_fma_f64 v[46:47], -v[33:34], v[1:2], v[3:4]
	v_fma_f64 v[35:36], -v[64:65], v[37:38], v[39:40]
	s_waitcnt lgkmcnt(1)
	v_fma_f64 v[11:12], -v[27:28], v[58:59], v[11:12]
	ds_read2_b64 v[48:51], v48 offset1:1
	v_fma_f64 v[19:20], -v[66:67], v[54:55], v[19:20]
	s_add_i32 s12, s8, 0xfffff440
	v_mov_b32_e32 v1, s12
	ds_read2_b64 v[1:4], v1 offset1:1
	s_waitcnt lgkmcnt(1)
	v_fma_f64 v[37:38], -v[29:30], v[50:51], v[46:47]
	v_fma_f64 v[39:40], -v[66:67], v[44:45], v[35:36]
	;; [unrolled: 1-line block ×3, first 2 shown]
	ds_write_b64 v41, v[5:6]
	v_add_u32_e32 v41, s11, v77
	s_add_i32 s11, s8, 0xfffff2d0
	s_waitcnt lgkmcnt(1)
	v_fma_f64 v[19:20], -v[25:26], v[3:4], v[19:20]
	v_mov_b32_e32 v3, s11
	v_fma_f64 v[44:45], -v[74:75], v[48:49], v[37:38]
	s_add_i32 s11, s8, 0xfffff2c0
	v_fma_f64 v[35:36], -v[33:34], v[62:63], v[11:12]
	ds_write_b64 v41, v[9:10]
	v_mov_b32_e32 v9, s11
	s_add_i32 s11, s8, 0xfffff218
	ds_read2_b64 v[3:6], v3 offset1:1
	ds_read2_b64 v[9:12], v9 offset1:1
	v_mul_f64 v[19:20], v[1:2], v[19:20]
	v_fma_f64 v[39:40], -v[25:26], v[42:43], v[39:40]
	v_add_u32_e32 v42, 0xffffff40, v41
	v_fma_f64 v[48:49], -v[29:30], v[60:61], v[35:36]
	v_mov_b32_e32 v35, s11
	ds_read2_b64 v[35:38], v35 offset1:1
	s_add_i32 s11, s8, 0xfffff208
	s_waitcnt lgkmcnt(2)
	v_fma_f64 v[5:6], -v[64:65], v[5:6], v[44:45]
	v_mov_b32_e32 v44, s11
	ds_read2_b64 v[44:47], v44 offset1:1
	s_add_i32 s11, s8, 0xfffff378
	s_waitcnt lgkmcnt(1)
	v_fma_f64 v[37:38], -v[74:75], v[37:38], v[48:49]
	v_mov_b32_e32 v1, s11
	ds_write_b64 v42, v[7:8]
	v_add_u32_e32 v7, 0xfffffe80, v41
	v_fma_f64 v[5:6], -v[66:67], v[3:4], v[5:6]
	ds_read2_b64 v[1:4], v1 offset1:1
	ds_write_b64 v7, v[13:14]
	v_add_u32_e32 v7, 0xfffffdc0, v41
	v_fma_f64 v[35:36], -v[64:65], v[35:36], v[37:38]
	ds_write_b64 v7, v[15:16]
	s_waitcnt lgkmcnt(2)
	v_fma_f64 v[3:4], -v[19:20], v[3:4], v[39:40]
	s_add_i32 s11, s8, 0xfffff2b0
	v_fma_f64 v[5:6], -v[25:26], v[11:12], v[5:6]
	v_add_u32_e32 v11, 0xfffffd00, v41
	ds_write_b64 v11, v[17:18]
	v_add_u32_e32 v15, 0xfffffc40, v41
	v_fma_f64 v[7:8], -v[66:67], v[46:47], v[35:36]
	ds_write_b64 v15, v[21:22]
	v_mul_f64 v[11:12], v[1:2], v[3:4]
	v_mov_b32_e32 v1, s11
	v_fma_f64 v[9:10], -v[19:20], v[9:10], v[5:6]
	s_add_i32 s11, s8, 0xfffff1f8
	v_mov_b32_e32 v5, s11
	ds_read2_b64 v[1:4], v1 offset1:1
	v_fma_f64 v[13:14], -v[25:26], v[44:45], v[7:8]
	ds_read2_b64 v[5:8], v5 offset1:1
	s_addk_i32 s8, 0xf1e8
	v_add_u32_e32 v15, 0xfffffb80, v41
	s_waitcnt lgkmcnt(1)
	v_fma_f64 v[3:4], -v[11:12], v[3:4], v[9:10]
	v_add_u32_e32 v9, 0xfffffac0, v41
	ds_write_b64 v9, v[27:28]
	v_add_u32_e32 v9, 0xfffffa00, v41
	s_waitcnt lgkmcnt(1)
	v_fma_f64 v[7:8], -v[19:20], v[7:8], v[13:14]
	ds_write_b64 v9, v[31:32]
	v_add_u32_e32 v13, 0xfffff940, v41
	ds_write_b64 v15, v[23:24]
	v_mul_f64 v[9:10], v[1:2], v[3:4]
	v_mov_b32_e32 v1, s8
	ds_read2_b64 v[1:4], v1 offset1:1
	ds_write_b64 v13, v[33:34]
	v_fma_f64 v[5:6], -v[11:12], v[5:6], v[7:8]
	v_add_u32_e32 v7, 0xfffff880, v41
	ds_write_b64 v7, v[29:30]
	v_add_u32_e32 v7, 0xfffff7c0, v41
	ds_write_b64 v7, v[74:75]
	s_waitcnt lgkmcnt(3)
	v_fma_f64 v[3:4], -v[9:10], v[3:4], v[5:6]
	v_add_u32_e32 v5, 0xfffff700, v41
	ds_write_b64 v5, v[64:65]
	v_add_u32_e32 v5, 0xfffff640, v41
	ds_write_b64 v5, v[66:67]
	;; [unrolled: 2-line block ×3, first 2 shown]
	v_mul_f64 v[1:2], v[1:2], v[3:4]
	v_add_u32_e32 v3, 0xfffff4c0, v41
	ds_write_b64 v3, v[19:20]
	v_add_u32_e32 v3, 0xfffff400, v41
	ds_write_b64 v3, v[11:12]
	v_add_u32_e32 v3, 0xfffff340, v41
	ds_write_b64 v3, v[9:10]
	v_add_u32_e32 v3, 0xfffff280, v41
	ds_write_b64 v3, v[1:2]
.LBB94_18:
	s_cmp_lt_i32 s5, 0
	s_cbranch_scc1 .LBB94_31
; %bb.19:
	s_bitcmp1_b32 s5, 0
	s_cselect_b64 s[12:13], -1, 0
	s_and_b64 vcc, exec, s[12:13]
	s_mov_b32 s8, s5
	s_cbranch_vccnz .LBB94_24
; %bb.20:
	s_mul_i32 s8, s5, 0xc0
	v_add_u32_e32 v3, s8, v77
	ds_read_b64 v[1:2], v3
	s_cmp_le_i32 s4, s5
	s_cbranch_scc1 .LBB94_23
; %bb.21:
	s_lshl_b32 s11, s22, 3
	s_add_i32 s8, s8, s11
	s_mul_i32 s11, s22, 0xc0
	v_lshl_add_u32 v4, v0, 3, s11
	s_add_i32 s8, s8, -8
	v_add_u32_e32 v4, 0x1140, v4
	s_mov_b32 s11, s4
.LBB94_22:                              ; =>This Inner Loop Header: Depth=1
	v_mov_b32_e32 v7, s8
	ds_read_b64 v[5:6], v4
	ds_read_b64 v[7:8], v7
	s_add_i32 s11, s11, -1
	s_add_i32 s8, s8, -8
	s_cmp_gt_i32 s11, s5
	v_add_u32_e32 v4, 0xffffff40, v4
	s_waitcnt lgkmcnt(0)
	v_fma_f64 v[1:2], -v[5:6], v[7:8], v[1:2]
	s_cbranch_scc1 .LBB94_22
.LBB94_23:
	s_mul_i32 s8, s5, 0xc8
	v_mov_b32_e32 v4, s8
	ds_read_b64 v[4:5], v4
	s_add_i32 s8, s5, -1
	s_waitcnt lgkmcnt(0)
	v_mul_f64 v[1:2], v[4:5], v[1:2]
	ds_write_b64 v3, v[1:2]
.LBB94_24:
	s_cmp_eq_u32 s5, 0
	s_cbranch_scc1 .LBB94_31
; %bb.25:
	s_mul_i32 s5, s8, 0xc0
	s_lshl_b32 s11, s22, 3
	s_mul_i32 s12, s22, 0xc0
	s_add_i32 s11, s5, s11
	v_lshl_add_u32 v1, v0, 3, s12
	s_add_i32 s5, s11, -8
	v_add_u32_e32 v5, 0x1140, v1
	s_addk_i32 s11, 0xff38
	s_branch .LBB94_27
.LBB94_26:                              ;   in Loop: Header=BB94_27 Depth=1
	s_addk_i32 s12, 0xff38
	v_mov_b32_e32 v1, s12
	ds_read_b64 v[1:2], v1
	s_add_i32 s12, s8, -2
	s_addk_i32 s5, 0xfe80
	s_addk_i32 s11, 0xfe80
	s_cmp_lt_i32 s8, 2
	s_waitcnt lgkmcnt(0)
	v_mul_f64 v[1:2], v[1:2], v[3:4]
	s_mov_b32 s8, s12
	ds_write_b64 v7, v[1:2]
	s_cbranch_scc1 .LBB94_31
.LBB94_27:                              ; =>This Loop Header: Depth=1
                                        ;     Child Loop BB94_28 Depth 2
                                        ;     Child Loop BB94_30 Depth 2
	s_mul_i32 s13, s8, 0xc0
	v_add_u32_e32 v6, s13, v77
	ds_read_b64 v[1:2], v6
	s_cmp_le_i32 s4, s8
	v_mov_b32_e32 v3, v5
	s_mov_b32 s12, s5
	s_mov_b32 s14, s4
	s_cbranch_scc1 .LBB94_29
.LBB94_28:                              ;   Parent Loop BB94_27 Depth=1
                                        ; =>  This Inner Loop Header: Depth=2
	v_mov_b32_e32 v4, s12
	ds_read_b64 v[7:8], v3
	ds_read_b64 v[9:10], v4
	s_add_i32 s14, s14, -1
	s_add_i32 s12, s12, -8
	s_cmp_gt_i32 s14, s8
	v_add_u32_e32 v3, 0xffffff40, v3
	s_waitcnt lgkmcnt(0)
	v_fma_f64 v[1:2], -v[7:8], v[9:10], v[1:2]
	s_cbranch_scc1 .LBB94_28
.LBB94_29:                              ;   in Loop: Header=BB94_27 Depth=1
	s_mul_i32 s12, s8, 0xc8
	v_mov_b32_e32 v3, s12
	ds_read_b64 v[8:9], v3
	s_addk_i32 s13, 0xff40
	v_add_u32_e32 v7, s13, v77
	ds_read_b64 v[3:4], v7
	s_mov_b32 s13, s11
	s_waitcnt lgkmcnt(1)
	v_mul_f64 v[8:9], v[8:9], v[1:2]
	v_mov_b32_e32 v1, v5
	s_cmp_le_i32 s22, s8
	s_mov_b32 s14, s22
	ds_write_b64 v6, v[8:9]
	s_cbranch_scc1 .LBB94_26
.LBB94_30:                              ;   Parent Loop BB94_27 Depth=1
                                        ; =>  This Inner Loop Header: Depth=2
	v_mov_b32_e32 v2, s13
	ds_read_b64 v[8:9], v1
	ds_read_b64 v[10:11], v2
	s_add_i32 s14, s14, -1
	s_add_i32 s13, s13, -8
	s_cmp_gt_i32 s14, s8
	v_add_u32_e32 v1, 0xffffff40, v1
	s_waitcnt lgkmcnt(0)
	v_fma_f64 v[3:4], -v[8:9], v[10:11], v[3:4]
	s_cbranch_scc1 .LBB94_30
	s_branch .LBB94_26
.LBB94_31:
	s_mov_b64 s[4:5], 0
.LBB94_32:
	s_and_b64 vcc, exec, s[4:5]
	s_cbranch_vccz .LBB94_46
; %bb.33:
	s_cmp_gt_i32 s10, 23
	s_cselect_b64 s[4:5], -1, 0
	s_mov_b32 s11, 0
	s_and_b64 vcc, exec, s[4:5]
	s_cbranch_vccz .LBB94_35
; %bb.34:
	ds_read2_b64 v[1:4], v77 offset1:24
	v_mov_b32_e32 v75, 0
	ds_read_b128 v[5:8], v75
	ds_read_b128 v[39:42], v75 offset:16
	ds_read2_b64 v[43:46], v77 offset0:48 offset1:72
	ds_read2_b64 v[21:24], v77 offset0:96 offset1:120
	;; [unrolled: 1-line block ×4, first 2 shown]
	v_add_u32_e32 v74, 0x400, v77
	v_add_u32_e32 v73, 0x800, v77
	s_waitcnt lgkmcnt(5)
	v_mul_f64 v[65:66], v[5:6], v[1:2]
	v_add_u32_e32 v76, 0x1000, v77
	s_movk_i32 s8, 0x400
	s_mov_b32 s11, 24
	v_fma_f64 v[1:2], -v[65:66], v[7:8], v[3:4]
	ds_read2_b64 v[47:50], v75 offset0:25 offset1:26
	ds_read2_b64 v[9:12], v74 offset0:112 offset1:136
	;; [unrolled: 1-line block ×4, first 2 shown]
	s_waitcnt lgkmcnt(7)
	v_fma_f64 v[43:44], -v[65:66], v[39:40], v[43:44]
	v_fma_f64 v[71:72], -v[65:66], v[41:42], v[45:46]
	s_waitcnt lgkmcnt(3)
	v_mul_f64 v[67:68], v[47:48], v[1:2]
	ds_read2_b64 v[1:4], v73 offset0:80 offset1:104
	ds_read_b128 v[33:36], v75 offset:400
	ds_read2_b64 v[25:28], v75 offset0:75 offset1:76
	ds_read2_b64 v[37:40], v75 offset0:77 offset1:78
	ds_read_b128 v[57:60], v75 offset:32
	ds_read_b128 v[61:64], v75 offset:48
	s_waitcnt lgkmcnt(1)
	v_fma_f64 v[57:58], -v[65:66], v[57:58], v[21:22]
	v_fma_f64 v[23:24], -v[65:66], v[59:60], v[23:24]
	s_waitcnt lgkmcnt(0)
	v_fma_f64 v[118:119], -v[65:66], v[61:62], v[17:18]
	v_fma_f64 v[69:70], -v[67:68], v[49:50], v[43:44]
	v_fma_f64 v[29:30], -v[67:68], v[29:30], v[71:72]
	ds_read_b128 v[53:56], v75 offset:416
	ds_read_b128 v[49:52], v75 offset:432
	;; [unrolled: 1-line block ×4, first 2 shown]
	ds_read2_b64 v[78:81], v75 offset0:45 offset1:46
	v_fma_f64 v[19:20], -v[65:66], v[63:64], v[19:20]
	v_fma_f64 v[110:111], -v[67:68], v[31:32], v[57:58]
	v_mul_f64 v[21:22], v[33:34], v[69:70]
	ds_read2_b64 v[69:72], v75 offset0:29 offset1:30
	ds_read2_b64 v[82:85], v75 offset0:31 offset1:32
	;; [unrolled: 1-line block ×6, first 2 shown]
	s_waitcnt lgkmcnt(5)
	v_fma_f64 v[69:70], -v[67:68], v[69:70], v[23:24]
	v_fma_f64 v[118:119], -v[67:68], v[71:72], v[118:119]
	s_waitcnt lgkmcnt(4)
	v_fma_f64 v[19:20], -v[67:68], v[82:83], v[19:20]
	v_fma_f64 v[112:113], -v[21:22], v[35:36], v[29:30]
	;; [unrolled: 1-line block ×4, first 2 shown]
	ds_read2_b64 v[29:32], v75 offset0:175 offset1:176
	ds_read2_b64 v[33:36], v75 offset0:177 offset1:178
	ds_read_b128 v[57:60], v75 offset:64
	ds_read_b128 v[102:105], v75 offset:80
	;; [unrolled: 1-line block ×3, first 2 shown]
	v_fma_f64 v[124:125], -v[21:22], v[49:50], v[118:119]
	v_fma_f64 v[19:20], -v[21:22], v[51:52], v[19:20]
	s_waitcnt lgkmcnt(2)
	v_fma_f64 v[122:123], -v[65:66], v[57:58], v[13:14]
	v_fma_f64 v[15:16], -v[65:66], v[59:60], v[15:16]
	v_mul_f64 v[17:18], v[25:26], v[112:113]
	ds_read_b128 v[23:26], v75 offset:448
	ds_read_b128 v[110:113], v75 offset:464
	;; [unrolled: 1-line block ×4, first 2 shown]
	s_waitcnt lgkmcnt(5)
	v_fma_f64 v[11:12], -v[65:66], v[104:105], v[11:12]
	s_waitcnt lgkmcnt(4)
	v_fma_f64 v[5:6], -v[65:66], v[106:107], v[5:6]
	v_fma_f64 v[7:8], -v[65:66], v[108:109], v[7:8]
	;; [unrolled: 1-line block ×4, first 2 shown]
	ds_read_b128 v[53:56], v75 offset:1216
	ds_read_b128 v[69:72], v75 offset:1232
	;; [unrolled: 1-line block ×4, first 2 shown]
	v_fma_f64 v[19:20], -v[17:18], v[94:95], v[19:20]
	v_mul_f64 v[13:14], v[45:46], v[27:28]
	v_fma_f64 v[27:28], -v[67:68], v[84:85], v[122:123]
	v_fma_f64 v[45:46], -v[17:18], v[39:40], v[124:125]
	ds_read2_b64 v[49:52], v75 offset0:33 offset1:34
	ds_read2_b64 v[82:85], v75 offset0:35 offset1:36
	v_fma_f64 v[122:123], -v[65:66], v[102:103], v[9:10]
	s_waitcnt lgkmcnt(1)
	v_fma_f64 v[15:16], -v[67:68], v[49:50], v[15:16]
	v_fma_f64 v[47:48], -v[13:14], v[47:48], v[37:38]
	;; [unrolled: 1-line block ×6, first 2 shown]
	ds_read2_b64 v[37:40], v75 offset0:83 offset1:84
	s_waitcnt lgkmcnt(1)
	v_fma_f64 v[82:83], -v[67:68], v[82:83], v[11:12]
	v_fma_f64 v[15:16], -v[21:22], v[25:26], v[15:16]
	v_mul_f64 v[9:10], v[86:87], v[47:48]
	v_fma_f64 v[27:28], -v[17:18], v[96:97], v[27:28]
	ds_read2_b64 v[45:48], v75 offset0:129 offset1:130
	ds_read2_b64 v[102:105], v75 offset0:131 offset1:132
	;; [unrolled: 1-line block ×4, first 2 shown]
	v_fma_f64 v[110:111], -v[21:22], v[110:111], v[94:95]
	v_fma_f64 v[82:83], -v[21:22], v[112:113], v[82:83]
	;; [unrolled: 1-line block ×4, first 2 shown]
	ds_read_b128 v[41:44], v75 offset:1200
	ds_read2_b64 v[86:89], v75 offset0:141 offset1:142
	v_fma_f64 v[27:28], -v[13:14], v[61:62], v[27:28]
	v_fma_f64 v[19:20], -v[9:10], v[90:91], v[19:20]
	;; [unrolled: 1-line block ×3, first 2 shown]
	ds_read_b128 v[98:101], v75 offset:480
	s_waitcnt lgkmcnt(7)
	v_fma_f64 v[37:38], -v[17:18], v[37:38], v[82:83]
	v_fma_f64 v[15:16], -v[13:14], v[63:64], v[15:16]
	s_waitcnt lgkmcnt(2)
	v_mul_f64 v[11:12], v[41:42], v[96:97]
	ds_read_b128 v[94:97], v75 offset:112
	v_fma_f64 v[27:28], -v[9:10], v[92:93], v[27:28]
	v_fma_f64 v[92:93], -v[67:68], v[84:85], v[5:6]
	;; [unrolled: 1-line block ×6, first 2 shown]
	ds_read_b128 v[41:44], v75 offset:864
	ds_read2_b64 v[61:64], v75 offset0:85 offset1:86
	v_fma_f64 v[45:46], -v[11:12], v[53:54], v[27:28]
	s_waitcnt lgkmcnt(2)
	v_fma_f64 v[3:4], -v[65:66], v[96:97], v[3:4]
	v_fma_f64 v[53:54], -v[9:10], v[47:48], v[90:91]
	;; [unrolled: 1-line block ×4, first 2 shown]
	v_mul_f64 v[5:6], v[29:30], v[19:20]
	v_fma_f64 v[19:20], -v[21:22], v[98:99], v[92:93]
	ds_read2_b64 v[27:30], v75 offset0:37 offset1:38
	ds_read_b128 v[82:85], v75 offset:496
	v_fma_f64 v[69:70], -v[11:12], v[69:70], v[53:54]
	s_waitcnt lgkmcnt(1)
	v_fma_f64 v[7:8], -v[67:68], v[27:28], v[7:8]
	v_fma_f64 v[27:28], -v[9:10], v[102:103], v[37:38]
	;; [unrolled: 1-line block ×5, first 2 shown]
	ds_read2_b64 v[45:48], v75 offset0:39 offset1:40
	v_fma_f64 v[35:36], -v[5:6], v[35:36], v[69:70]
	v_fma_f64 v[7:8], -v[21:22], v[100:101], v[7:8]
	;; [unrolled: 1-line block ×3, first 2 shown]
	v_mul_f64 v[1:2], v[57:58], v[31:32]
	v_fma_f64 v[19:20], -v[13:14], v[41:42], v[19:20]
	v_fma_f64 v[41:42], -v[67:68], v[29:30], v[90:91]
	ds_read2_b64 v[31:34], v75 offset0:179 offset1:180
	ds_read2_b64 v[37:40], v75 offset0:181 offset1:182
	ds_read_b128 v[53:56], v75 offset:880
	s_waitcnt lgkmcnt(3)
	v_fma_f64 v[3:4], -v[67:68], v[45:46], v[3:4]
	v_fma_f64 v[7:8], -v[17:18], v[61:62], v[7:8]
	s_waitcnt lgkmcnt(2)
	v_fma_f64 v[31:32], -v[5:6], v[31:32], v[71:72]
	v_fma_f64 v[15:16], -v[1:2], v[59:60], v[15:16]
	;; [unrolled: 1-line block ×3, first 2 shown]
	ds_read_b128 v[27:30], v75 offset:1248
	ds_read_b128 v[57:60], v75 offset:1264
	v_fma_f64 v[41:42], -v[21:22], v[82:83], v[41:42]
	v_fma_f64 v[35:36], -v[1:2], v[118:119], v[35:36]
	ds_read_b128 v[69:72], v75 offset:1632
	ds_read_b128 v[90:93], v75 offset:1648
	v_fma_f64 v[7:8], -v[13:14], v[43:44], v[7:8]
	ds_read2_b64 v[98:101], v75 offset0:133 offset1:134
	ds_read2_b64 v[102:105], v75 offset0:135 offset1:136
	v_mul_f64 v[15:16], v[23:24], v[15:16]
	s_waitcnt lgkmcnt(5)
	v_fma_f64 v[19:20], -v[11:12], v[27:28], v[19:20]
	v_fma_f64 v[3:4], -v[21:22], v[84:85], v[3:4]
	;; [unrolled: 1-line block ×4, first 2 shown]
	s_waitcnt lgkmcnt(1)
	v_fma_f64 v[7:8], -v[9:10], v[98:99], v[7:8]
	v_fma_f64 v[35:36], -v[15:16], v[25:26], v[35:36]
	;; [unrolled: 1-line block ×3, first 2 shown]
	ds_read_b128 v[23:26], v75 offset:2000
	ds_read2_b64 v[31:34], v75 offset0:237 offset1:238
	v_fma_f64 v[53:54], -v[13:14], v[53:54], v[27:28]
	v_fma_f64 v[49:50], -v[15:16], v[49:50], v[41:42]
	;; [unrolled: 1-line block ×3, first 2 shown]
	ds_read_b128 v[27:30], v75 offset:2016
	s_waitcnt lgkmcnt(2)
	v_mul_f64 v[118:119], v[23:24], v[35:36]
	v_fma_f64 v[19:20], -v[1:2], v[69:70], v[19:20]
	v_mov_b32_e32 v23, 0x898
	v_fma_f64 v[45:46], -v[9:10], v[100:101], v[53:54]
	ds_read2_b64 v[41:44], v23 offset1:1
	v_fma_f64 v[7:8], -v[5:6], v[37:38], v[7:8]
	v_fma_f64 v[53:54], -v[118:119], v[25:26], v[49:50]
	;; [unrolled: 1-line block ×3, first 2 shown]
	ds_read2_b64 v[23:26], v75 offset0:87 offset1:88
	ds_read2_b64 v[49:52], v75 offset0:89 offset1:90
	v_fma_f64 v[45:46], -v[11:12], v[57:58], v[45:46]
	ds_read_b128 v[35:38], v75 offset:4400
	ds_read_b128 v[61:64], v75 offset:2032
	s_waitcnt lgkmcnt(3)
	v_fma_f64 v[3:4], -v[17:18], v[23:24], v[3:4]
	v_fma_f64 v[7:8], -v[1:2], v[71:72], v[7:8]
	v_mul_f64 v[120:121], v[41:42], v[53:54]
	v_fma_f64 v[19:20], -v[118:119], v[27:28], v[19:20]
	v_mov_b32_e32 v27, 0x8a8
	v_fma_f64 v[23:24], -v[5:6], v[39:40], v[45:46]
	ds_read2_b64 v[39:42], v75 offset0:229 offset1:230
	v_fma_f64 v[3:4], -v[13:14], v[55:56], v[3:4]
	ds_read_b128 v[53:56], v75 offset:2400
	v_fma_f64 v[19:20], -v[120:121], v[43:44], v[19:20]
	ds_read2_b64 v[43:46], v75 offset0:231 offset1:232
	s_waitcnt lgkmcnt(2)
	v_fma_f64 v[7:8], -v[15:16], v[39:40], v[7:8]
	v_fma_f64 v[23:24], -v[1:2], v[90:91], v[23:24]
	v_mov_b32_e32 v39, 0xa28
	v_fma_f64 v[3:4], -v[9:10], v[102:103], v[3:4]
	ds_read2_b64 v[69:72], v73 offset0:128 offset1:152
	ds_read_b128 v[82:85], v75 offset:2416
	s_waitcnt lgkmcnt(3)
	v_mul_f64 v[19:20], v[53:54], v[19:20]
	v_fma_f64 v[7:8], -v[118:119], v[29:30], v[7:8]
	v_fma_f64 v[23:24], -v[15:16], v[41:42], v[23:24]
	ds_read2_b64 v[27:30], v27 offset1:1
	v_fma_f64 v[3:4], -v[11:12], v[59:60], v[3:4]
	ds_read2_b64 v[39:42], v39 offset1:1
	ds_read2_b64 v[57:60], v75 offset0:183 offset1:184
	ds_read_b128 v[94:97], v75 offset:128
	ds_read_b128 v[106:109], v75 offset:144
	ds_read2_b64 v[98:101], v75 offset0:185 offset1:186
	s_waitcnt lgkmcnt(5)
	v_fma_f64 v[7:8], -v[120:121], v[27:28], v[7:8]
	v_fma_f64 v[23:24], -v[118:119], v[61:62], v[23:24]
	s_waitcnt lgkmcnt(2)
	v_fma_f64 v[27:28], -v[65:66], v[94:95], v[69:70]
	v_fma_f64 v[3:4], -v[5:6], v[57:58], v[3:4]
	;; [unrolled: 1-line block ×6, first 2 shown]
	ds_read_b128 v[27:30], v75 offset:512
	ds_read_b128 v[53:56], v75 offset:528
	v_mul_f64 v[7:8], v[39:40], v[7:8]
	v_fma_f64 v[23:24], -v[19:20], v[82:83], v[23:24]
	s_waitcnt lgkmcnt(1)
	v_fma_f64 v[27:28], -v[21:22], v[27:28], v[47:48]
	v_fma_f64 v[3:4], -v[15:16], v[43:44], v[3:4]
	v_mov_b32_e32 v47, 0xa38
	v_fma_f64 v[43:44], -v[7:8], v[41:42], v[23:24]
	v_mov_b32_e32 v23, 0x8b8
	v_fma_f64 v[3:4], -v[118:119], v[63:64], v[3:4]
	v_fma_f64 v[27:28], -v[17:18], v[25:26], v[27:28]
	ds_read2_b64 v[23:26], v23 offset1:1
	ds_read_b128 v[39:42], v75 offset:2800
	ds_read_b128 v[61:64], v75 offset:896
	ds_read2_b64 v[90:93], v47 offset1:1
	ds_read_b128 v[110:113], v75 offset:912
	ds_read2_b64 v[114:117], v73 offset0:176 offset1:200
	s_waitcnt lgkmcnt(4)
	v_mul_f64 v[122:123], v[39:40], v[43:44]
	v_fma_f64 v[3:4], -v[120:121], v[23:24], v[3:4]
	s_waitcnt lgkmcnt(3)
	v_fma_f64 v[23:24], -v[13:14], v[61:62], v[27:28]
	v_fma_f64 v[27:28], -v[65:66], v[96:97], v[71:72]
	ds_read2_b64 v[69:72], v73 offset0:224 offset1:248
	ds_read_b128 v[94:97], v75 offset:2816
	s_waitcnt lgkmcnt(2)
	v_fma_f64 v[124:125], -v[65:66], v[106:107], v[114:115]
	v_fma_f64 v[126:127], -v[65:66], v[108:109], v[116:117]
	;; [unrolled: 1-line block ×3, first 2 shown]
	ds_read_b128 v[82:85], v75 offset:160
	v_fma_f64 v[23:24], -v[9:10], v[104:105], v[23:24]
	ds_read_b128 v[102:105], v75 offset:176
	s_waitcnt lgkmcnt(1)
	v_fma_f64 v[128:129], -v[65:66], v[82:83], v[69:70]
	v_fma_f64 v[130:131], -v[65:66], v[84:85], v[71:72]
	ds_read_b128 v[69:72], v75 offset:1280
	ds_read_b128 v[82:85], v75 offset:1296
	v_fma_f64 v[3:4], -v[7:8], v[90:91], v[3:4]
	s_waitcnt lgkmcnt(1)
	v_fma_f64 v[23:24], -v[11:12], v[69:70], v[23:24]
	v_fma_f64 v[3:4], -v[122:123], v[41:42], v[3:4]
	ds_read2_b64 v[39:42], v75 offset0:41 offset1:42
	v_fma_f64 v[23:24], -v[5:6], v[59:60], v[23:24]
	ds_read2_b64 v[57:60], v75 offset0:43 offset1:44
	s_waitcnt lgkmcnt(1)
	v_fma_f64 v[27:28], -v[67:68], v[39:40], v[27:28]
	v_fma_f64 v[39:40], -v[21:22], v[29:30], v[27:28]
	ds_read_b128 v[27:30], v75 offset:1664
	ds_read_b128 v[106:109], v75 offset:1680
	s_waitcnt lgkmcnt(1)
	v_fma_f64 v[23:24], -v[1:2], v[27:28], v[23:24]
	v_fma_f64 v[27:28], -v[17:18], v[49:50], v[39:40]
	;; [unrolled: 1-line block ×3, first 2 shown]
	ds_read_b128 v[43:46], v75 offset:2048
	ds_read_b128 v[47:50], v75 offset:2064
	v_fma_f64 v[27:28], -v[13:14], v[63:64], v[27:28]
	s_waitcnt lgkmcnt(1)
	v_fma_f64 v[23:24], -v[118:119], v[43:44], v[23:24]
	v_fma_f64 v[39:40], -v[120:121], v[25:26], v[23:24]
	ds_read2_b64 v[23:26], v75 offset0:137 offset1:138
	ds_read2_b64 v[61:64], v75 offset0:139 offset1:140
	s_waitcnt lgkmcnt(1)
	v_fma_f64 v[23:24], -v[9:10], v[23:24], v[27:28]
	v_fma_f64 v[23:24], -v[11:12], v[71:72], v[23:24]
	ds_read_b128 v[69:72], v75 offset:2432
	ds_read_b128 v[114:117], v75 offset:2448
	s_waitcnt lgkmcnt(1)
	v_fma_f64 v[27:28], -v[19:20], v[69:70], v[39:40]
	v_fma_f64 v[23:24], -v[5:6], v[98:99], v[23:24]
	;; [unrolled: 1-line block ×7, first 2 shown]
	ds_read2_b64 v[27:30], v75 offset0:233 offset1:234
	ds_read2_b64 v[39:42], v75 offset0:235 offset1:236
	ds_read_b128 v[90:93], v75 offset:3200
	s_waitcnt lgkmcnt(2)
	v_fma_f64 v[23:24], -v[15:16], v[27:28], v[23:24]
	v_fma_f64 v[27:28], -v[118:119], v[45:46], v[23:24]
	;; [unrolled: 1-line block ×5, first 2 shown]
	v_mov_b32_e32 v23, 0xbb8
	ds_read2_b64 v[23:26], v23 offset1:1
	v_fma_f64 v[55:56], -v[21:22], v[55:56], v[43:44]
	v_mov_b32_e32 v43, 0x8c8
	ds_read2_b64 v[43:46], v43 offset1:1
	s_waitcnt lgkmcnt(1)
	v_mul_f64 v[3:4], v[23:24], v[3:4]
	v_fma_f64 v[23:24], -v[122:123], v[94:95], v[69:70]
	v_fma_f64 v[57:58], -v[11:12], v[82:83], v[51:52]
	s_waitcnt lgkmcnt(0)
	v_fma_f64 v[27:28], -v[120:121], v[43:44], v[27:28]
	ds_read2_b64 v[51:54], v75 offset0:93 offset1:94
	v_mov_b32_e32 v69, 0xbc8
	v_fma_f64 v[94:95], -v[67:68], v[59:60], v[128:129]
	v_fma_f64 v[43:44], -v[3:4], v[25:26], v[23:24]
	ds_read2_b64 v[23:26], v75 offset0:91 offset1:92
	v_fma_f64 v[27:28], -v[19:20], v[71:72], v[27:28]
	v_fma_f64 v[82:83], -v[5:6], v[100:101], v[57:58]
	ds_read2_b64 v[69:72], v69 offset1:1
	s_waitcnt lgkmcnt(1)
	v_fma_f64 v[23:24], -v[17:18], v[23:24], v[55:56]
	v_mov_b32_e32 v55, 0xa48
	ds_read2_b64 v[55:58], v55 offset1:1
	s_waitcnt lgkmcnt(0)
	v_fma_f64 v[27:28], -v[7:8], v[55:56], v[27:28]
	v_fma_f64 v[23:24], -v[13:14], v[112:113], v[23:24]
	v_fma_f64 v[55:56], -v[1:2], v[106:107], v[82:83]
	v_mov_b32_e32 v106, 0xd48
	v_fma_f64 v[82:83], -v[122:123], v[96:97], v[27:28]
	v_fma_f64 v[23:24], -v[9:10], v[61:62], v[23:24]
	ds_read_b128 v[59:62], v75 offset:2864
	v_mul_f64 v[98:99], v[90:91], v[43:44]
	v_fma_f64 v[43:44], -v[15:16], v[29:30], v[55:56]
	ds_read_b128 v[27:30], v75 offset:544
	v_fma_f64 v[55:56], -v[3:4], v[69:70], v[82:83]
	v_fma_f64 v[69:70], -v[11:12], v[84:85], v[23:24]
	ds_read_b128 v[82:85], v75 offset:560
	s_waitcnt lgkmcnt(1)
	v_fma_f64 v[23:24], -v[21:22], v[27:28], v[94:95]
	v_fma_f64 v[27:28], -v[118:119], v[47:48], v[43:44]
	ds_read_b128 v[94:97], v75 offset:944
	v_fma_f64 v[100:101], -v[98:99], v[92:93], v[55:56]
	ds_read2_b64 v[90:93], v75 offset0:187 offset1:188
	v_fma_f64 v[47:48], -v[17:18], v[25:26], v[23:24]
	ds_read2_b64 v[23:26], v75 offset0:189 offset1:190
	s_waitcnt lgkmcnt(1)
	v_fma_f64 v[55:56], -v[5:6], v[90:91], v[69:70]
	v_fma_f64 v[69:70], -v[120:121], v[45:46], v[27:28]
	ds_read_b128 v[43:46], v75 offset:928
	s_waitcnt lgkmcnt(0)
	v_fma_f64 v[27:28], -v[13:14], v[43:44], v[47:48]
	v_fma_f64 v[43:44], -v[67:68], v[78:79], v[130:131]
	;; [unrolled: 1-line block ×6, first 2 shown]
	ds_read2_b64 v[27:30], v76 offset0:16 offset1:40
	v_fma_f64 v[63:64], -v[7:8], v[57:58], v[55:56]
	ds_read_b128 v[55:58], v75 offset:1312
	v_fma_f64 v[39:40], -v[15:16], v[39:40], v[90:91]
	s_waitcnt lgkmcnt(1)
	v_fma_f64 v[27:28], -v[65:66], v[102:103], v[27:28]
	v_fma_f64 v[69:70], -v[65:66], v[104:105], v[29:30]
	;; [unrolled: 1-line block ×5, first 2 shown]
	ds_read_b128 v[78:81], v75 offset:1328
	s_waitcnt lgkmcnt(1)
	v_fma_f64 v[55:56], -v[11:12], v[55:56], v[47:48]
	v_fma_f64 v[102:103], -v[13:14], v[45:46], v[43:44]
	ds_read2_b64 v[27:30], v75 offset0:47 offset1:95
	ds_read_b128 v[43:46], v75 offset:2832
	v_mov_b32_e32 v47, 0x8d8
	ds_read2_b64 v[47:50], v47 offset1:1
	v_fma_f64 v[51:52], -v[21:22], v[82:83], v[51:52]
	s_waitcnt lgkmcnt(2)
	v_fma_f64 v[27:28], -v[67:68], v[27:28], v[69:70]
	v_fma_f64 v[55:56], -v[5:6], v[92:93], v[55:56]
	ds_read_b128 v[90:93], v75 offset:1696
	v_fma_f64 v[69:70], -v[9:10], v[86:87], v[102:103]
	s_waitcnt lgkmcnt(2)
	v_fma_f64 v[43:44], -v[122:123], v[43:44], v[63:64]
	s_waitcnt lgkmcnt(1)
	v_fma_f64 v[39:40], -v[120:121], v[47:48], v[39:40]
	v_fma_f64 v[86:87], -v[17:18], v[53:54], v[51:52]
	;; [unrolled: 1-line block ×3, first 2 shown]
	s_waitcnt lgkmcnt(0)
	v_fma_f64 v[63:64], -v[1:2], v[90:91], v[55:56]
	ds_read_b128 v[51:54], v75 offset:2848
	v_fma_f64 v[47:48], -v[11:12], v[57:58], v[69:70]
	v_fma_f64 v[43:44], -v[3:4], v[71:72], v[43:44]
	;; [unrolled: 1-line block ×3, first 2 shown]
	ds_read_b128 v[82:85], v75 offset:1712
	v_fma_f64 v[69:70], -v[13:14], v[94:95], v[86:87]
	v_fma_f64 v[86:87], -v[17:18], v[29:30], v[27:28]
	;; [unrolled: 1-line block ×3, first 2 shown]
	ds_read_b128 v[39:42], v75 offset:2080
	v_fma_f64 v[23:24], -v[5:6], v[23:24], v[47:48]
	ds_read2_b64 v[55:58], v106 offset1:1
	ds_read_b128 v[27:30], v75 offset:3216
	v_fma_f64 v[47:48], -v[9:10], v[88:89], v[69:70]
	v_fma_f64 v[102:103], -v[13:14], v[96:97], v[86:87]
	ds_read2_b64 v[86:89], v75 offset0:143 offset1:191
	s_waitcnt lgkmcnt(3)
	v_fma_f64 v[39:40], -v[118:119], v[39:40], v[63:64]
	v_mov_b32_e32 v63, 0xa58
	ds_read_b128 v[69:72], v75 offset:2096
	ds_read2_b64 v[94:97], v63 offset1:1
	v_fma_f64 v[23:24], -v[1:2], v[92:93], v[23:24]
	v_fma_f64 v[63:64], -v[11:12], v[78:79], v[47:48]
	s_waitcnt lgkmcnt(2)
	v_fma_f64 v[78:79], -v[9:10], v[86:87], v[102:103]
	v_mov_b32_e32 v47, 0xbd8
	v_fma_f64 v[39:40], -v[120:121], v[49:50], v[39:40]
	s_waitcnt lgkmcnt(0)
	v_fma_f64 v[86:87], -v[7:8], v[94:95], v[90:91]
	ds_read_b128 v[90:93], v75 offset:2464
	ds_read2_b64 v[47:50], v47 offset1:1
	v_fma_f64 v[31:32], -v[15:16], v[31:32], v[23:24]
	v_fma_f64 v[63:64], -v[5:6], v[25:26], v[63:64]
	;; [unrolled: 1-line block ×3, first 2 shown]
	ds_read_b128 v[23:26], v75 offset:2480
	s_waitcnt lgkmcnt(2)
	v_fma_f64 v[39:40], -v[19:20], v[90:91], v[39:40]
	v_mul_f64 v[90:91], v[55:56], v[100:101]
	ds_read_b128 v[78:81], v75 offset:3232
	v_fma_f64 v[27:28], -v[98:99], v[27:28], v[43:44]
	v_fma_f64 v[31:32], -v[118:119], v[41:42], v[31:32]
	;; [unrolled: 1-line block ×4, first 2 shown]
	v_mov_b32_e32 v43, 0xa68
	v_fma_f64 v[82:83], -v[7:8], v[96:97], v[39:40]
	v_mov_b32_e32 v39, 0x8e8
	ds_read2_b64 v[39:42], v39 offset1:1
	v_fma_f64 v[86:87], -v[122:123], v[45:46], v[86:87]
	ds_read2_b64 v[43:46], v43 offset1:1
	v_fma_f64 v[88:89], -v[15:16], v[33:34], v[55:56]
	v_fma_f64 v[63:64], -v[1:2], v[84:85], v[63:64]
	s_waitcnt lgkmcnt(1)
	v_fma_f64 v[39:40], -v[120:121], v[39:40], v[31:32]
	v_add_u32_e64 v31, s8, 0
	ds_read2_b64 v[31:34], v31 offset0:111 offset1:159
	v_fma_f64 v[51:52], -v[122:123], v[51:52], v[82:83]
	v_fma_f64 v[47:48], -v[3:4], v[47:48], v[86:87]
	;; [unrolled: 1-line block ×4, first 2 shown]
	s_waitcnt lgkmcnt(0)
	v_fma_f64 v[31:32], -v[15:16], v[31:32], v[63:64]
	v_fma_f64 v[39:40], -v[19:20], v[92:93], v[39:40]
	ds_read_b128 v[55:58], v75 offset:3600
	ds_read_b128 v[82:85], v75 offset:3248
	v_fma_f64 v[49:50], -v[3:4], v[49:50], v[51:52]
	v_fma_f64 v[47:48], -v[98:99], v[29:30], v[47:48]
	s_movk_i32 s8, 0x800
	v_fma_f64 v[63:64], -v[120:121], v[41:42], v[69:70]
	v_fma_f64 v[31:32], -v[118:119], v[71:72], v[31:32]
	;; [unrolled: 1-line block ×3, first 2 shown]
	s_waitcnt lgkmcnt(1)
	v_mul_f64 v[55:56], v[55:56], v[27:28]
	v_mov_b32_e32 v27, 0xd58
	ds_read2_b64 v[27:30], v27 offset1:1
	v_mov_b32_e32 v39, 0xed8
	ds_read2_b64 v[39:42], v39 offset1:1
	v_fma_f64 v[23:24], -v[19:20], v[23:24], v[63:64]
	v_fma_f64 v[51:52], -v[120:121], v[33:34], v[31:32]
	v_mov_b32_e32 v31, 0xbe8
	ds_read2_b64 v[31:34], v31 offset1:1
	s_waitcnt lgkmcnt(2)
	v_fma_f64 v[27:28], -v[90:91], v[27:28], v[47:48]
	v_fma_f64 v[47:48], -v[98:99], v[78:79], v[49:50]
	;; [unrolled: 1-line block ×3, first 2 shown]
	v_mov_b32_e32 v43, 0xd68
	v_fma_f64 v[53:54], -v[7:8], v[45:46], v[23:24]
	v_fma_f64 v[51:52], -v[19:20], v[25:26], v[51:52]
	v_add_u32_e64 v63, s8, 0
	ds_read2_b64 v[23:26], v43 offset1:1
	ds_read2_b64 v[43:46], v63 offset0:79 offset1:127
	v_fma_f64 v[47:48], -v[90:91], v[29:30], v[47:48]
	s_waitcnt lgkmcnt(2)
	v_fma_f64 v[31:32], -v[3:4], v[31:32], v[49:50]
	v_fma_f64 v[49:50], -v[55:56], v[57:58], v[27:28]
	;; [unrolled: 1-line block ×3, first 2 shown]
	s_waitcnt lgkmcnt(0)
	v_fma_f64 v[43:44], -v[7:8], v[43:44], v[51:52]
	ds_read_b128 v[27:30], v75 offset:3616
	s_movk_i32 s8, 0x1000
	v_fma_f64 v[51:52], -v[98:99], v[80:81], v[31:32]
	v_mul_f64 v[57:58], v[39:40], v[49:50]
	v_fma_f64 v[39:40], -v[3:4], v[33:34], v[53:54]
	v_fma_f64 v[43:44], -v[122:123], v[61:62], v[43:44]
	ds_read_b128 v[31:34], v75 offset:3632
	s_waitcnt lgkmcnt(1)
	v_fma_f64 v[27:28], -v[55:56], v[27:28], v[47:48]
	v_fma_f64 v[23:24], -v[90:91], v[23:24], v[51:52]
	;; [unrolled: 1-line block ×5, first 2 shown]
	ds_read_b128 v[39:42], v75 offset:4000
	v_fma_f64 v[51:52], -v[55:56], v[29:30], v[23:24]
	v_mov_b32_e32 v23, 0xee8
	v_fma_f64 v[53:54], -v[90:91], v[25:26], v[47:48]
	v_fma_f64 v[59:60], -v[98:99], v[84:85], v[43:44]
	v_mov_b32_e32 v47, 0x1068
	ds_read2_b64 v[27:30], v23 offset1:1
	ds_read2_b64 v[47:50], v47 offset1:1
	ds_read_b128 v[23:26], v75 offset:4016
	s_waitcnt lgkmcnt(3)
	v_mul_f64 v[39:40], v[39:40], v[45:46]
	ds_read2_b64 v[43:46], v63 offset0:175 offset1:223
	s_waitcnt lgkmcnt(3)
	v_fma_f64 v[27:28], -v[57:58], v[27:28], v[51:52]
	v_fma_f64 v[31:32], -v[55:56], v[31:32], v[53:54]
	s_waitcnt lgkmcnt(0)
	v_fma_f64 v[43:44], -v[90:91], v[43:44], v[59:60]
	v_fma_f64 v[27:28], -v[39:40], v[41:42], v[27:28]
	;; [unrolled: 1-line block ×4, first 2 shown]
	v_mul_f64 v[27:28], v[47:48], v[27:28]
	v_fma_f64 v[23:24], -v[39:40], v[23:24], v[29:30]
	v_fma_f64 v[29:30], -v[57:58], v[45:46], v[31:32]
	;; [unrolled: 1-line block ×3, first 2 shown]
	v_add_u32_e64 v23, s8, 0
	v_fma_f64 v[29:30], -v[39:40], v[25:26], v[29:30]
	ds_read2_b64 v[23:26], v23 offset0:15 offset1:63
	ds_write2_b64 v77, v[65:66], v[67:68] offset1:24
	ds_write2_b64 v77, v[21:22], v[17:18] offset0:48 offset1:72
	ds_write2_b64 v77, v[13:14], v[9:10] offset0:96 offset1:120
	;; [unrolled: 1-line block ×3, first 2 shown]
	v_mul_f64 v[31:32], v[35:36], v[31:32]
	s_waitcnt lgkmcnt(4)
	v_fma_f64 v[23:24], -v[27:28], v[23:24], v[29:30]
	v_fma_f64 v[23:24], -v[31:32], v[37:38], v[23:24]
	v_mul_f64 v[5:6], v[25:26], v[23:24]
	ds_write2_b64 v77, v[1:2], v[15:16] offset0:192 offset1:216
	ds_write2_b64 v74, v[118:119], v[120:121] offset0:112 offset1:136
	;; [unrolled: 1-line block ×8, first 2 shown]
.LBB94_35:
	s_cmp_lt_i32 s11, s22
	s_cbranch_scc0 .LBB94_46
; %bb.36:
	s_add_i32 s8, s11, 19
	s_cmp_ge_u32 s8, s22
	s_cbranch_scc1 .LBB94_41
; %bb.37:
	s_mul_i32 s10, s11, 0xc0
	v_add_u32_e32 v78, s10, v77
	v_add_u32_e32 v1, 0x400, v78
	ds_read2_b64 v[37:40], v78 offset1:24
	ds_read2_b64 v[33:36], v78 offset0:48 offset1:72
	ds_read2_b64 v[29:32], v78 offset0:96 offset1:120
	;; [unrolled: 1-line block ×5, first 2 shown]
	v_add_u32_e32 v1, 0x800, v78
	ds_read2_b64 v[13:16], v1 offset0:32 offset1:56
	ds_read2_b64 v[9:12], v1 offset0:80 offset1:104
	ds_read2_b64 v[5:8], v1 offset0:128 offset1:152
	ds_read2_b64 v[1:4], v1 offset0:176 offset1:200
	s_andn2_b64 vcc, exec, s[4:5]
	s_lshl_b32 s4, s11, 3
	s_cbranch_vccnz .LBB94_40
; %bb.38:
	v_mov_b32_e32 v41, 0x1200
	v_lshl_or_b32 v41, v0, 3, v41
	s_mov_b32 s5, s4
	s_mov_b32 s12, s11
.LBB94_39:                              ; =>This Inner Loop Header: Depth=1
	v_mov_b32_e32 v76, s5
	ds_read_b64 v[74:75], v41
	ds_read_b128 v[42:45], v76
	ds_read_b128 v[46:49], v76 offset:16
	ds_read_b128 v[50:53], v76 offset:32
	;; [unrolled: 1-line block ×9, first 2 shown]
	s_add_i32 s12, s12, -1
	s_addk_i32 s5, 0xc0
	s_cmp_lg_u32 s12, 0
	s_waitcnt lgkmcnt(9)
	v_fma_f64 v[37:38], -v[74:75], v[42:43], v[37:38]
	v_fma_f64 v[39:40], -v[74:75], v[44:45], v[39:40]
	s_waitcnt lgkmcnt(8)
	v_fma_f64 v[33:34], -v[74:75], v[46:47], v[33:34]
	v_fma_f64 v[35:36], -v[74:75], v[48:49], v[35:36]
	;; [unrolled: 3-line block ×10, first 2 shown]
	v_add_u32_e32 v41, 0xc0, v41
	s_cbranch_scc1 .LBB94_39
.LBB94_40:
	s_add_i32 s17, s4, s10
	v_mov_b32_e32 v79, s17
	ds_read_b128 v[41:44], v79
	ds_read_b128 v[45:48], v79 offset:16
	s_add_i32 s14, s10, 0xc0
	s_add_i32 s21, s4, s14
	ds_read_b128 v[61:64], v79 offset:400
	s_waitcnt lgkmcnt(2)
	v_mul_f64 v[65:66], v[41:42], v[37:38]
	v_mov_b32_e32 v83, s21
	s_add_i32 s5, s10, 0x180
	s_add_i32 s23, s4, s5
	v_mov_b32_e32 v85, s23
	s_add_i32 s12, s10, 0x240
	s_add_i32 s24, s4, s12
	v_mov_b32_e32 v82, s24
	v_fma_f64 v[41:42], -v[65:66], v[43:44], v[39:40]
	ds_read2_b64 v[37:40], v79 offset0:25 offset1:26
	ds_read_b128 v[71:74], v79 offset:32
	s_waitcnt lgkmcnt(3)
	v_fma_f64 v[33:34], -v[65:66], v[45:46], v[33:34]
	s_add_i32 s13, s10, 0x300
	s_add_i32 s25, s4, s13
	v_mov_b32_e32 v80, s25
	s_waitcnt lgkmcnt(0)
	v_fma_f64 v[29:30], -v[65:66], v[71:72], v[29:30]
	v_mul_f64 v[69:70], v[37:38], v[41:42]
	v_fma_f64 v[37:38], -v[65:66], v[47:48], v[35:36]
	v_fma_f64 v[75:76], -v[65:66], v[73:74], v[31:32]
	s_add_i32 s15, s10, 0x3c0
	s_add_i32 s26, s4, s15
	v_mov_b32_e32 v81, s26
	s_add_i32 s16, s10, 0x480
	s_add_i32 s27, s4, s16
	v_fma_f64 v[39:40], -v[69:70], v[39:40], v[33:34]
	ds_read2_b64 v[49:52], v79 offset0:75 offset1:76
	ds_read_b128 v[45:48], v79 offset:800
	ds_read2_b64 v[33:36], v83 offset0:3 offset1:4
	ds_read_b128 v[57:60], v79 offset:48
	ds_read2_b64 v[53:56], v83 offset0:5 offset1:6
	v_mov_b32_e32 v84, s27
	s_add_i32 s18, s10, 0x540
	s_add_i32 s20, s4, s18
	s_waitcnt lgkmcnt(2)
	v_fma_f64 v[33:34], -v[69:70], v[33:34], v[37:38]
	v_fma_f64 v[73:74], -v[69:70], v[35:36], v[29:30]
	v_mul_f64 v[67:68], v[61:62], v[39:40]
	ds_read2_b64 v[41:44], v79 offset0:125 offset1:126
	ds_read_b128 v[37:40], v79 offset:1200
	s_waitcnt lgkmcnt(3)
	v_fma_f64 v[25:26], -v[65:66], v[57:58], v[25:26]
	s_waitcnt lgkmcnt(2)
	v_fma_f64 v[53:54], -v[69:70], v[53:54], v[75:76]
	v_mov_b32_e32 v114, s20
	s_add_i32 s19, s10, 0x600
	s_add_i32 s20, s4, s19
	v_mov_b32_e32 v115, s20
	v_fma_f64 v[71:72], -v[67:68], v[63:64], v[33:34]
	ds_read_b128 v[61:64], v85 offset:32
	ds_read2_b64 v[33:36], v79 offset0:175 offset1:176
	ds_read_b128 v[29:32], v79 offset:1600
	ds_read_b64 v[102:103], v83 offset:152
	v_fma_f64 v[98:99], -v[69:70], v[55:56], v[25:26]
	s_waitcnt lgkmcnt(3)
	v_fma_f64 v[57:58], -v[67:68], v[61:62], v[73:74]
	v_fma_f64 v[61:62], -v[65:66], v[59:60], v[27:28]
	;; [unrolled: 1-line block ×3, first 2 shown]
	s_add_i32 s20, s10, 0x6c0
	s_add_i32 s21, s4, s20
	v_mul_f64 v[75:76], v[49:50], v[71:72]
	ds_read_b128 v[71:74], v79 offset:64
	ds_read_b128 v[86:89], v79 offset:80
	;; [unrolled: 1-line block ×4, first 2 shown]
	v_mov_b32_e32 v116, s21
	s_waitcnt lgkmcnt(3)
	v_fma_f64 v[21:22], -v[65:66], v[71:72], v[21:22]
	s_waitcnt lgkmcnt(2)
	v_fma_f64 v[17:18], -v[65:66], v[86:87], v[17:18]
	;; [unrolled: 2-line block ×3, first 2 shown]
	s_add_i32 s24, s17, 0x898
	s_add_i32 s21, s10, 0x780
	v_fma_f64 v[100:101], -v[75:76], v[51:52], v[57:58]
	ds_read2_b64 v[25:28], v83 offset0:7 offset1:8
	ds_read2_b64 v[49:52], v83 offset0:9 offset1:10
	ds_read2_b64 v[53:56], v82 offset0:5 offset1:6
	ds_read_b128 v[57:60], v85 offset:144
	s_add_i32 s23, s4, s21
	s_waitcnt lgkmcnt(3)
	v_fma_f64 v[25:26], -v[69:70], v[25:26], v[61:62]
	v_fma_f64 v[27:28], -v[69:70], v[27:28], v[21:22]
	s_waitcnt lgkmcnt(1)
	v_fma_f64 v[53:54], -v[75:76], v[53:54], v[63:64]
	v_fma_f64 v[55:56], -v[75:76], v[55:56], v[71:72]
	;; [unrolled: 1-line block ×3, first 2 shown]
	v_mul_f64 v[104:105], v[45:46], v[100:101]
	v_fma_f64 v[45:46], -v[65:66], v[73:74], v[23:24]
	ds_read2_b64 v[61:64], v82 offset0:7 offset1:8
	ds_read2_b64 v[98:101], v82 offset0:9 offset1:10
	v_fma_f64 v[25:26], -v[67:68], v[92:93], v[25:26]
	ds_read_b128 v[21:24], v80 offset:48
	ds_read_b64 v[106:107], v82 offset:152
	v_fma_f64 v[71:72], -v[67:68], v[94:95], v[27:28]
	s_addk_i32 s17, 0xa28
	s_add_i32 s25, s10, 0x900
	v_fma_f64 v[47:48], -v[104:105], v[47:48], v[53:54]
	v_fma_f64 v[49:50], -v[69:70], v[49:50], v[45:46]
	s_waitcnt lgkmcnt(1)
	v_fma_f64 v[21:22], -v[104:105], v[21:22], v[55:56]
	v_fma_f64 v[61:62], -v[75:76], v[61:62], v[25:26]
	;; [unrolled: 1-line block ×3, first 2 shown]
	v_mul_f64 v[94:95], v[41:42], v[47:48]
	v_fma_f64 v[73:74], -v[67:68], v[96:97], v[49:50]
	ds_read2_b64 v[25:28], v81 offset0:7 offset1:8
	ds_read2_b64 v[45:48], v81 offset0:9 offset1:10
	ds_read_b128 v[53:56], v85 offset:80
	v_fma_f64 v[61:62], -v[104:105], v[23:24], v[61:62]
	s_waitcnt lgkmcnt(0)
	v_fma_f64 v[53:54], -v[67:68], v[53:54], v[17:18]
	v_fma_f64 v[71:72], -v[94:95], v[43:44], v[21:22]
	ds_read_b128 v[21:24], v80 offset:64
	ds_read_b128 v[41:44], v80 offset:80
	;; [unrolled: 1-line block ×3, first 2 shown]
	v_fma_f64 v[86:87], -v[75:76], v[98:99], v[73:74]
	v_fma_f64 v[25:26], -v[94:95], v[25:26], v[61:62]
	s_waitcnt lgkmcnt(2)
	v_fma_f64 v[21:22], -v[104:105], v[21:22], v[63:64]
	v_fma_f64 v[53:54], -v[75:76], v[100:101], v[53:54]
	v_mul_f64 v[96:97], v[37:38], v[71:72]
	v_fma_f64 v[37:38], -v[65:66], v[88:89], v[19:20]
	ds_read_b128 v[61:64], v79 offset:96
	ds_read_b128 v[71:74], v79 offset:112
	;; [unrolled: 1-line block ×3, first 2 shown]
	ds_read2_b64 v[17:20], v83 offset0:11 offset1:12
	v_fma_f64 v[86:87], -v[104:105], v[23:24], v[86:87]
	v_fma_f64 v[88:89], -v[94:95], v[27:28], v[21:22]
	s_waitcnt lgkmcnt(3)
	v_fma_f64 v[13:14], -v[65:66], v[61:62], v[13:14]
	v_fma_f64 v[63:64], -v[65:66], v[63:64], v[15:16]
	;; [unrolled: 1-line block ×3, first 2 shown]
	s_waitcnt lgkmcnt(0)
	v_fma_f64 v[17:18], -v[69:70], v[17:18], v[37:38]
	ds_read2_b64 v[21:24], v114 offset0:9 offset1:10
	ds_read2_b64 v[25:28], v83 offset0:13 offset1:14
	ds_read_b64 v[98:99], v81 offset:152
	v_fma_f64 v[45:46], -v[94:95], v[45:46], v[86:87]
	v_fma_f64 v[90:91], -v[96:97], v[90:91], v[88:89]
	;; [unrolled: 1-line block ×3, first 2 shown]
	s_waitcnt lgkmcnt(1)
	v_fma_f64 v[25:26], -v[69:70], v[25:26], v[63:64]
	v_mul_f64 v[100:101], v[33:34], v[39:40]
	v_fma_f64 v[33:34], -v[104:105], v[41:42], v[53:54]
	v_fma_f64 v[41:42], -v[67:68], v[55:56], v[17:18]
	ds_read2_b64 v[37:40], v82 offset0:11 offset1:12
	v_fma_f64 v[45:46], -v[96:97], v[92:93], v[45:46]
	ds_read_b128 v[53:56], v84 offset:80
	ds_read_b128 v[86:89], v84 offset:96
	ds_read2_b64 v[17:20], v82 offset0:13 offset1:14
	v_fma_f64 v[25:26], -v[67:68], v[51:52], v[25:26]
	v_fma_f64 v[61:62], -v[100:101], v[35:36], v[90:91]
	;; [unrolled: 1-line block ×3, first 2 shown]
	s_waitcnt lgkmcnt(3)
	v_fma_f64 v[37:38], -v[75:76], v[37:38], v[41:42]
	ds_read_b128 v[33:36], v84 offset:144
	v_fma_f64 v[21:22], -v[100:101], v[21:22], v[45:46]
	v_fma_f64 v[45:46], -v[67:68], v[49:50], v[13:14]
	;; [unrolled: 1-line block ×3, first 2 shown]
	v_mul_f64 v[90:91], v[29:30], v[61:62]
	s_waitcnt lgkmcnt(3)
	v_fma_f64 v[29:30], -v[96:97], v[53:54], v[47:48]
	v_fma_f64 v[37:38], -v[104:105], v[43:44], v[37:38]
	ds_read2_b64 v[13:16], v79 offset0:225 offset1:226
	ds_read2_b64 v[41:44], v81 offset0:11 offset1:12
	v_fma_f64 v[49:50], -v[75:76], v[39:40], v[45:46]
	v_fma_f64 v[9:10], -v[69:70], v[27:28], v[9:10]
	;; [unrolled: 1-line block ×4, first 2 shown]
	s_waitcnt lgkmcnt(0)
	v_fma_f64 v[41:42], -v[94:95], v[41:42], v[37:38]
	ds_read2_b64 v[21:24], v81 offset0:13 offset1:14
	ds_read_b128 v[29:32], v80 offset:96
	ds_read_b128 v[37:40], v115 offset:80
	ds_read_b128 v[45:48], v80 offset:112
	ds_read_b64 v[108:109], v114 offset:152
	v_mul_f64 v[92:93], v[13:14], v[53:54]
	s_waitcnt lgkmcnt(3)
	v_fma_f64 v[29:30], -v[104:105], v[29:30], v[49:50]
	v_fma_f64 v[63:64], -v[96:97], v[55:56], v[41:42]
	ds_read2_b64 v[53:56], v114 offset0:11 offset1:12
	v_fma_f64 v[13:14], -v[75:76], v[17:18], v[25:26]
	s_waitcnt lgkmcnt(3)
	v_fma_f64 v[17:18], -v[90:91], v[37:38], v[61:62]
	ds_read_b128 v[49:52], v79 offset:2000
	v_fma_f64 v[25:26], -v[94:95], v[43:44], v[29:30]
	ds_read2_b64 v[41:44], v114 offset0:13 offset1:14
	s_waitcnt lgkmcnt(2)
	v_fma_f64 v[29:30], -v[100:101], v[53:54], v[63:64]
	v_fma_f64 v[31:32], -v[104:105], v[31:32], v[13:14]
	;; [unrolled: 1-line block ×3, first 2 shown]
	ds_read2_b64 v[13:16], v116 offset0:11 offset1:12
	v_fma_f64 v[25:26], -v[96:97], v[86:87], v[25:26]
	v_fma_f64 v[37:38], -v[90:91], v[39:40], v[29:30]
	v_fma_f64 v[21:22], -v[94:95], v[21:22], v[31:32]
	s_waitcnt lgkmcnt(2)
	v_mul_f64 v[110:111], v[49:50], v[17:18]
	ds_read2_b64 v[29:32], v116 offset0:13 offset1:14
	v_fma_f64 v[17:18], -v[100:101], v[55:56], v[25:26]
	ds_read_b128 v[53:56], v115 offset:112
	s_waitcnt lgkmcnt(2)
	v_fma_f64 v[13:14], -v[92:93], v[13:14], v[37:38]
	ds_read_b128 v[37:40], v115 offset:96
	v_fma_f64 v[21:22], -v[96:97], v[88:89], v[21:22]
	v_mov_b32_e32 v89, s23
	s_add_i32 s23, s10, 0x840
	s_waitcnt lgkmcnt(0)
	v_fma_f64 v[17:18], -v[90:91], v[37:38], v[17:18]
	v_fma_f64 v[37:38], -v[110:111], v[51:52], v[13:14]
	v_mov_b32_e32 v13, s24
	ds_read2_b64 v[25:28], v13 offset1:1
	ds_read_b128 v[49:52], v85 offset:112
	v_fma_f64 v[21:22], -v[100:101], v[41:42], v[21:22]
	s_add_i32 s24, s4, s23
	v_mov_b32_e32 v117, s24
	v_fma_f64 v[17:18], -v[92:93], v[15:16], v[17:18]
	s_waitcnt lgkmcnt(0)
	v_fma_f64 v[9:10], -v[67:68], v[49:50], v[9:10]
	ds_read_b128 v[13:16], v89 offset:96
	ds_read_b128 v[61:64], v85 offset:128
	v_mul_f64 v[87:88], v[25:26], v[37:38]
	s_add_i32 s24, s11, 20
	v_fma_f64 v[21:22], -v[90:91], v[39:40], v[21:22]
	ds_read_b128 v[37:40], v89 offset:112
	s_mulk_i32 s11, 0xc8
	s_waitcnt lgkmcnt(2)
	v_fma_f64 v[13:14], -v[110:111], v[13:14], v[17:18]
	v_fma_f64 v[25:26], -v[75:76], v[19:20], v[9:10]
	s_add_i32 s27, s11, 0xbb8
	v_fma_f64 v[21:22], -v[92:93], v[29:30], v[21:22]
	v_fma_f64 v[29:30], -v[65:66], v[73:74], v[11:12]
	ds_read_b128 v[9:12], v79 offset:2400
	ds_read2_b64 v[17:20], v83 offset0:15 offset1:16
	v_fma_f64 v[41:42], -v[87:88], v[27:28], v[13:14]
	v_fma_f64 v[45:46], -v[104:105], v[45:46], v[25:26]
	ds_read_b128 v[71:74], v84 offset:112
	ds_read2_b64 v[25:28], v117 offset0:13 offset1:14
	v_fma_f64 v[49:50], -v[110:111], v[15:16], v[21:22]
	s_waitcnt lgkmcnt(2)
	v_fma_f64 v[17:18], -v[69:70], v[17:18], v[29:30]
	ds_read2_b64 v[13:16], v83 offset0:17 offset1:18
	v_mul_f64 v[112:113], v[9:10], v[41:42]
	v_fma_f64 v[9:10], -v[94:95], v[23:24], v[45:46]
	ds_read2_b64 v[21:24], v117 offset0:15 offset1:16
	s_waitcnt lgkmcnt(2)
	v_fma_f64 v[25:26], -v[87:88], v[25:26], v[49:50]
	v_fma_f64 v[17:18], -v[67:68], v[51:52], v[17:18]
	ds_read2_b64 v[49:52], v82 offset0:15 offset1:16
	ds_read_b128 v[83:86], v84 offset:128
	ds_write_b64 v78, v[65:66]
	v_fma_f64 v[29:30], -v[96:97], v[71:72], v[9:10]
	v_fma_f64 v[25:26], -v[112:113], v[11:12], v[25:26]
	s_waitcnt lgkmcnt(2)
	v_fma_f64 v[17:18], -v[75:76], v[49:50], v[17:18]
	ds_read2_b64 v[9:12], v82 offset0:17 offset1:18
	v_fma_f64 v[29:30], -v[100:101], v[43:44], v[29:30]
	ds_read_b128 v[41:44], v79 offset:128
	v_fma_f64 v[49:50], -v[104:105], v[47:48], v[17:18]
	ds_read_b128 v[45:48], v79 offset:144
	s_waitcnt lgkmcnt(1)
	v_fma_f64 v[5:6], -v[65:66], v[41:42], v[5:6]
	v_fma_f64 v[29:30], -v[90:91], v[53:54], v[29:30]
	;; [unrolled: 1-line block ×3, first 2 shown]
	s_waitcnt lgkmcnt(0)
	v_fma_f64 v[1:2], -v[65:66], v[45:46], v[1:2]
	v_fma_f64 v[41:42], -v[69:70], v[19:20], v[5:6]
	ds_read2_b64 v[17:20], v81 offset0:15 offset1:16
	ds_read2_b64 v[5:8], v81 offset0:17 offset1:18
	v_fma_f64 v[53:54], -v[92:93], v[31:32], v[29:30]
	v_mov_b32_e32 v29, s17
	ds_read2_b64 v[29:32], v29 offset1:1
	s_waitcnt lgkmcnt(2)
	v_fma_f64 v[17:18], -v[94:95], v[17:18], v[49:50]
	v_fma_f64 v[13:14], -v[69:70], v[13:14], v[43:44]
	;; [unrolled: 1-line block ×3, first 2 shown]
	ds_read2_b64 v[41:44], v114 offset0:15 offset1:16
	s_add_i32 s17, s4, s25
	v_fma_f64 v[37:38], -v[110:111], v[37:38], v[53:54]
	s_waitcnt lgkmcnt(1)
	v_mul_f64 v[53:54], v[29:30], v[25:26]
	v_mov_b32_e32 v71, s17
	v_fma_f64 v[17:18], -v[96:97], v[73:74], v[17:18]
	v_fma_f64 v[45:46], -v[67:68], v[63:64], v[13:14]
	;; [unrolled: 1-line block ×3, first 2 shown]
	ds_read2_b64 v[49:52], v114 offset0:17 offset1:18
	ds_read_b128 v[61:64], v71 offset:112
	v_fma_f64 v[37:38], -v[87:88], v[27:28], v[37:38]
	ds_read_b128 v[25:28], v80 offset:128
	s_add_i32 s17, s10, 0x9c0
	s_waitcnt lgkmcnt(3)
	v_fma_f64 v[17:18], -v[100:101], v[41:42], v[17:18]
	v_fma_f64 v[41:42], -v[69:70], v[15:16], v[1:2]
	ds_read_b128 v[13:16], v80 offset:144
	s_waitcnt lgkmcnt(1)
	v_fma_f64 v[25:26], -v[104:105], v[25:26], v[29:30]
	v_fma_f64 v[29:30], -v[65:66], v[47:48], v[3:4]
	;; [unrolled: 1-line block ×3, first 2 shown]
	ds_read2_b64 v[1:4], v116 offset0:15 offset1:16
	s_add_i32 s26, s4, s17
	v_fma_f64 v[45:46], -v[90:91], v[55:56], v[17:18]
	v_fma_f64 v[41:42], -v[67:68], v[57:58], v[41:42]
	v_mov_b32_e32 v55, s11
	v_fma_f64 v[47:48], -v[94:95], v[19:20], v[25:26]
	v_fma_f64 v[29:30], -v[69:70], v[102:103], v[29:30]
	v_fma_f64 v[9:10], -v[104:105], v[27:28], v[9:10]
	ds_read_b128 v[17:20], v71 offset:128
	ds_read2_b64 v[25:28], v116 offset0:17 offset1:18
	s_waitcnt lgkmcnt(2)
	v_fma_f64 v[1:2], -v[92:93], v[1:2], v[45:46]
	v_fma_f64 v[11:12], -v[75:76], v[11:12], v[41:42]
	s_addk_i32 s11, 0xd48
	v_fma_f64 v[41:42], -v[96:97], v[83:84], v[47:48]
	v_fma_f64 v[29:30], -v[67:68], v[59:60], v[29:30]
	;; [unrolled: 1-line block ×5, first 2 shown]
	ds_read_b128 v[9:12], v115 offset:128
	v_fma_f64 v[39:40], -v[100:101], v[43:44], v[41:42]
	v_fma_f64 v[41:42], -v[75:76], v[106:107], v[29:30]
	;; [unrolled: 1-line block ×5, first 2 shown]
	ds_read_b128 v[5:8], v115 offset:144
	s_waitcnt lgkmcnt(1)
	v_fma_f64 v[9:10], -v[90:91], v[9:10], v[39:40]
	v_fma_f64 v[39:40], -v[104:105], v[15:16], v[41:42]
	ds_read_b128 v[13:16], v71 offset:144
	v_fma_f64 v[37:38], -v[112:113], v[61:62], v[37:38]
	v_fma_f64 v[41:42], -v[100:101], v[49:50], v[43:44]
	v_mov_b32_e32 v49, s26
	v_fma_f64 v[21:22], -v[96:97], v[33:34], v[21:22]
	v_fma_f64 v[33:34], -v[112:113], v[63:64], v[1:2]
	;; [unrolled: 1-line block ×4, first 2 shown]
	ds_read_b128 v[1:4], v89 offset:128
	v_fma_f64 v[37:38], -v[53:54], v[31:32], v[37:38]
	ds_read_b128 v[29:32], v55 offset:2800
	v_fma_f64 v[47:48], -v[90:91], v[11:12], v[41:42]
	ds_read2_b64 v[9:12], v49 offset0:15 offset1:16
	v_fma_f64 v[21:22], -v[100:101], v[51:52], v[21:22]
	v_fma_f64 v[35:36], -v[96:97], v[35:36], v[45:46]
	s_waitcnt lgkmcnt(1)
	v_mul_f64 v[29:30], v[29:30], v[37:38]
	ds_read_b128 v[37:40], v89 offset:144
	v_fma_f64 v[1:2], -v[110:111], v[1:2], v[43:44]
	ds_read2_b64 v[41:44], v49 offset0:17 offset1:18
	s_waitcnt lgkmcnt(2)
	v_fma_f64 v[9:10], -v[53:54], v[9:10], v[33:34]
	v_fma_f64 v[25:26], -v[92:93], v[25:26], v[47:48]
	;; [unrolled: 1-line block ×3, first 2 shown]
	v_add_u32_e32 v33, s14, v77
	s_add_i32 s14, s10, 0xa80
	s_add_i32 s26, s4, s14
	v_fma_f64 v[21:22], -v[87:88], v[23:24], v[1:2]
	v_fma_f64 v[23:24], -v[100:101], v[108:109], v[35:36]
	;; [unrolled: 1-line block ×4, first 2 shown]
	ds_read2_b64 v[1:4], v117 offset0:17 offset1:18
	v_fma_f64 v[25:26], -v[92:93], v[27:28], v[5:6]
	v_mov_b32_e32 v5, s27
	v_mov_b32_e32 v34, s26
	v_fma_f64 v[17:18], -v[112:113], v[17:18], v[21:22]
	v_fma_f64 v[21:22], -v[90:91], v[7:8], v[23:24]
	ds_read_b64 v[23:24], v117 offset:152
	s_waitcnt lgkmcnt(1)
	v_fma_f64 v[1:2], -v[87:88], v[1:2], v[9:10]
	ds_read_b64 v[9:10], v116 offset:152
	ds_read2_b64 v[5:8], v5 offset1:1
	v_fma_f64 v[25:26], -v[110:111], v[37:38], v[25:26]
	ds_read_b64 v[27:28], v49 offset:152
	ds_write_b64 v33, v[69:70]
	v_fma_f64 v[17:18], -v[53:54], v[11:12], v[17:18]
	s_waitcnt lgkmcnt(3)
	v_fma_f64 v[21:22], -v[92:93], v[9:10], v[21:22]
	ds_read_b128 v[9:12], v34 offset:128
	v_fma_f64 v[19:20], -v[112:113], v[19:20], v[1:2]
	s_waitcnt lgkmcnt(3)
	v_mul_f64 v[31:32], v[5:6], v[31:32]
	v_fma_f64 v[5:6], -v[87:88], v[3:4], v[25:26]
	ds_read_b128 v[1:4], v34 offset:144
	v_add_u32_e32 v33, s5, v77
	s_waitcnt lgkmcnt(1)
	v_fma_f64 v[9:10], -v[29:30], v[9:10], v[17:18]
	v_fma_f64 v[17:18], -v[110:111], v[39:40], v[21:22]
	s_add_i32 s5, s10, 0xb40
	v_fma_f64 v[19:20], -v[53:54], v[41:42], v[19:20]
	s_add_i32 s26, s4, s5
	v_fma_f64 v[13:14], -v[112:113], v[13:14], v[5:6]
	v_mov_b32_e32 v34, s26
	ds_write_b64 v33, v[67:68]
	v_fma_f64 v[21:22], -v[31:32], v[7:8], v[9:10]
	v_fma_f64 v[23:24], -v[87:88], v[23:24], v[17:18]
	ds_read_b128 v[5:8], v55 offset:3200
	v_fma_f64 v[25:26], -v[29:30], v[11:12], v[19:20]
	ds_read2_b64 v[9:12], v34 offset0:17 offset1:18
	v_fma_f64 v[13:14], -v[53:54], v[43:44], v[13:14]
	ds_read_b128 v[17:20], v55 offset:3600
	s_waitcnt lgkmcnt(2)
	v_mul_f64 v[21:22], v[5:6], v[21:22]
	v_fma_f64 v[5:6], -v[112:113], v[15:16], v[23:24]
	ds_read_b64 v[15:16], v34 offset:152
	s_waitcnt lgkmcnt(2)
	v_fma_f64 v[9:10], -v[31:32], v[9:10], v[25:26]
	v_add_u32_e32 v23, s12, v77
	v_fma_f64 v[1:2], -v[29:30], v[1:2], v[13:14]
	ds_write_b64 v23, v[75:76]
	s_add_i32 s12, s10, 0xc00
	s_add_i32 s26, s4, s12
	v_fma_f64 v[13:14], -v[53:54], v[27:28], v[5:6]
	v_mov_b32_e32 v5, s11
	v_fma_f64 v[23:24], -v[21:22], v[7:8], v[9:10]
	v_mov_b32_e32 v9, s26
	v_fma_f64 v[1:2], -v[31:32], v[11:12], v[1:2]
	ds_read2_b64 v[5:8], v5 offset1:1
	ds_read_b128 v[9:12], v9 offset:144
	s_addk_i32 s10, 0xcc0
	s_add_i32 s4, s4, s10
	v_fma_f64 v[3:4], -v[29:30], v[3:4], v[13:14]
	v_add_u32_e32 v13, s13, v77
	s_waitcnt lgkmcnt(1)
	v_mul_f64 v[5:6], v[5:6], v[23:24]
	ds_write_b64 v13, v[104:105]
	s_waitcnt lgkmcnt(1)
	v_fma_f64 v[1:2], -v[21:22], v[9:10], v[1:2]
	v_add_u32_e32 v9, s15, v77
	ds_write_b64 v9, v[94:95]
	v_add_u32_e32 v9, s16, v77
	v_fma_f64 v[3:4], -v[31:32], v[15:16], v[3:4]
	ds_write_b64 v9, v[96:97]
	v_add_u32_e32 v9, s18, v77
	ds_write_b64 v9, v[100:101]
	v_fma_f64 v[1:2], -v[5:6], v[7:8], v[1:2]
	v_add_u32_e32 v7, s19, v77
	ds_write_b64 v7, v[90:91]
	v_mov_b32_e32 v7, s4
	v_fma_f64 v[3:4], -v[21:22], v[11:12], v[3:4]
	ds_read_b64 v[7:8], v7 offset:152
	s_mul_i32 s4, s8, 0xc8
	v_mov_b32_e32 v9, s4
	v_mul_f64 v[1:2], v[17:18], v[1:2]
	ds_read_b64 v[9:10], v9
	s_mulk_i32 s8, 0xc0
	s_mov_b32 s11, s24
	s_waitcnt lgkmcnt(1)
	v_fma_f64 v[3:4], -v[5:6], v[7:8], v[3:4]
	v_add_u32_e32 v7, s20, v77
	ds_write_b64 v7, v[92:93]
	v_add_u32_e32 v7, s21, v77
	ds_write_b64 v7, v[110:111]
	;; [unrolled: 2-line block ×3, first 2 shown]
	v_add_u32_e32 v7, s25, v77
	v_fma_f64 v[3:4], -v[1:2], v[19:20], v[3:4]
	ds_write_b64 v7, v[112:113]
	v_add_u32_e32 v7, s17, v77
	ds_write_b64 v7, v[53:54]
	v_add_u32_e32 v7, s14, v77
	;; [unrolled: 2-line block ×3, first 2 shown]
	ds_write_b64 v7, v[31:32]
	s_waitcnt lgkmcnt(7)
	v_mul_f64 v[3:4], v[9:10], v[3:4]
	v_add_u32_e32 v7, s12, v77
	ds_write_b64 v7, v[21:22]
	v_add_u32_e32 v7, s10, v77
	ds_write_b64 v7, v[5:6]
	ds_write_b64 v78, v[1:2] offset:3456
	v_add_u32_e32 v1, s8, v77
	ds_write_b64 v1, v[3:4]
.LBB94_41:
	s_cmp_ge_i32 s11, s22
	s_cbranch_scc1 .LBB94_46
; %bb.42:
	v_mov_b32_e32 v1, 0x1200
	s_lshl_b32 s4, s11, 3
	v_lshl_or_b32 v3, v0, 3, v1
	s_branch .LBB94_44
.LBB94_43:                              ;   in Loop: Header=BB94_44 Depth=1
	s_lshl_b32 s8, s11, 3
	s_add_i32 s5, s8, s5
	v_mov_b32_e32 v5, s5
	ds_read_b64 v[5:6], v5
	s_add_i32 s11, s11, 1
	s_add_i32 s4, s4, 8
	s_cmp_ge_i32 s11, s22
	s_waitcnt lgkmcnt(0)
	v_mul_f64 v[1:2], v[5:6], v[1:2]
	ds_write_b64 v4, v[1:2]
	s_cbranch_scc1 .LBB94_46
.LBB94_44:                              ; =>This Loop Header: Depth=1
                                        ;     Child Loop BB94_45 Depth 2
	s_mul_i32 s5, s11, 0xc0
	v_add_u32_e32 v4, s5, v77
	ds_read_b64 v[1:2], v4
	s_cmp_eq_u32 s11, 0
	v_mov_b32_e32 v5, v3
	s_mov_b32 s8, s4
	s_mov_b32 s10, s11
	s_cbranch_scc1 .LBB94_43
.LBB94_45:                              ;   Parent Loop BB94_44 Depth=1
                                        ; =>  This Inner Loop Header: Depth=2
	v_mov_b32_e32 v8, s8
	ds_read_b64 v[6:7], v5
	ds_read_b64 v[8:9], v8
	s_add_i32 s10, s10, -1
	s_addk_i32 s8, 0xc0
	s_cmp_lg_u32 s10, 0
	v_add_u32_e32 v5, 0xc0, v5
	s_waitcnt lgkmcnt(0)
	v_fma_f64 v[1:2], -v[6:7], v[8:9], v[1:2]
	s_cbranch_scc1 .LBB94_45
	s_branch .LBB94_43
.LBB94_46:
	s_waitcnt lgkmcnt(0)
	; wave barrier
	s_and_saveexec_b64 s[4:5], s[0:1]
	s_cbranch_execz .LBB94_50
; %bb.47:
	s_andn2_b64 vcc, exec, s[2:3]
	s_cbranch_vccnz .LBB94_50
; %bb.48:
	v_mad_i64_i32 v[1:2], s[0:1], s9, v0, 0
	v_mov_b32_e32 v3, s7
	v_lshlrev_b64 v[1:2], 3, v[1:2]
	v_add_co_u32_e32 v1, vcc, s6, v1
	v_addc_co_u32_e32 v2, vcc, v3, v2, vcc
	v_mov_b32_e32 v3, 0x1200
	v_lshl_or_b32 v0, v0, 3, v3
.LBB94_49:                              ; =>This Inner Loop Header: Depth=1
	ds_read_b64 v[3:4], v0
	s_add_i32 s22, s22, -1
	v_add_u32_e32 v0, 0xc0, v0
	s_cmp_lg_u32 s22, 0
	s_waitcnt lgkmcnt(0)
	global_store_dwordx2 v[1:2], v[3:4], off
	v_add_co_u32_e32 v1, vcc, 8, v1
	v_addc_co_u32_e32 v2, vcc, 0, v2, vcc
	s_cbranch_scc1 .LBB94_49
.LBB94_50:
	s_endpgm
	.section	.rodata,"a",@progbits
	.p2align	6, 0x0
	.amdhsa_kernel _ZL38rocblas_trsm_small_left_device_sharedBILi24ELi24ELb1EddPKdPdEv13rocblas_fill_18rocblas_operation_17rocblas_diagonal_iiT3_T4_lilT5_lili
		.amdhsa_group_segment_fixed_size 9216
		.amdhsa_private_segment_fixed_size 0
		.amdhsa_kernarg_size 360
		.amdhsa_user_sgpr_count 6
		.amdhsa_user_sgpr_private_segment_buffer 1
		.amdhsa_user_sgpr_dispatch_ptr 0
		.amdhsa_user_sgpr_queue_ptr 0
		.amdhsa_user_sgpr_kernarg_segment_ptr 1
		.amdhsa_user_sgpr_dispatch_id 0
		.amdhsa_user_sgpr_flat_scratch_init 0
		.amdhsa_user_sgpr_private_segment_size 0
		.amdhsa_uses_dynamic_stack 0
		.amdhsa_system_sgpr_private_segment_wavefront_offset 0
		.amdhsa_system_sgpr_workgroup_id_x 1
		.amdhsa_system_sgpr_workgroup_id_y 0
		.amdhsa_system_sgpr_workgroup_id_z 1
		.amdhsa_system_sgpr_workgroup_info 0
		.amdhsa_system_vgpr_workitem_id 0
		.amdhsa_next_free_vgpr 132
		.amdhsa_next_free_sgpr 98
		.amdhsa_reserve_vcc 1
		.amdhsa_reserve_flat_scratch 0
		.amdhsa_float_round_mode_32 0
		.amdhsa_float_round_mode_16_64 0
		.amdhsa_float_denorm_mode_32 3
		.amdhsa_float_denorm_mode_16_64 3
		.amdhsa_dx10_clamp 1
		.amdhsa_ieee_mode 1
		.amdhsa_fp16_overflow 0
		.amdhsa_exception_fp_ieee_invalid_op 0
		.amdhsa_exception_fp_denorm_src 0
		.amdhsa_exception_fp_ieee_div_zero 0
		.amdhsa_exception_fp_ieee_overflow 0
		.amdhsa_exception_fp_ieee_underflow 0
		.amdhsa_exception_fp_ieee_inexact 0
		.amdhsa_exception_int_div_zero 0
	.end_amdhsa_kernel
	.section	.text._ZL38rocblas_trsm_small_left_device_sharedBILi24ELi24ELb1EddPKdPdEv13rocblas_fill_18rocblas_operation_17rocblas_diagonal_iiT3_T4_lilT5_lili,"axG",@progbits,_ZL38rocblas_trsm_small_left_device_sharedBILi24ELi24ELb1EddPKdPdEv13rocblas_fill_18rocblas_operation_17rocblas_diagonal_iiT3_T4_lilT5_lili,comdat
.Lfunc_end94:
	.size	_ZL38rocblas_trsm_small_left_device_sharedBILi24ELi24ELb1EddPKdPdEv13rocblas_fill_18rocblas_operation_17rocblas_diagonal_iiT3_T4_lilT5_lili, .Lfunc_end94-_ZL38rocblas_trsm_small_left_device_sharedBILi24ELi24ELb1EddPKdPdEv13rocblas_fill_18rocblas_operation_17rocblas_diagonal_iiT3_T4_lilT5_lili
                                        ; -- End function
	.set _ZL38rocblas_trsm_small_left_device_sharedBILi24ELi24ELb1EddPKdPdEv13rocblas_fill_18rocblas_operation_17rocblas_diagonal_iiT3_T4_lilT5_lili.num_vgpr, 132
	.set _ZL38rocblas_trsm_small_left_device_sharedBILi24ELi24ELb1EddPKdPdEv13rocblas_fill_18rocblas_operation_17rocblas_diagonal_iiT3_T4_lilT5_lili.num_agpr, 0
	.set _ZL38rocblas_trsm_small_left_device_sharedBILi24ELi24ELb1EddPKdPdEv13rocblas_fill_18rocblas_operation_17rocblas_diagonal_iiT3_T4_lilT5_lili.numbered_sgpr, 28
	.set _ZL38rocblas_trsm_small_left_device_sharedBILi24ELi24ELb1EddPKdPdEv13rocblas_fill_18rocblas_operation_17rocblas_diagonal_iiT3_T4_lilT5_lili.num_named_barrier, 0
	.set _ZL38rocblas_trsm_small_left_device_sharedBILi24ELi24ELb1EddPKdPdEv13rocblas_fill_18rocblas_operation_17rocblas_diagonal_iiT3_T4_lilT5_lili.private_seg_size, 0
	.set _ZL38rocblas_trsm_small_left_device_sharedBILi24ELi24ELb1EddPKdPdEv13rocblas_fill_18rocblas_operation_17rocblas_diagonal_iiT3_T4_lilT5_lili.uses_vcc, 1
	.set _ZL38rocblas_trsm_small_left_device_sharedBILi24ELi24ELb1EddPKdPdEv13rocblas_fill_18rocblas_operation_17rocblas_diagonal_iiT3_T4_lilT5_lili.uses_flat_scratch, 0
	.set _ZL38rocblas_trsm_small_left_device_sharedBILi24ELi24ELb1EddPKdPdEv13rocblas_fill_18rocblas_operation_17rocblas_diagonal_iiT3_T4_lilT5_lili.has_dyn_sized_stack, 0
	.set _ZL38rocblas_trsm_small_left_device_sharedBILi24ELi24ELb1EddPKdPdEv13rocblas_fill_18rocblas_operation_17rocblas_diagonal_iiT3_T4_lilT5_lili.has_recursion, 0
	.set _ZL38rocblas_trsm_small_left_device_sharedBILi24ELi24ELb1EddPKdPdEv13rocblas_fill_18rocblas_operation_17rocblas_diagonal_iiT3_T4_lilT5_lili.has_indirect_call, 0
	.section	.AMDGPU.csdata,"",@progbits
; Kernel info:
; codeLenInByte = 19224
; TotalNumSgprs: 32
; NumVgprs: 132
; ScratchSize: 0
; MemoryBound: 0
; FloatMode: 240
; IeeeMode: 1
; LDSByteSize: 9216 bytes/workgroup (compile time only)
; SGPRBlocks: 12
; VGPRBlocks: 32
; NumSGPRsForWavesPerEU: 102
; NumVGPRsForWavesPerEU: 132
; Occupancy: 1
; WaveLimiterHint : 0
; COMPUTE_PGM_RSRC2:SCRATCH_EN: 0
; COMPUTE_PGM_RSRC2:USER_SGPR: 6
; COMPUTE_PGM_RSRC2:TRAP_HANDLER: 0
; COMPUTE_PGM_RSRC2:TGID_X_EN: 1
; COMPUTE_PGM_RSRC2:TGID_Y_EN: 0
; COMPUTE_PGM_RSRC2:TGID_Z_EN: 1
; COMPUTE_PGM_RSRC2:TIDIG_COMP_CNT: 0
	.section	.text._ZL30rocblas_trsm_small_left_deviceILi24ELi24ELb1EddPKdPdEv13rocblas_fill_18rocblas_operation_17rocblas_diagonal_iiT3_T4_lilT5_lili,"axG",@progbits,_ZL30rocblas_trsm_small_left_deviceILi24ELi24ELb1EddPKdPdEv13rocblas_fill_18rocblas_operation_17rocblas_diagonal_iiT3_T4_lilT5_lili,comdat
	.globl	_ZL30rocblas_trsm_small_left_deviceILi24ELi24ELb1EddPKdPdEv13rocblas_fill_18rocblas_operation_17rocblas_diagonal_iiT3_T4_lilT5_lili ; -- Begin function _ZL30rocblas_trsm_small_left_deviceILi24ELi24ELb1EddPKdPdEv13rocblas_fill_18rocblas_operation_17rocblas_diagonal_iiT3_T4_lilT5_lili
	.p2align	8
	.type	_ZL30rocblas_trsm_small_left_deviceILi24ELi24ELb1EddPKdPdEv13rocblas_fill_18rocblas_operation_17rocblas_diagonal_iiT3_T4_lilT5_lili,@function
_ZL30rocblas_trsm_small_left_deviceILi24ELi24ELb1EddPKdPdEv13rocblas_fill_18rocblas_operation_17rocblas_diagonal_iiT3_T4_lilT5_lili: ; @_ZL30rocblas_trsm_small_left_deviceILi24ELi24ELb1EddPKdPdEv13rocblas_fill_18rocblas_operation_17rocblas_diagonal_iiT3_T4_lilT5_lili
; %bb.0:
	s_load_dwordx4 s[8:11], s[4:5], 0x4
	s_load_dwordx4 s[0:3], s[4:5], 0x18
	s_load_dwordx2 s[20:21], s[4:5], 0x28
	s_load_dwordx4 s[12:15], s[4:5], 0x38
	s_load_dwordx2 s[16:17], s[4:5], 0x48
	s_waitcnt lgkmcnt(0)
	s_min_i32 s22, s10, 24
	v_cmp_gt_i32_e32 vcc, s22, v0
	s_and_saveexec_b64 s[18:19], vcc
	s_cbranch_execz .LBB95_6
; %bb.1:
	s_load_dword s24, s[4:5], 0x30
	s_mul_i32 s13, s13, s7
	s_mul_hi_u32 s23, s12, s7
	s_mul_i32 s12, s12, s7
	s_add_i32 s13, s23, s13
	s_waitcnt lgkmcnt(0)
	s_ashr_i32 s25, s24, 31
	s_lshl_b64 s[12:13], s[12:13], 3
	s_add_u32 s12, s2, s12
	s_addc_u32 s13, s3, s13
	s_lshl_b64 s[2:3], s[20:21], 3
	s_add_u32 s2, s12, s2
	s_addc_u32 s3, s13, s3
	v_lshlrev_b32_e32 v3, 3, v0
	v_mov_b32_e32 v2, s3
	v_add_co_u32_e32 v1, vcc, s2, v3
	s_lshl_b64 s[2:3], s[24:25], 3
	v_addc_co_u32_e32 v2, vcc, 0, v2, vcc
	v_mov_b32_e32 v4, s3
	v_mov_b32_e32 v5, v3
	s_mov_b32 s3, s22
.LBB95_2:                               ; =>This Inner Loop Header: Depth=1
	global_load_dwordx2 v[6:7], v[1:2], off
	v_add_co_u32_e32 v1, vcc, s2, v1
	s_add_i32 s3, s3, -1
	v_addc_co_u32_e32 v2, vcc, v2, v4, vcc
	s_cmp_eq_u32 s3, 0
	s_waitcnt vmcnt(0)
	ds_write_b64 v5, v[6:7]
	v_add_u32_e32 v5, 0xc0, v5
	s_cbranch_scc0 .LBB95_2
; %bb.3:
	v_mul_u32_u24_e32 v4, 0xc0, v0
	v_mov_b32_e32 v1, 0
	s_cmpk_lg_i32 s9, 0x84
	v_mov_b32_e32 v2, 0x3ff00000
	v_add_u32_e32 v3, v3, v4
	s_cbranch_scc0 .LBB95_5
; %bb.4:
	ds_read_b64 v[1:2], v3
	s_waitcnt lgkmcnt(0)
	v_div_scale_f64 v[4:5], s[2:3], v[1:2], v[1:2], 1.0
	v_div_scale_f64 v[10:11], vcc, 1.0, v[1:2], 1.0
	v_rcp_f64_e32 v[6:7], v[4:5]
	v_fma_f64 v[8:9], -v[4:5], v[6:7], 1.0
	v_fma_f64 v[6:7], v[6:7], v[8:9], v[6:7]
	v_fma_f64 v[8:9], -v[4:5], v[6:7], 1.0
	v_fma_f64 v[6:7], v[6:7], v[8:9], v[6:7]
	v_mul_f64 v[8:9], v[10:11], v[6:7]
	v_fma_f64 v[4:5], -v[4:5], v[8:9], v[10:11]
	v_div_fmas_f64 v[4:5], v[4:5], v[6:7], v[8:9]
	v_div_fixup_f64 v[1:2], v[4:5], v[1:2], 1.0
.LBB95_5:
	ds_write_b64 v3, v[1:2]
.LBB95_6:
	s_or_b64 exec, exec, s[18:19]
	s_load_dword s2, s[4:5], 0x68
	s_mul_i32 s3, s6, 0xffffffe8
	s_add_i32 s3, s11, s3
	s_waitcnt lgkmcnt(0)
	; wave barrier
	s_add_i32 s2, s2, -1
	s_cmp_ge_u32 s6, s2
	s_cselect_b32 s2, s3, 24
	v_cmp_gt_i32_e32 vcc, s2, v0
	s_and_saveexec_b64 s[2:3], vcc
	s_cbranch_execz .LBB95_44
; %bb.7:
	s_load_dwordx2 s[2:3], s[4:5], 0x58
	s_load_dword s9, s[4:5], 0x50
	s_waitcnt lgkmcnt(0)
	s_mul_i32 s3, s3, s7
	s_mul_hi_u32 s4, s2, s7
	s_add_i32 s3, s4, s3
	v_mad_u64_u32 v[0:1], s[4:5], s6, 24, v[0:1]
	s_mul_i32 s2, s2, s7
	s_lshl_b64 s[2:3], s[2:3], 3
	s_add_u32 s4, s14, s2
	s_addc_u32 s5, s15, s3
	v_mad_i64_i32 v[0:1], s[2:3], s9, v0, 0
	s_lshl_b64 s[2:3], s[16:17], 3
	s_add_u32 s2, s4, s2
	v_lshlrev_b64 v[0:1], 3, v[0:1]
	s_addc_u32 s3, s5, s3
	v_mov_b32_e32 v2, s3
	v_add_co_u32_e32 v72, vcc, s2, v0
	v_addc_co_u32_e32 v73, vcc, v2, v1, vcc
	s_cmpk_eq_i32 s8, 0x6f
	s_mov_b64 s[2:3], -1
	s_cbranch_scc1 .LBB95_30
; %bb.8:
	s_add_i32 s11, s22, -1
	s_cmp_gt_i32 s10, 23
	s_mov_b32 s2, s11
	s_cbranch_scc0 .LBB95_10
; %bb.9:
	global_load_dwordx4 v[4:7], v[72:73], off offset:176
	global_load_dwordx4 v[8:11], v[72:73], off offset:160
	;; [unrolled: 1-line block ×4, first 2 shown]
	s_movk_i32 s2, 0x1000
	v_add_u32_e64 v12, s2, 0
	global_load_dwordx4 v[49:52], v[72:73], off offset:112
	global_load_dwordx4 v[53:56], v[72:73], off offset:96
	;; [unrolled: 1-line block ×7, first 2 shown]
	global_load_dwordx4 v[0:3], v[72:73], off
	ds_read2_b64 v[24:27], v12 offset0:15 offset1:63
	v_mov_b32_e32 v48, 0
	ds_read_b128 v[57:60], v48 offset:4400
	s_movk_i32 s2, 0x800
	v_add_u32_e64 v69, s2, 0
	s_movk_i32 s2, 0x400
	s_waitcnt vmcnt(11)
	v_mul_f64 v[6:7], s[0:1], v[6:7]
	s_waitcnt lgkmcnt(1)
	v_mul_f64 v[14:15], v[26:27], v[6:7]
	s_waitcnt lgkmcnt(0)
	v_mul_f64 v[6:7], v[14:15], v[59:60]
	v_fma_f64 v[4:5], s[0:1], v[4:5], -v[6:7]
	v_mul_f64 v[12:13], v[57:58], v[4:5]
	v_mul_f64 v[4:5], v[14:15], v[24:25]
	ds_read_b128 v[24:27], v48 offset:4016
	global_store_dwordx4 v[72:73], v[12:15], off offset:176
	s_waitcnt vmcnt(11)
	v_fma_f64 v[10:11], s[0:1], v[10:11], -v[4:5]
	v_mov_b32_e32 v4, 0x1068
	ds_read2_b64 v[4:7], v4 offset1:1
	s_waitcnt lgkmcnt(0)
	v_fma_f64 v[6:7], -v[12:13], v[6:7], v[10:11]
	v_mul_f64 v[6:7], v[4:5], v[6:7]
	v_mul_f64 v[4:5], v[14:15], v[26:27]
	v_fma_f64 v[4:5], s[0:1], v[8:9], -v[4:5]
	ds_read_b128 v[8:11], v48 offset:4000
	v_fma_f64 v[4:5], -v[12:13], v[24:25], v[4:5]
	s_waitcnt lgkmcnt(0)
	v_fma_f64 v[4:5], -v[6:7], v[10:11], v[4:5]
	v_mul_f64 v[4:5], v[8:9], v[4:5]
	ds_read2_b64 v[8:11], v69 offset0:175 offset1:223
	s_waitcnt lgkmcnt(0)
	v_mul_f64 v[10:11], v[14:15], v[10:11]
	v_mul_f64 v[8:9], v[14:15], v[8:9]
	global_store_dwordx4 v[72:73], v[4:7], off offset:160
	s_waitcnt vmcnt(11)
	v_fma_f64 v[10:11], s[0:1], v[18:19], -v[10:11]
	v_mov_b32_e32 v18, 0xee8
	ds_read2_b64 v[24:27], v18 offset1:1
	v_mov_b32_e32 v18, 0xed8
	s_waitcnt lgkmcnt(0)
	v_fma_f64 v[10:11], -v[12:13], v[26:27], v[10:11]
	v_fma_f64 v[10:11], -v[6:7], v[24:25], v[10:11]
	ds_read2_b64 v[24:27], v18 offset1:1
	ds_read_b128 v[57:60], v48 offset:3600
	ds_read_b128 v[61:64], v48 offset:3616
	;; [unrolled: 1-line block ×3, first 2 shown]
	s_waitcnt lgkmcnt(3)
	v_fma_f64 v[10:11], -v[4:5], v[26:27], v[10:11]
	v_mul_f64 v[26:27], v[24:25], v[10:11]
	s_waitcnt lgkmcnt(0)
	v_mul_f64 v[10:11], v[14:15], v[67:68]
	v_fma_f64 v[10:11], s[0:1], v[16:17], -v[10:11]
	s_waitcnt vmcnt(10)
	v_fma_f64 v[16:17], s[0:1], v[22:23], -v[8:9]
	v_mov_b32_e32 v8, 0xd68
	v_fma_f64 v[10:11], -v[12:13], v[65:66], v[10:11]
	v_fma_f64 v[10:11], -v[6:7], v[63:64], v[10:11]
	;; [unrolled: 1-line block ×4, first 2 shown]
	v_mul_f64 v[24:25], v[57:58], v[10:11]
	ds_read2_b64 v[8:11], v8 offset1:1
	s_waitcnt lgkmcnt(0)
	v_fma_f64 v[10:11], -v[12:13], v[10:11], v[16:17]
	global_store_dwordx4 v[72:73], v[24:27], off offset:144
	v_fma_f64 v[16:17], -v[6:7], v[8:9], v[10:11]
	v_mov_b32_e32 v8, 0xd58
	ds_read2_b64 v[8:11], v8 offset1:1
	s_waitcnt lgkmcnt(0)
	v_fma_f64 v[10:11], -v[4:5], v[10:11], v[16:17]
	v_fma_f64 v[16:17], -v[26:27], v[8:9], v[10:11]
	v_mov_b32_e32 v8, 0xd48
	ds_read2_b64 v[8:11], v8 offset1:1
	s_waitcnt lgkmcnt(0)
	v_fma_f64 v[10:11], -v[24:25], v[10:11], v[16:17]
	ds_read_b128 v[16:19], v48 offset:3248
	v_mul_f64 v[10:11], v[8:9], v[10:11]
	s_waitcnt lgkmcnt(0)
	v_mul_f64 v[8:9], v[14:15], v[18:19]
	v_fma_f64 v[8:9], s[0:1], v[20:21], -v[8:9]
	v_fma_f64 v[8:9], -v[12:13], v[16:17], v[8:9]
	ds_read_b128 v[16:19], v48 offset:3232
	s_waitcnt lgkmcnt(0)
	v_fma_f64 v[8:9], -v[6:7], v[18:19], v[8:9]
	v_fma_f64 v[8:9], -v[4:5], v[16:17], v[8:9]
	ds_read_b128 v[16:19], v48 offset:3216
	s_waitcnt lgkmcnt(0)
	v_fma_f64 v[8:9], -v[26:27], v[18:19], v[8:9]
	;; [unrolled: 4-line block ×3, first 2 shown]
	v_mul_f64 v[8:9], v[16:17], v[8:9]
	ds_read2_b64 v[16:19], v69 offset0:79 offset1:127
	s_waitcnt lgkmcnt(0)
	v_mul_f64 v[18:19], v[14:15], v[18:19]
	v_mul_f64 v[16:17], v[14:15], v[16:17]
	global_store_dwordx4 v[72:73], v[8:11], off offset:128
	s_waitcnt vmcnt(11)
	v_fma_f64 v[22:23], s[0:1], v[51:52], -v[18:19]
	v_mov_b32_e32 v18, 0xbe8
	ds_read2_b64 v[18:21], v18 offset1:1
	s_waitcnt lgkmcnt(0)
	v_fma_f64 v[20:21], -v[12:13], v[20:21], v[22:23]
	v_fma_f64 v[22:23], -v[6:7], v[18:19], v[20:21]
	v_mov_b32_e32 v18, 0xbd8
	ds_read2_b64 v[18:21], v18 offset1:1
	s_waitcnt lgkmcnt(0)
	v_fma_f64 v[20:21], -v[4:5], v[20:21], v[22:23]
	v_fma_f64 v[22:23], -v[26:27], v[18:19], v[20:21]
	;; [unrolled: 5-line block ×3, first 2 shown]
	v_mov_b32_e32 v18, 0xbb8
	ds_read2_b64 v[18:21], v18 offset1:1
	s_waitcnt lgkmcnt(0)
	v_fma_f64 v[20:21], -v[8:9], v[20:21], v[22:23]
	v_mul_f64 v[22:23], v[18:19], v[20:21]
	ds_read_b128 v[18:21], v48 offset:2864
	s_waitcnt lgkmcnt(0)
	v_mul_f64 v[20:21], v[14:15], v[20:21]
	v_fma_f64 v[20:21], s[0:1], v[49:50], -v[20:21]
	v_fma_f64 v[65:66], -v[12:13], v[18:19], v[20:21]
	ds_read_b128 v[18:21], v48 offset:2800
	ds_read_b128 v[49:52], v48 offset:2816
	;; [unrolled: 1-line block ×4, first 2 shown]
	s_waitcnt lgkmcnt(0)
	v_fma_f64 v[63:64], -v[6:7], v[63:64], v[65:66]
	v_fma_f64 v[61:62], -v[4:5], v[61:62], v[63:64]
	;; [unrolled: 1-line block ×7, first 2 shown]
	s_waitcnt vmcnt(10)
	v_fma_f64 v[49:50], s[0:1], v[55:56], -v[16:17]
	v_mov_b32_e32 v16, 0xa68
	v_mul_f64 v[20:21], v[18:19], v[20:21]
	ds_read2_b64 v[16:19], v16 offset1:1
	s_waitcnt lgkmcnt(0)
	v_fma_f64 v[18:19], -v[12:13], v[18:19], v[49:50]
	global_store_dwordx4 v[72:73], v[20:23], off offset:112
	v_fma_f64 v[49:50], -v[6:7], v[16:17], v[18:19]
	v_mov_b32_e32 v16, 0xa58
	ds_read2_b64 v[16:19], v16 offset1:1
	s_waitcnt lgkmcnt(0)
	v_fma_f64 v[18:19], -v[4:5], v[18:19], v[49:50]
	v_fma_f64 v[49:50], -v[26:27], v[16:17], v[18:19]
	v_mov_b32_e32 v16, 0xa48
	ds_read2_b64 v[16:19], v16 offset1:1
	s_waitcnt lgkmcnt(0)
	v_fma_f64 v[18:19], -v[24:25], v[18:19], v[49:50]
	;; [unrolled: 5-line block ×4, first 2 shown]
	ds_read_b128 v[49:52], v48 offset:2480
	v_mul_f64 v[18:19], v[16:17], v[18:19]
	s_waitcnt lgkmcnt(0)
	v_mul_f64 v[16:17], v[14:15], v[51:52]
	v_fma_f64 v[16:17], s[0:1], v[53:54], -v[16:17]
	v_fma_f64 v[16:17], -v[12:13], v[49:50], v[16:17]
	ds_read_b128 v[49:52], v48 offset:2464
	s_waitcnt lgkmcnt(0)
	v_fma_f64 v[16:17], -v[6:7], v[51:52], v[16:17]
	v_fma_f64 v[16:17], -v[4:5], v[49:50], v[16:17]
	ds_read_b128 v[49:52], v48 offset:2400
	ds_read_b128 v[53:56], v48 offset:2416
	;; [unrolled: 1-line block ×4, first 2 shown]
	s_waitcnt lgkmcnt(0)
	v_fma_f64 v[16:17], -v[26:27], v[63:64], v[16:17]
	v_fma_f64 v[16:17], -v[24:25], v[61:62], v[16:17]
	;; [unrolled: 1-line block ×7, first 2 shown]
	v_mul_f64 v[16:17], v[49:50], v[16:17]
	v_add_u32_e64 v49, s2, 0
	ds_read2_b64 v[49:52], v49 offset0:111 offset1:159
	s_mov_b32 s2, -1
	s_waitcnt lgkmcnt(0)
	v_mul_f64 v[51:52], v[14:15], v[51:52]
	global_store_dwordx4 v[72:73], v[16:19], off offset:96
	v_mul_f64 v[49:50], v[14:15], v[49:50]
	s_waitcnt vmcnt(11)
	v_fma_f64 v[34:35], s[0:1], v[34:35], -v[51:52]
	v_mov_b32_e32 v51, 0x8e8
	ds_read2_b64 v[51:54], v51 offset1:1
	s_waitcnt vmcnt(10)
	v_fma_f64 v[38:39], s[0:1], v[38:39], -v[49:50]
	s_waitcnt lgkmcnt(0)
	v_fma_f64 v[34:35], -v[12:13], v[53:54], v[34:35]
	v_fma_f64 v[34:35], -v[6:7], v[51:52], v[34:35]
	v_mov_b32_e32 v51, 0x8d8
	ds_read2_b64 v[51:54], v51 offset1:1
	s_waitcnt lgkmcnt(0)
	v_fma_f64 v[34:35], -v[4:5], v[53:54], v[34:35]
	v_fma_f64 v[34:35], -v[26:27], v[51:52], v[34:35]
	v_mov_b32_e32 v51, 0x8c8
	ds_read2_b64 v[51:54], v51 offset1:1
	;; [unrolled: 5-line block ×5, first 2 shown]
	s_waitcnt lgkmcnt(0)
	v_fma_f64 v[34:35], -v[16:17], v[53:54], v[34:35]
	v_mul_f64 v[34:35], v[51:52], v[34:35]
	ds_read_b128 v[51:54], v48 offset:2096
	s_waitcnt lgkmcnt(0)
	v_mul_f64 v[53:54], v[14:15], v[53:54]
	v_fma_f64 v[32:33], s[0:1], v[32:33], -v[53:54]
	v_fma_f64 v[32:33], -v[12:13], v[51:52], v[32:33]
	ds_read_b128 v[51:54], v48 offset:2080
	s_waitcnt lgkmcnt(0)
	v_fma_f64 v[32:33], -v[6:7], v[53:54], v[32:33]
	v_fma_f64 v[32:33], -v[4:5], v[51:52], v[32:33]
	ds_read_b128 v[51:54], v48 offset:2064
	s_waitcnt lgkmcnt(0)
	v_fma_f64 v[32:33], -v[26:27], v[53:54], v[32:33]
	v_fma_f64 v[32:33], -v[24:25], v[51:52], v[32:33]
	ds_read_b128 v[51:54], v48 offset:2000
	ds_read_b128 v[55:58], v48 offset:2016
	;; [unrolled: 1-line block ×4, first 2 shown]
	s_waitcnt lgkmcnt(0)
	v_fma_f64 v[32:33], -v[10:11], v[65:66], v[32:33]
	v_fma_f64 v[32:33], -v[8:9], v[63:64], v[32:33]
	;; [unrolled: 1-line block ×7, first 2 shown]
	v_mul_f64 v[32:33], v[51:52], v[32:33]
	ds_read2_b64 v[49:52], v48 offset0:237 offset1:238
	s_waitcnt lgkmcnt(0)
	v_fma_f64 v[38:39], -v[12:13], v[51:52], v[38:39]
	global_store_dwordx4 v[72:73], v[32:35], off offset:80
	v_fma_f64 v[38:39], -v[6:7], v[49:50], v[38:39]
	ds_read2_b64 v[49:52], v48 offset0:235 offset1:236
	s_waitcnt lgkmcnt(0)
	v_fma_f64 v[38:39], -v[4:5], v[51:52], v[38:39]
	v_fma_f64 v[38:39], -v[26:27], v[49:50], v[38:39]
	ds_read2_b64 v[49:52], v48 offset0:233 offset1:234
	s_waitcnt lgkmcnt(0)
	v_fma_f64 v[38:39], -v[24:25], v[51:52], v[38:39]
	;; [unrolled: 4-line block ×6, first 2 shown]
	v_mul_f64 v[38:39], v[49:50], v[38:39]
	ds_read_b128 v[49:52], v48 offset:1712
	s_waitcnt lgkmcnt(0)
	v_mul_f64 v[51:52], v[14:15], v[51:52]
	v_fma_f64 v[36:37], s[0:1], v[36:37], -v[51:52]
	v_fma_f64 v[36:37], -v[12:13], v[49:50], v[36:37]
	ds_read_b128 v[49:52], v48 offset:1696
	s_waitcnt lgkmcnt(0)
	v_fma_f64 v[36:37], -v[6:7], v[51:52], v[36:37]
	v_fma_f64 v[36:37], -v[4:5], v[49:50], v[36:37]
	ds_read_b128 v[49:52], v48 offset:1680
	s_waitcnt lgkmcnt(0)
	v_fma_f64 v[36:37], -v[26:27], v[51:52], v[36:37]
	v_fma_f64 v[36:37], -v[24:25], v[49:50], v[36:37]
	ds_read_b128 v[49:52], v48 offset:1664
	s_waitcnt lgkmcnt(0)
	v_fma_f64 v[36:37], -v[10:11], v[51:52], v[36:37]
	v_fma_f64 v[36:37], -v[8:9], v[49:50], v[36:37]
	ds_read_b128 v[49:52], v48 offset:1600
	ds_read_b128 v[53:56], v48 offset:1616
	;; [unrolled: 1-line block ×4, first 2 shown]
	s_waitcnt lgkmcnt(0)
	v_fma_f64 v[36:37], -v[22:23], v[63:64], v[36:37]
	v_fma_f64 v[36:37], -v[20:21], v[61:62], v[36:37]
	;; [unrolled: 1-line block ×7, first 2 shown]
	v_mul_f64 v[36:37], v[49:50], v[36:37]
	ds_read2_b64 v[49:52], v48 offset0:143 offset1:191
	s_waitcnt lgkmcnt(0)
	v_mul_f64 v[51:52], v[14:15], v[51:52]
	v_mul_f64 v[49:50], v[14:15], v[49:50]
	global_store_dwordx4 v[72:73], v[36:39], off offset:64
	s_waitcnt vmcnt(11)
	v_fma_f64 v[46:47], s[0:1], v[46:47], -v[51:52]
	ds_read2_b64 v[51:54], v48 offset0:189 offset1:190
	s_waitcnt vmcnt(10)
	v_fma_f64 v[42:43], s[0:1], v[42:43], -v[49:50]
	s_waitcnt lgkmcnt(0)
	v_fma_f64 v[46:47], -v[12:13], v[53:54], v[46:47]
	v_fma_f64 v[46:47], -v[6:7], v[51:52], v[46:47]
	ds_read2_b64 v[51:54], v48 offset0:187 offset1:188
	s_waitcnt lgkmcnt(0)
	v_fma_f64 v[46:47], -v[4:5], v[53:54], v[46:47]
	v_fma_f64 v[46:47], -v[26:27], v[51:52], v[46:47]
	ds_read2_b64 v[51:54], v48 offset0:185 offset1:186
	;; [unrolled: 4-line block ×7, first 2 shown]
	s_waitcnt lgkmcnt(0)
	v_fma_f64 v[46:47], -v[36:37], v[53:54], v[46:47]
	v_mul_f64 v[46:47], v[51:52], v[46:47]
	ds_read_b128 v[51:54], v48 offset:1328
	s_waitcnt lgkmcnt(0)
	v_mul_f64 v[53:54], v[14:15], v[53:54]
	v_fma_f64 v[44:45], s[0:1], v[44:45], -v[53:54]
	v_fma_f64 v[44:45], -v[12:13], v[51:52], v[44:45]
	ds_read_b128 v[51:54], v48 offset:1312
	s_waitcnt lgkmcnt(0)
	v_fma_f64 v[44:45], -v[6:7], v[53:54], v[44:45]
	v_fma_f64 v[44:45], -v[4:5], v[51:52], v[44:45]
	ds_read_b128 v[51:54], v48 offset:1296
	s_waitcnt lgkmcnt(0)
	v_fma_f64 v[44:45], -v[26:27], v[53:54], v[44:45]
	;; [unrolled: 4-line block ×4, first 2 shown]
	v_fma_f64 v[44:45], -v[20:21], v[51:52], v[44:45]
	ds_read_b128 v[51:54], v48 offset:1200
	ds_read_b128 v[55:58], v48 offset:1216
	;; [unrolled: 1-line block ×4, first 2 shown]
	s_waitcnt lgkmcnt(0)
	v_fma_f64 v[44:45], -v[18:19], v[65:66], v[44:45]
	v_fma_f64 v[44:45], -v[16:17], v[63:64], v[44:45]
	;; [unrolled: 1-line block ×7, first 2 shown]
	v_mul_f64 v[44:45], v[51:52], v[44:45]
	ds_read2_b64 v[49:52], v48 offset0:141 offset1:142
	s_waitcnt lgkmcnt(0)
	v_fma_f64 v[42:43], -v[12:13], v[51:52], v[42:43]
	global_store_dwordx4 v[72:73], v[44:47], off offset:48
	v_fma_f64 v[42:43], -v[6:7], v[49:50], v[42:43]
	ds_read2_b64 v[49:52], v48 offset0:139 offset1:140
	s_waitcnt lgkmcnt(0)
	v_fma_f64 v[42:43], -v[4:5], v[51:52], v[42:43]
	v_fma_f64 v[42:43], -v[26:27], v[49:50], v[42:43]
	ds_read2_b64 v[49:52], v48 offset0:137 offset1:138
	s_waitcnt lgkmcnt(0)
	v_fma_f64 v[42:43], -v[24:25], v[51:52], v[42:43]
	;; [unrolled: 4-line block ×8, first 2 shown]
	v_mul_f64 v[42:43], v[49:50], v[42:43]
	ds_read_b128 v[49:52], v48 offset:944
	s_waitcnt lgkmcnt(0)
	v_mul_f64 v[51:52], v[14:15], v[51:52]
	v_fma_f64 v[40:41], s[0:1], v[40:41], -v[51:52]
	v_fma_f64 v[40:41], -v[12:13], v[49:50], v[40:41]
	ds_read_b128 v[49:52], v48 offset:928
	s_waitcnt lgkmcnt(0)
	v_fma_f64 v[40:41], -v[6:7], v[51:52], v[40:41]
	v_fma_f64 v[40:41], -v[4:5], v[49:50], v[40:41]
	ds_read_b128 v[49:52], v48 offset:912
	s_waitcnt lgkmcnt(0)
	v_fma_f64 v[40:41], -v[26:27], v[51:52], v[40:41]
	;; [unrolled: 4-line block ×5, first 2 shown]
	v_fma_f64 v[40:41], -v[16:17], v[49:50], v[40:41]
	ds_read_b128 v[49:52], v48 offset:800
	ds_read_b128 v[53:56], v48 offset:816
	ds_read_b128 v[57:60], v48 offset:832
	ds_read_b128 v[61:64], v48 offset:848
	s_waitcnt lgkmcnt(0)
	v_fma_f64 v[40:41], -v[34:35], v[63:64], v[40:41]
	v_fma_f64 v[40:41], -v[32:33], v[61:62], v[40:41]
	;; [unrolled: 1-line block ×7, first 2 shown]
	v_mul_f64 v[40:41], v[49:50], v[40:41]
	ds_read2_b64 v[49:52], v48 offset0:47 offset1:95
	s_waitcnt lgkmcnt(0)
	v_mul_f64 v[51:52], v[14:15], v[51:52]
	v_mul_f64 v[49:50], v[14:15], v[49:50]
	global_store_dwordx4 v[72:73], v[40:43], off offset:32
	s_waitcnt vmcnt(11)
	v_fma_f64 v[30:31], s[0:1], v[30:31], -v[51:52]
	ds_read2_b64 v[51:54], v48 offset0:93 offset1:94
	s_waitcnt vmcnt(10)
	v_fma_f64 v[2:3], s[0:1], v[2:3], -v[49:50]
	s_waitcnt lgkmcnt(0)
	v_fma_f64 v[30:31], -v[12:13], v[53:54], v[30:31]
	v_fma_f64 v[30:31], -v[6:7], v[51:52], v[30:31]
	ds_read2_b64 v[51:54], v48 offset0:91 offset1:92
	s_waitcnt lgkmcnt(0)
	v_fma_f64 v[30:31], -v[4:5], v[53:54], v[30:31]
	v_fma_f64 v[30:31], -v[26:27], v[51:52], v[30:31]
	ds_read2_b64 v[51:54], v48 offset0:89 offset1:90
	;; [unrolled: 4-line block ×9, first 2 shown]
	s_waitcnt lgkmcnt(0)
	v_fma_f64 v[30:31], -v[40:41], v[53:54], v[30:31]
	v_mul_f64 v[30:31], v[51:52], v[30:31]
	ds_read_b128 v[51:54], v48 offset:560
	s_waitcnt lgkmcnt(0)
	v_mul_f64 v[53:54], v[14:15], v[53:54]
	v_fma_f64 v[28:29], s[0:1], v[28:29], -v[53:54]
	v_fma_f64 v[28:29], -v[12:13], v[51:52], v[28:29]
	ds_read_b128 v[51:54], v48 offset:544
	s_waitcnt lgkmcnt(0)
	v_fma_f64 v[28:29], -v[6:7], v[53:54], v[28:29]
	v_fma_f64 v[28:29], -v[4:5], v[51:52], v[28:29]
	ds_read_b128 v[51:54], v48 offset:528
	s_waitcnt lgkmcnt(0)
	v_fma_f64 v[28:29], -v[26:27], v[53:54], v[28:29]
	;; [unrolled: 4-line block ×6, first 2 shown]
	v_fma_f64 v[28:29], -v[32:33], v[51:52], v[28:29]
	ds_read_b128 v[51:54], v48 offset:400
	ds_read_b128 v[55:58], v48 offset:416
	;; [unrolled: 1-line block ×4, first 2 shown]
	s_waitcnt lgkmcnt(0)
	v_fma_f64 v[28:29], -v[38:39], v[65:66], v[28:29]
	v_fma_f64 v[28:29], -v[36:37], v[63:64], v[28:29]
	;; [unrolled: 1-line block ×7, first 2 shown]
	v_mul_f64 v[28:29], v[51:52], v[28:29]
	ds_read2_b64 v[49:52], v48 offset0:45 offset1:46
	s_waitcnt lgkmcnt(0)
	v_fma_f64 v[2:3], -v[12:13], v[51:52], v[2:3]
	global_store_dwordx4 v[72:73], v[28:31], off offset:16
	v_fma_f64 v[2:3], -v[6:7], v[49:50], v[2:3]
	ds_read2_b64 v[49:52], v48 offset0:43 offset1:44
	s_waitcnt lgkmcnt(0)
	v_fma_f64 v[2:3], -v[4:5], v[51:52], v[2:3]
	v_fma_f64 v[2:3], -v[26:27], v[49:50], v[2:3]
	ds_read2_b64 v[49:52], v48 offset0:41 offset1:42
	s_waitcnt lgkmcnt(0)
	v_fma_f64 v[2:3], -v[24:25], v[51:52], v[2:3]
	;; [unrolled: 4-line block ×10, first 2 shown]
	v_mul_f64 v[2:3], v[49:50], v[2:3]
	ds_read_b128 v[49:52], v48 offset:176
	s_waitcnt lgkmcnt(0)
	v_mul_f64 v[14:15], v[14:15], v[51:52]
	v_fma_f64 v[0:1], s[0:1], v[0:1], -v[14:15]
	v_fma_f64 v[0:1], -v[12:13], v[49:50], v[0:1]
	ds_read_b128 v[12:15], v48 offset:160
	s_waitcnt lgkmcnt(0)
	v_fma_f64 v[0:1], -v[6:7], v[14:15], v[0:1]
	v_fma_f64 v[0:1], -v[4:5], v[12:13], v[0:1]
	ds_read_b128 v[4:7], v48 offset:144
	s_waitcnt lgkmcnt(0)
	v_fma_f64 v[0:1], -v[26:27], v[6:7], v[0:1]
	;; [unrolled: 4-line block ×7, first 2 shown]
	v_fma_f64 v[0:1], -v[36:37], v[4:5], v[0:1]
	ds_read_b128 v[4:7], v48
	ds_read_b128 v[8:11], v48 offset:16
	ds_read_b128 v[12:15], v48 offset:32
	;; [unrolled: 1-line block ×3, first 2 shown]
	s_waitcnt lgkmcnt(0)
	v_fma_f64 v[0:1], -v[46:47], v[18:19], v[0:1]
	v_fma_f64 v[0:1], -v[44:45], v[16:17], v[0:1]
	;; [unrolled: 1-line block ×7, first 2 shown]
	v_mul_f64 v[0:1], v[4:5], v[0:1]
	global_store_dwordx4 v[72:73], v[0:3], off
.LBB95_10:
	s_cmp_gt_i32 s2, -1
	s_cbranch_scc0 .LBB95_29
; %bb.11:
	s_cmp_lt_u32 s2, 19
	s_cbranch_scc1 .LBB95_16
; %bb.12:
	s_mov_b32 s5, 0
	s_mov_b32 s3, s5
	s_lshl_b64 s[6:7], s[2:3], 3
	v_mov_b32_e32 v0, s7
	v_add_co_u32_e32 v24, vcc, s6, v72
	v_addc_co_u32_e32 v25, vcc, v73, v0, vcc
	global_load_dwordx4 v[0:3], v[24:25], off offset:-8
	global_load_dwordx4 v[6:9], v[24:25], off offset:-24
	;; [unrolled: 1-line block ×10, first 2 shown]
	s_cmp_le_i32 s11, s2
	s_waitcnt vmcnt(9)
	v_mul_f64 v[4:5], s[0:1], v[2:3]
	v_mul_f64 v[40:41], s[0:1], v[0:1]
	s_waitcnt vmcnt(8)
	v_mul_f64 v[8:9], s[0:1], v[8:9]
	v_mul_f64 v[10:11], s[0:1], v[6:7]
	s_waitcnt vmcnt(7)
	v_mul_f64 v[12:13], s[0:1], v[16:17]
	v_mul_f64 v[38:39], s[0:1], v[14:15]
	s_waitcnt vmcnt(6)
	v_mul_f64 v[14:15], s[0:1], v[20:21]
	v_mul_f64 v[18:19], s[0:1], v[18:19]
	s_waitcnt vmcnt(5)
	v_mul_f64 v[20:21], s[0:1], v[28:29]
	v_mul_f64 v[36:37], s[0:1], v[26:27]
	s_waitcnt vmcnt(4)
	v_mul_f64 v[28:29], s[0:1], v[32:33]
	v_mul_f64 v[34:35], s[0:1], v[30:31]
	s_waitcnt vmcnt(3)
	v_mul_f64 v[32:33], s[0:1], v[44:45]
	v_mul_f64 v[30:31], s[0:1], v[42:43]
	s_waitcnt vmcnt(2)
	v_mul_f64 v[26:27], s[0:1], v[48:49]
	v_mul_f64 v[22:23], s[0:1], v[46:47]
	s_waitcnt vmcnt(1)
	v_mul_f64 v[16:17], s[0:1], v[52:53]
	v_mul_f64 v[6:7], s[0:1], v[50:51]
	s_waitcnt vmcnt(0)
	v_mul_f64 v[2:3], s[0:1], v[56:57]
	v_mul_f64 v[0:1], s[0:1], v[54:55]
	s_cbranch_scc1 .LBB95_15
; %bb.13:
	s_mul_i32 s3, s2, 0xc0
	s_lshl_b32 s4, s22, 3
	s_add_i32 s3, s3, s4
	s_addk_i32 s3, 0xf1b8
	s_mov_b32 s4, s11
.LBB95_14:                              ; =>This Inner Loop Header: Depth=1
	s_lshl_b64 s[6:7], s[4:5], 3
	v_mov_b32_e32 v43, s7
	v_add_co_u32_e32 v42, vcc, s6, v72
	v_addc_co_u32_e32 v43, vcc, v73, v43, vcc
	global_load_dwordx2 v[70:71], v[42:43], off
	v_mov_b32_e32 v58, s3
	v_add_u32_e32 v78, 0x800, v58
	v_add_u32_e32 v79, 0x400, v58
	ds_read2_b64 v[42:45], v58 offset0:192 offset1:216
	ds_read2_b64 v[46:49], v58 offset0:144 offset1:168
	;; [unrolled: 1-line block ×4, first 2 shown]
	ds_read2_b64 v[58:61], v58 offset1:24
	ds_read2_b64 v[62:65], v78 offset0:176 offset1:200
	ds_read2_b64 v[66:69], v78 offset0:128 offset1:152
	;; [unrolled: 1-line block ×3, first 2 shown]
	s_add_i32 s4, s4, -1
	s_add_i32 s3, s3, -8
	s_cmp_gt_i32 s4, s2
	s_waitcnt vmcnt(0) lgkmcnt(2)
	v_fma_f64 v[4:5], -v[70:71], v[64:65], v[4:5]
	v_fma_f64 v[40:41], -v[70:71], v[62:63], v[40:41]
	ds_read2_b64 v[62:65], v78 offset0:32 offset1:56
	ds_read2_b64 v[78:81], v79 offset0:112 offset1:136
	s_waitcnt lgkmcnt(3)
	v_fma_f64 v[8:9], -v[70:71], v[68:69], v[8:9]
	v_fma_f64 v[10:11], -v[70:71], v[66:67], v[10:11]
	s_waitcnt lgkmcnt(2)
	v_fma_f64 v[12:13], -v[70:71], v[76:77], v[12:13]
	v_fma_f64 v[38:39], -v[70:71], v[74:75], v[38:39]
	;; [unrolled: 3-line block ×4, first 2 shown]
	v_fma_f64 v[28:29], -v[70:71], v[44:45], v[28:29]
	v_fma_f64 v[34:35], -v[70:71], v[42:43], v[34:35]
	;; [unrolled: 1-line block ×10, first 2 shown]
	s_cbranch_scc1 .LBB95_14
.LBB95_15:
	s_mul_i32 s3, s2, 0xc8
	v_mov_b32_e32 v42, s3
	ds_read_b64 v[46:47], v42
	s_add_i32 s4, s2, -1
	s_mul_i32 s3, s4, 0xc0
	s_lshl_b32 s5, s4, 3
	s_add_i32 s5, s3, s5
	s_waitcnt lgkmcnt(0)
	v_mul_f64 v[4:5], v[46:47], v[4:5]
	v_mov_b32_e32 v42, s5
	ds_read2_b64 v[42:45], v42 offset1:1
	s_lshl_b32 s23, s2, 3
	s_add_i32 s6, s3, 0xffffff40
	s_add_i32 s7, s6, s23
	s_mov_b32 s5, 0
	s_lshl_b64 s[16:17], s[4:5], 3
	s_waitcnt lgkmcnt(0)
	v_fma_f64 v[40:41], -v[4:5], v[44:45], v[40:41]
	v_mov_b32_e32 v44, s7
	ds_read_b64 v[48:49], v44
	s_add_i32 s4, s2, -2
	s_lshl_b32 s7, s4, 3
	s_add_i32 s6, s6, s7
	v_mov_b32_e32 v44, s6
	s_add_i32 s6, s3, 0xfffffe80
	s_waitcnt lgkmcnt(0)
	v_fma_f64 v[48:49], -v[4:5], v[48:49], v[8:9]
	v_mul_f64 v[8:9], v[42:43], v[40:41]
	s_add_i32 s7, s6, s23
	s_add_i32 s7, s7, -8
	v_mov_b32_e32 v40, s7
	ds_read2_b64 v[44:47], v44 offset1:1
	ds_read2_b64 v[40:43], v40 offset1:1
	s_lshl_b64 s[14:15], s[4:5], 3
	s_add_i32 s4, s2, -3
	s_lshl_b32 s7, s4, 3
	s_add_i32 s6, s6, s7
	s_waitcnt lgkmcnt(1)
	v_fma_f64 v[50:51], -v[8:9], v[46:47], v[48:49]
	v_mov_b32_e32 v46, s6
	s_waitcnt lgkmcnt(0)
	v_fma_f64 v[52:53], -v[4:5], v[42:43], v[10:11]
	s_add_i32 s6, s3, 0xfffffdc0
	s_add_i32 s7, s6, s23
	v_mov_b32_e32 v10, s7
	ds_read2_b64 v[46:49], v46 offset1:1
	ds_read_b64 v[54:55], v10
	v_mul_f64 v[10:11], v[44:45], v[50:51]
	s_add_i32 s7, s7, -16
	v_fma_f64 v[40:41], -v[8:9], v[40:41], v[52:53]
	v_mov_b32_e32 v42, s7
	s_waitcnt lgkmcnt(0)
	v_fma_f64 v[12:13], -v[4:5], v[54:55], v[12:13]
	ds_read2_b64 v[42:45], v42 offset1:1
	s_add_i32 s7, s3, 0xfffffd00
	s_add_i32 s18, s7, s23
	s_add_i32 s8, s18, -8
	s_lshl_b64 s[12:13], s[4:5], 3
	v_fma_f64 v[40:41], -v[10:11], v[48:49], v[40:41]
	s_add_i32 s4, s2, -4
	s_waitcnt lgkmcnt(0)
	v_fma_f64 v[12:13], -v[8:9], v[44:45], v[12:13]
	s_add_i32 s20, s3, 0xfffffb80
	s_add_i32 s21, s20, s23
	;; [unrolled: 1-line block ×4, first 2 shown]
	v_fma_f64 v[48:49], -v[10:11], v[42:43], v[12:13]
	v_mul_f64 v[12:13], v[46:47], v[40:41]
	v_mov_b32_e32 v40, s8
	ds_read2_b64 v[40:43], v40 offset1:1
	s_lshl_b32 s8, s4, 3
	s_add_i32 s6, s6, s8
	v_mov_b32_e32 v44, s6
	ds_read2_b64 v[44:47], v44 offset1:1
	s_waitcnt lgkmcnt(1)
	v_fma_f64 v[38:39], -v[4:5], v[42:43], v[38:39]
	s_lshl_b64 s[8:9], s[4:5], 3
	s_add_i32 s4, s2, -5
	s_sub_i32 s6, s18, 24
	s_add_i32 s18, s3, 0xfffffc40
	s_add_i32 s19, s18, s23
	s_waitcnt lgkmcnt(0)
	v_fma_f64 v[50:51], -v[12:13], v[46:47], v[48:49]
	v_mov_b32_e32 v52, s19
	v_fma_f64 v[42:43], -v[8:9], v[40:41], v[38:39]
	v_mov_b32_e32 v38, s6
	s_lshl_b32 s6, s4, 3
	s_add_i32 s6, s7, s6
	v_mov_b32_e32 v46, s6
	ds_read2_b64 v[38:41], v38 offset1:1
	ds_read2_b64 v[46:49], v46 offset1:1
	ds_read_b64 v[52:53], v52
	s_add_i32 s6, s19, -16
	s_sub_i32 s19, s19, 32
	s_waitcnt lgkmcnt(2)
	v_fma_f64 v[54:55], -v[10:11], v[40:41], v[42:43]
	v_mov_b32_e32 v40, s6
	ds_read2_b64 v[40:43], v40 offset1:1
	s_waitcnt lgkmcnt(1)
	v_fma_f64 v[52:53], -v[4:5], v[52:53], v[14:15]
	v_mul_f64 v[14:15], v[44:45], v[50:51]
	s_lshl_b64 s[6:7], s[4:5], 3
	s_add_i32 s4, s2, -6
	v_mov_b32_e32 v60, s7
	v_fma_f64 v[38:39], -v[12:13], v[38:39], v[54:55]
	s_waitcnt lgkmcnt(0)
	v_fma_f64 v[42:43], -v[8:9], v[42:43], v[52:53]
	v_fma_f64 v[56:57], -v[14:15], v[48:49], v[38:39]
	v_mov_b32_e32 v38, s19
	s_lshl_b32 s19, s4, 3
	v_fma_f64 v[48:49], -v[10:11], v[40:41], v[42:43]
	ds_read2_b64 v[38:41], v38 offset1:1
	s_add_i32 s18, s18, s19
	v_mov_b32_e32 v42, s18
	s_add_i32 s18, s21, -8
	ds_read2_b64 v[42:45], v42 offset1:1
	s_waitcnt lgkmcnt(1)
	v_fma_f64 v[40:41], -v[12:13], v[40:41], v[48:49]
	v_mov_b32_e32 v48, s18
	ds_read2_b64 v[48:51], v48 offset1:1
	s_sub_i32 s18, s21, 24
	v_mov_b32_e32 v52, s18
	ds_read2_b64 v[52:55], v52 offset1:1
	s_add_i32 s18, s25, -16
	s_waitcnt lgkmcnt(1)
	v_fma_f64 v[50:51], -v[4:5], v[50:51], v[18:19]
	v_mul_f64 v[18:19], v[46:47], v[56:57]
	v_fma_f64 v[38:39], -v[14:15], v[38:39], v[40:41]
	s_sub_i32 s21, s21, 40
	v_fma_f64 v[40:41], -v[8:9], v[48:49], v[50:51]
	v_fma_f64 v[44:45], -v[18:19], v[44:45], v[38:39]
	v_mov_b32_e32 v38, s25
	ds_read_b64 v[46:47], v38
	v_mov_b32_e32 v38, s18
	s_lshl_b64 s[18:19], s[4:5], 3
	s_add_i32 s4, s2, -7
	s_waitcnt lgkmcnt(1)
	v_fma_f64 v[48:49], -v[10:11], v[54:55], v[40:41]
	s_waitcnt lgkmcnt(0)
	v_fma_f64 v[46:47], -v[4:5], v[46:47], v[20:21]
	ds_read2_b64 v[38:41], v38 offset1:1
	v_mul_f64 v[20:21], v[42:43], v[44:45]
	v_fma_f64 v[52:53], -v[12:13], v[52:53], v[48:49]
	s_waitcnt lgkmcnt(0)
	v_fma_f64 v[48:49], -v[8:9], v[40:41], v[46:47]
	v_mov_b32_e32 v40, s21
	s_lshl_b32 s21, s4, 3
	s_add_i32 s20, s20, s21
	v_mov_b32_e32 v44, s20
	s_sub_i32 s20, s25, 32
	ds_read2_b64 v[40:43], v40 offset1:1
	ds_read2_b64 v[44:47], v44 offset1:1
	global_store_dwordx2 v[24:25], v[4:5], off
	v_fma_f64 v[38:39], -v[10:11], v[38:39], v[48:49]
	v_mov_b32_e32 v48, s20
	ds_read2_b64 v[48:51], v48 offset1:1
	s_sub_i32 s20, s25, 48
	s_add_i32 s25, s3, 0xfffffa00
	s_add_i32 s26, s25, s23
	s_waitcnt lgkmcnt(2)
	v_fma_f64 v[42:43], -v[14:15], v[42:43], v[52:53]
	v_mov_b32_e32 v52, s20
	s_add_i32 s20, s26, -8
	ds_read2_b64 v[52:55], v52 offset1:1
	s_waitcnt lgkmcnt(1)
	v_fma_f64 v[50:51], -v[12:13], v[50:51], v[38:39]
	v_mov_b32_e32 v38, s20
	ds_read2_b64 v[56:59], v38 offset1:1
	s_sub_i32 s20, s26, 24
	v_fma_f64 v[42:43], -v[18:19], v[40:41], v[42:43]
	v_mov_b32_e32 v38, s20
	ds_read2_b64 v[38:41], v38 offset1:1
	s_waitcnt lgkmcnt(1)
	v_fma_f64 v[36:37], -v[4:5], v[58:59], v[36:37]
	v_fma_f64 v[48:49], -v[14:15], v[48:49], v[50:51]
	s_lshl_b64 s[20:21], s[4:5], 3
	s_add_i32 s4, s2, -8
	v_mov_b32_e32 v58, s9
	v_fma_f64 v[24:25], -v[20:21], v[46:47], v[42:43]
	v_mov_b32_e32 v46, s17
	v_fma_f64 v[36:37], -v[8:9], v[56:57], v[36:37]
	v_fma_f64 v[42:43], -v[18:19], v[54:55], v[48:49]
	v_add_co_u32_e32 v48, vcc, s16, v72
	s_lshl_b32 s16, s4, 3
	s_add_i32 s16, s24, s16
	v_mul_f64 v[24:25], v[44:45], v[24:25]
	v_addc_co_u32_e32 v49, vcc, v73, v46, vcc
	s_waitcnt lgkmcnt(0)
	v_fma_f64 v[36:37], -v[10:11], v[40:41], v[36:37]
	v_mov_b32_e32 v40, s16
	s_sub_i32 s16, s26, 40
	v_fma_f64 v[50:51], -v[20:21], v[52:53], v[42:43]
	ds_read2_b64 v[40:43], v40 offset1:1
	v_mov_b32_e32 v56, s15
	s_add_i32 s24, s3, 0xfffff880
	v_fma_f64 v[52:53], -v[12:13], v[38:39], v[36:37]
	v_mov_b32_e32 v36, s16
	s_sub_i32 s16, s26, 56
	s_add_i32 s26, s3, 0xfffff940
	v_mov_b32_e32 v44, s16
	s_add_i32 s16, s26, s23
	v_mov_b32_e32 v54, s16
	ds_read2_b64 v[36:39], v36 offset1:1
	ds_read2_b64 v[44:47], v44 offset1:1
	ds_read_b64 v[54:55], v54
	s_add_i32 s15, s16, -16
	global_store_dwordx2 v[48:49], v[8:9], off
	v_mov_b32_e32 v48, s15
	s_waitcnt lgkmcnt(3)
	v_fma_f64 v[42:43], -v[24:25], v[42:43], v[50:51]
	s_waitcnt lgkmcnt(0)
	v_fma_f64 v[28:29], -v[4:5], v[54:55], v[28:29]
	ds_read2_b64 v[48:51], v48 offset1:1
	v_fma_f64 v[38:39], -v[14:15], v[38:39], v[52:53]
	s_sub_i32 s15, s16, 32
	s_waitcnt lgkmcnt(0)
	v_fma_f64 v[50:51], -v[8:9], v[50:51], v[28:29]
	v_add_co_u32_e32 v28, vcc, s14, v72
	v_fma_f64 v[52:53], -v[18:19], v[36:37], v[38:39]
	v_mov_b32_e32 v36, s15
	v_addc_co_u32_e32 v29, vcc, v73, v56, vcc
	v_mov_b32_e32 v56, s13
	v_fma_f64 v[48:49], -v[10:11], v[48:49], v[50:51]
	s_add_i32 s13, s24, s23
	ds_read2_b64 v[36:39], v36 offset1:1
	s_lshl_b64 s[14:15], s[4:5], 3
	s_add_i32 s4, s13, -8
	global_store_dwordx2 v[28:29], v[10:11], off
	v_mul_f64 v[28:29], v[40:41], v[42:43]
	v_mov_b32_e32 v40, s4
	ds_read2_b64 v[40:43], v40 offset1:1
	s_waitcnt lgkmcnt(1)
	v_fma_f64 v[38:39], -v[12:13], v[38:39], v[48:49]
	s_sub_i32 s4, s13, 24
	v_fma_f64 v[50:51], -v[20:21], v[46:47], v[52:53]
	v_mov_b32_e32 v46, s4
	ds_read2_b64 v[46:49], v46 offset1:1
	s_waitcnt lgkmcnt(1)
	v_fma_f64 v[34:35], -v[4:5], v[42:43], v[34:35]
	s_add_i32 s4, s2, -9
	s_lshl_b32 s17, s4, 3
	v_fma_f64 v[52:53], -v[14:15], v[36:37], v[38:39]
	s_add_i32 s17, s25, s17
	v_mov_b32_e32 v42, s17
	s_sub_i32 s17, s16, 48
	v_fma_f64 v[50:51], -v[24:25], v[44:45], v[50:51]
	v_fma_f64 v[54:55], -v[8:9], v[40:41], v[34:35]
	v_mov_b32_e32 v34, s17
	ds_read2_b64 v[34:37], v34 offset1:1
	ds_read2_b64 v[38:41], v42 offset1:1
	s_sub_i32 s9, s13, 40
	s_sub_i32 s16, s16, 64
	v_mov_b32_e32 v42, s16
	s_waitcnt lgkmcnt(1)
	v_fma_f64 v[36:37], -v[18:19], v[36:37], v[52:53]
	v_add_co_u32_e32 v52, vcc, s12, v72
	v_fma_f64 v[48:49], -v[10:11], v[48:49], v[54:55]
	v_addc_co_u32_e32 v53, vcc, v73, v56, vcc
	s_waitcnt lgkmcnt(0)
	v_fma_f64 v[40:41], -v[28:29], v[40:41], v[50:51]
	global_store_dwordx2 v[52:53], v[12:13], off
	v_fma_f64 v[54:55], -v[20:21], v[34:35], v[36:37]
	v_mov_b32_e32 v34, s9
	s_add_i32 s9, s3, 0xfffff7c0
	s_add_i32 s25, s9, s23
	v_fma_f64 v[50:51], -v[12:13], v[46:47], v[48:49]
	v_mov_b32_e32 v46, s25
	ds_read_b64 v[52:53], v46
	ds_read2_b64 v[34:37], v34 offset1:1
	s_sub_i32 s12, s13, 56
	v_mov_b32_e32 v46, s12
	s_add_i32 s12, s25, -16
	s_waitcnt lgkmcnt(1)
	v_fma_f64 v[32:33], -v[4:5], v[52:53], v[32:33]
	ds_read2_b64 v[42:45], v42 offset1:1
	s_waitcnt lgkmcnt(1)
	v_fma_f64 v[36:37], -v[14:15], v[36:37], v[50:51]
	v_mov_b32_e32 v50, s12
	ds_read2_b64 v[50:53], v50 offset1:1
	s_sub_i32 s12, s25, 32
	s_waitcnt lgkmcnt(1)
	v_fma_f64 v[44:45], -v[24:25], v[44:45], v[54:55]
	v_mov_b32_e32 v54, s12
	ds_read2_b64 v[54:57], v54 offset1:1
	s_waitcnt lgkmcnt(1)
	v_fma_f64 v[52:53], -v[8:9], v[52:53], v[32:33]
	v_mul_f64 v[32:33], v[38:39], v[40:41]
	v_fma_f64 v[38:39], -v[18:19], v[34:35], v[36:37]
	ds_read2_b64 v[46:49], v46 offset1:1
	s_lshl_b64 s[16:17], s[4:5], 3
	v_fma_f64 v[40:41], -v[28:29], v[42:43], v[44:45]
	s_add_i32 s4, s2, -10
	s_lshl_b32 s12, s4, 3
	v_fma_f64 v[42:43], -v[10:11], v[50:51], v[52:53]
	s_add_i32 s12, s26, s12
	v_mov_b32_e32 v34, s12
	ds_read2_b64 v[34:37], v34 offset1:1
	s_waitcnt lgkmcnt(1)
	v_fma_f64 v[38:39], -v[20:21], v[48:49], v[38:39]
	s_add_i32 s7, s13, 0xffffffb8
	v_add_co_u32_e32 v44, vcc, s8, v72
	v_fma_f64 v[42:43], -v[12:13], v[56:57], v[42:43]
	s_waitcnt lgkmcnt(0)
	v_fma_f64 v[56:57], -v[32:33], v[36:37], v[40:41]
	v_mov_b32_e32 v36, s7
	s_sub_i32 s7, s25, 48
	s_add_i32 s26, s3, 0xfffff700
	v_addc_co_u32_e32 v45, vcc, v73, v58, vcc
	v_mov_b32_e32 v40, s7
	v_fma_f64 v[52:53], -v[14:15], v[54:55], v[42:43]
	s_sub_i32 s7, s25, 64
	s_add_i32 s8, s26, s23
	global_store_dwordx2 v[44:45], v[14:15], off
	v_mov_b32_e32 v44, s7
	s_add_i32 s7, s8, -8
	v_mov_b32_e32 v48, s7
	v_fma_f64 v[58:59], -v[24:25], v[46:47], v[38:39]
	ds_read2_b64 v[36:39], v36 offset1:1
	ds_read2_b64 v[40:43], v40 offset1:1
	;; [unrolled: 1-line block ×4, first 2 shown]
	s_sub_i32 s7, s8, 24
	s_lshl_b64 s[12:13], s[4:5], 3
	s_waitcnt lgkmcnt(2)
	v_fma_f64 v[42:43], -v[18:19], v[42:43], v[52:53]
	v_mov_b32_e32 v52, s7
	ds_read2_b64 v[52:55], v52 offset1:1
	s_waitcnt lgkmcnt(1)
	v_fma_f64 v[50:51], -v[4:5], v[50:51], v[30:31]
	v_fma_f64 v[38:39], -v[28:29], v[38:39], v[58:59]
	v_add_co_u32_e32 v30, vcc, s6, v72
	v_addc_co_u32_e32 v31, vcc, v73, v60, vcc
	v_fma_f64 v[40:41], -v[20:21], v[40:41], v[42:43]
	s_add_i32 s4, s2, -11
	v_fma_f64 v[42:43], -v[8:9], v[48:49], v[50:51]
	global_store_dwordx2 v[30:31], v[18:19], off
	v_mul_f64 v[30:31], v[34:35], v[56:57]
	v_fma_f64 v[38:39], -v[32:33], v[36:37], v[38:39]
	s_lshl_b32 s6, s4, 3
	s_add_i32 s6, s24, s6
	v_fma_f64 v[40:41], -v[24:25], v[46:47], v[40:41]
	v_mov_b32_e32 v34, s6
	s_waitcnt lgkmcnt(0)
	v_fma_f64 v[42:43], -v[10:11], v[54:55], v[42:43]
	ds_read2_b64 v[34:37], v34 offset1:1
	v_mov_b32_e32 v58, s19
	v_add_co_u32_e32 v46, vcc, s18, v72
	s_add_i32 s6, s25, 0xffffffb0
	v_addc_co_u32_e32 v47, vcc, v73, v58, vcc
	v_fma_f64 v[52:53], -v[12:13], v[52:53], v[42:43]
	v_fma_f64 v[50:51], -v[28:29], v[44:45], v[40:41]
	v_mov_b32_e32 v40, s6
	s_sub_i32 s6, s8, 40
	global_store_dwordx2 v[46:47], v[20:21], off
	s_waitcnt lgkmcnt(0)
	v_fma_f64 v[48:49], -v[30:31], v[36:37], v[38:39]
	v_mov_b32_e32 v36, s6
	ds_read2_b64 v[36:39], v36 offset1:1
	ds_read2_b64 v[40:43], v40 offset1:1
	s_sub_i32 s6, s8, 56
	v_mov_b32_e32 v60, s15
	v_mov_b32_e32 v44, s6
	s_waitcnt lgkmcnt(1)
	v_fma_f64 v[38:39], -v[14:15], v[38:39], v[52:53]
	v_add_co_u32_e32 v52, vcc, s20, v72
	s_add_i32 s20, s3, 0xfffff640
	s_add_i32 s15, s20, s23
	ds_read2_b64 v[44:47], v44 offset1:1
	s_waitcnt lgkmcnt(1)
	v_fma_f64 v[42:43], -v[32:33], v[42:43], v[50:51]
	s_lshl_b64 s[6:7], s[4:5], 3
	v_fma_f64 v[36:37], -v[18:19], v[36:37], v[38:39]
	v_mov_b32_e32 v38, s15
	ds_read_b64 v[38:39], v38
	s_add_i32 s4, s2, -12
	s_lshl_b32 s18, s4, 3
	s_add_i32 s9, s9, s18
	s_add_i32 s18, s15, -16
	s_waitcnt lgkmcnt(0)
	v_fma_f64 v[26:27], -v[4:5], v[38:39], v[26:27]
	v_fma_f64 v[50:51], -v[20:21], v[46:47], v[36:37]
	v_mov_b32_e32 v36, s18
	ds_read2_b64 v[36:39], v36 offset1:1
	v_mov_b32_e32 v46, s9
	s_sub_i32 s9, s15, 32
	v_fma_f64 v[56:57], -v[30:31], v[40:41], v[42:43]
	v_mov_b32_e32 v40, s9
	ds_read2_b64 v[40:43], v40 offset1:1
	s_waitcnt lgkmcnt(1)
	v_fma_f64 v[26:27], -v[8:9], v[38:39], v[26:27]
	v_fma_f64 v[44:45], -v[24:25], v[44:45], v[50:51]
	v_mov_b32_e32 v54, s21
	s_add_i32 s9, s8, 0xffffffb8
	v_addc_co_u32_e32 v53, vcc, v73, v54, vcc
	v_mov_b32_e32 v38, s9
	global_store_dwordx2 v[52:53], v[24:25], off
	ds_read2_b64 v[50:53], v38 offset1:1
	v_fma_f64 v[26:27], -v[10:11], v[36:37], v[26:27]
	s_add_i32 s24, s3, 0xfffff580
	s_addk_i32 s8, 0xffa8
	s_add_i32 s25, s24, s23
	v_mov_b32_e32 v38, s8
	s_add_i32 s8, s25, -8
	s_waitcnt lgkmcnt(0)
	v_fma_f64 v[58:59], -v[28:29], v[52:53], v[44:45]
	v_mov_b32_e32 v44, s8
	ds_read2_b64 v[52:55], v44 offset1:1
	v_fma_f64 v[26:27], -v[12:13], v[42:43], v[26:27]
	v_mul_f64 v[34:35], v[34:35], v[48:49]
	ds_read2_b64 v[46:49], v46 offset1:1
	s_sub_i32 s8, s25, 24
	s_waitcnt lgkmcnt(1)
	v_fma_f64 v[22:23], -v[4:5], v[54:55], v[22:23]
	v_mov_b32_e32 v42, s8
	v_add_co_u32_e32 v54, vcc, s14, v72
	v_fma_f64 v[26:27], -v[14:15], v[40:41], v[26:27]
	s_sub_i32 s8, s15, 48
	v_addc_co_u32_e32 v55, vcc, v73, v60, vcc
	v_fma_f64 v[22:23], -v[8:9], v[52:53], v[22:23]
	v_mov_b32_e32 v40, s8
	v_fma_f64 v[58:59], -v[32:33], v[50:51], v[58:59]
	global_store_dwordx2 v[54:55], v[28:29], off
	s_waitcnt lgkmcnt(0)
	v_fma_f64 v[54:55], -v[34:35], v[48:49], v[56:57]
	ds_read2_b64 v[48:51], v40 offset1:1
	ds_read2_b64 v[42:45], v42 offset1:1
	;; [unrolled: 1-line block ×3, first 2 shown]
	s_sub_i32 s8, s15, 64
	v_mov_b32_e32 v62, s17
	s_waitcnt lgkmcnt(2)
	v_fma_f64 v[26:27], -v[18:19], v[50:51], v[26:27]
	s_waitcnt lgkmcnt(1)
	v_fma_f64 v[44:45], -v[10:11], v[44:45], v[22:23]
	;; [unrolled: 2-line block ×3, first 2 shown]
	v_mov_b32_e32 v38, s8
	s_sub_i32 s17, s25, 40
	ds_read2_b64 v[38:41], v38 offset1:1
	s_add_i32 s18, s3, 0xfffff4c0
	v_mul_f64 v[22:23], v[46:47], v[54:55]
	v_fma_f64 v[26:27], -v[20:21], v[48:49], v[26:27]
	v_fma_f64 v[50:51], -v[12:13], v[42:43], v[44:45]
	v_mov_b32_e32 v42, s17
	ds_read2_b64 v[42:45], v42 offset1:1
	s_sub_i32 s17, s25, 56
	v_mov_b32_e32 v46, s17
	s_add_i32 s17, s18, s23
	s_lshl_b64 s[8:9], s[4:5], 3
	s_add_i32 s4, s2, -13
	s_waitcnt lgkmcnt(1)
	v_fma_f64 v[26:27], -v[24:25], v[40:41], v[26:27]
	v_mov_b32_e32 v40, s17
	v_fma_f64 v[36:37], -v[34:35], v[36:37], v[52:53]
	s_lshl_b32 s14, s4, 3
	ds_read_b64 v[40:41], v40
	s_waitcnt lgkmcnt(1)
	v_fma_f64 v[44:45], -v[14:15], v[44:45], v[50:51]
	s_add_i32 s14, s26, s14
	v_mov_b32_e32 v50, s14
	ds_read2_b64 v[50:53], v50 offset1:1
	s_waitcnt lgkmcnt(1)
	v_fma_f64 v[16:17], -v[4:5], v[40:41], v[16:17]
	s_add_i32 s19, s17, -16
	v_fma_f64 v[26:27], -v[28:29], v[38:39], v[26:27]
	ds_read2_b64 v[46:49], v46 offset1:1
	v_fma_f64 v[42:43], -v[18:19], v[42:43], v[44:45]
	s_waitcnt lgkmcnt(1)
	v_fma_f64 v[60:61], -v[22:23], v[52:53], v[36:37]
	v_mov_b32_e32 v36, s19
	ds_read2_b64 v[36:39], v36 offset1:1
	s_add_i32 s14, s15, 0xffffffb0
	s_sub_i32 s19, s17, 32
	v_mov_b32_e32 v40, s19
	s_add_i32 s19, s3, 0xfffff400
	s_waitcnt lgkmcnt(0)
	v_fma_f64 v[16:17], -v[8:9], v[38:39], v[16:17]
	v_fma_f64 v[44:45], -v[20:21], v[48:49], v[42:43]
	v_mov_b32_e32 v38, s14
	s_add_i32 s14, s15, 0xffffffa0
	ds_read2_b64 v[40:43], v40 offset1:1
	v_mov_b32_e32 v39, s14
	s_add_i32 s14, s25, 0xffffffb8
	ds_read2_b64 v[52:55], v38 offset1:1
	ds_read2_b64 v[56:59], v39 offset1:1
	v_fma_f64 v[16:17], -v[10:11], v[36:37], v[16:17]
	v_fma_f64 v[48:49], -v[24:25], v[46:47], v[44:45]
	v_mov_b32_e32 v36, s14
	ds_read2_b64 v[36:39], v36 offset1:1
	s_add_i32 s14, s25, 0xffffffa8
	v_mov_b32_e32 v44, s14
	s_lshl_b64 s[14:15], s[4:5], 3
	s_sub_i32 s4, s17, 48
	s_waitcnt lgkmcnt(3)
	v_fma_f64 v[16:17], -v[12:13], v[42:43], v[16:17]
	s_waitcnt lgkmcnt(0)
	v_fma_f64 v[38:39], -v[28:29], v[38:39], v[48:49]
	v_add_co_u32_e32 v42, vcc, s16, v72
	s_sub_i32 s16, s17, 64
	v_addc_co_u32_e32 v43, vcc, v73, v62, vcc
	global_store_dwordx2 v[42:43], v[32:33], off
	v_fma_f64 v[16:17], -v[14:15], v[40:41], v[16:17]
	v_fma_f64 v[48:49], -v[32:33], v[36:37], v[38:39]
	v_mov_b32_e32 v36, s4
	ds_read2_b64 v[36:39], v36 offset1:1
	v_mov_b32_e32 v40, s16
	ds_read2_b64 v[40:43], v40 offset1:1
	v_fma_f64 v[26:27], -v[32:33], v[54:55], v[26:27]
	ds_read2_b64 v[44:47], v44 offset1:1
	s_waitcnt lgkmcnt(2)
	v_fma_f64 v[16:17], -v[18:19], v[38:39], v[16:17]
	s_add_i32 s21, s19, s23
	s_add_i32 s16, s21, -8
	v_mov_b32_e32 v38, s16
	s_add_i32 s4, s2, -14
	s_sub_i32 s16, s21, 24
	v_fma_f64 v[26:27], -v[30:31], v[52:53], v[26:27]
	s_waitcnt lgkmcnt(0)
	v_fma_f64 v[52:53], -v[30:31], v[46:47], v[48:49]
	v_fma_f64 v[16:17], -v[20:21], v[36:37], v[16:17]
	ds_read2_b64 v[46:49], v38 offset1:1
	v_mov_b32_e32 v36, s16
	s_lshl_b32 s16, s4, 3
	s_add_i32 s16, s20, s16
	v_mul_f64 v[60:61], v[50:51], v[60:61]
	s_waitcnt lgkmcnt(0)
	v_fma_f64 v[6:7], -v[4:5], v[48:49], v[6:7]
	v_fma_f64 v[26:27], -v[34:35], v[58:59], v[26:27]
	;; [unrolled: 1-line block ×3, first 2 shown]
	v_mov_b32_e32 v42, s16
	s_add_i32 s16, s25, 0xffffff98
	ds_read2_b64 v[48:51], v42 offset1:1
	v_mov_b32_e32 v42, s16
	s_add_i32 s16, s17, 0xffffffb0
	v_fma_f64 v[6:7], -v[8:9], v[46:47], v[6:7]
	ds_read2_b64 v[36:39], v36 offset1:1
	v_fma_f64 v[16:17], -v[28:29], v[40:41], v[16:17]
	v_mov_b32_e32 v40, s16
	v_fma_f64 v[26:27], -v[22:23], v[56:57], v[26:27]
	v_fma_f64 v[56:57], -v[34:35], v[44:45], v[52:53]
	ds_read2_b64 v[52:55], v40 offset1:1
	ds_read2_b64 v[42:45], v42 offset1:1
	s_waitcnt lgkmcnt(2)
	v_fma_f64 v[6:7], -v[10:11], v[38:39], v[6:7]
	s_add_i32 s16, s17, 0xffffffa0
	v_mov_b32_e32 v58, s13
	s_waitcnt lgkmcnt(1)
	v_fma_f64 v[16:17], -v[32:33], v[54:55], v[16:17]
	s_sub_i32 s13, s21, 40
	v_mov_b32_e32 v38, s16
	ds_read2_b64 v[38:41], v38 offset1:1
	s_waitcnt lgkmcnt(1)
	v_fma_f64 v[54:55], -v[22:23], v[44:45], v[56:57]
	v_fma_f64 v[6:7], -v[12:13], v[36:37], v[6:7]
	v_mov_b32_e32 v36, s13
	ds_read2_b64 v[44:47], v36 offset1:1
	v_fma_f64 v[16:17], -v[30:31], v[52:53], v[16:17]
	v_fma_f64 v[26:27], -v[60:61], v[50:51], v[26:27]
	s_sub_i32 s13, s21, 56
	v_mov_b32_e32 v36, s13
	ds_read2_b64 v[50:53], v36 offset1:1
	s_waitcnt lgkmcnt(1)
	v_fma_f64 v[6:7], -v[14:15], v[46:47], v[6:7]
	v_add_co_u32_e32 v36, vcc, s12, v72
	v_fma_f64 v[16:17], -v[34:35], v[40:41], v[16:17]
	s_lshl_b64 s[12:13], s[4:5], 3
	s_add_i32 s4, s2, -15
	s_lshl_b32 s16, s4, 3
	s_add_i32 s20, s3, 0xfffff340
	s_add_i32 s16, s24, s16
	;; [unrolled: 1-line block ×3, first 2 shown]
	v_addc_co_u32_e32 v37, vcc, v73, v58, vcc
	v_fma_f64 v[6:7], -v[18:19], v[44:45], v[6:7]
	v_fma_f64 v[16:17], -v[22:23], v[38:39], v[16:17]
	v_mov_b32_e32 v44, s24
	global_store_dwordx2 v[36:37], v[30:31], off
	v_mul_f64 v[26:27], v[48:49], v[26:27]
	v_fma_f64 v[46:47], -v[60:61], v[42:43], v[54:55]
	v_mov_b32_e32 v36, s16
	s_add_i32 s16, s17, 0xffffff90
	ds_read_b64 v[44:45], v44
	ds_read2_b64 v[40:43], v36 offset1:1
	v_mov_b32_e32 v36, s16
	ds_read2_b64 v[36:39], v36 offset1:1
	s_add_i32 s17, s24, -16
	s_waitcnt lgkmcnt(2)
	v_fma_f64 v[2:3], -v[4:5], v[44:45], v[2:3]
	v_fma_f64 v[6:7], -v[20:21], v[52:53], v[6:7]
	s_waitcnt lgkmcnt(1)
	v_fma_f64 v[58:59], -v[26:27], v[42:43], v[46:47]
	s_waitcnt lgkmcnt(0)
	v_fma_f64 v[16:17], -v[60:61], v[38:39], v[16:17]
	v_mov_b32_e32 v38, s17
	ds_read2_b64 v[42:45], v38 offset1:1
	s_addk_i32 s3, 0xf280
	s_add_i32 s16, s21, 0xffffffb8
	s_add_i32 s23, s3, s23
	v_mov_b32_e32 v38, s16
	s_waitcnt lgkmcnt(0)
	v_fma_f64 v[2:3], -v[8:9], v[44:45], v[2:3]
	s_add_i32 s17, s23, -8
	v_fma_f64 v[6:7], -v[24:25], v[50:51], v[6:7]
	ds_read2_b64 v[50:53], v38 offset1:1
	v_mov_b32_e32 v38, s17
	ds_read2_b64 v[54:57], v38 offset1:1
	s_sub_i32 s16, s24, 32
	v_mov_b32_e32 v39, s16
	ds_read2_b64 v[46:49], v39 offset1:1
	v_fma_f64 v[38:39], -v[10:11], v[42:43], v[2:3]
	s_waitcnt lgkmcnt(1)
	v_fma_f64 v[4:5], -v[4:5], v[56:57], v[0:1]
	s_sub_i32 s17, s23, 24
	v_mov_b32_e32 v2, s17
	v_fma_f64 v[6:7], -v[28:29], v[52:53], v[6:7]
	ds_read2_b64 v[42:45], v2 offset1:1
	v_fma_f64 v[52:53], -v[26:27], v[36:37], v[16:17]
	s_sub_i32 s26, s24, 48
	s_waitcnt lgkmcnt(1)
	v_fma_f64 v[38:39], -v[12:13], v[48:49], v[38:39]
	v_fma_f64 v[8:9], -v[8:9], v[54:55], v[4:5]
	v_mov_b32_e32 v4, s26
	s_add_i32 s16, s21, 0xffffffa8
	v_fma_f64 v[16:17], -v[32:33], v[50:51], v[6:7]
	ds_read2_b64 v[4:7], v4 offset1:1
	v_mov_b32_e32 v0, s16
	ds_read2_b64 v[0:3], v0 offset1:1
	v_fma_f64 v[36:37], -v[14:15], v[46:47], v[38:39]
	s_waitcnt lgkmcnt(2)
	v_fma_f64 v[38:39], -v[10:11], v[44:45], v[8:9]
	s_sub_i32 s26, s24, 64
	s_lshl_b64 s[16:17], s[4:5], 3
	s_add_i32 s4, s2, -16
	v_mov_b32_e32 v8, s26
	s_lshl_b32 s25, s4, 3
	ds_read2_b64 v[8:11], v8 offset1:1
	s_waitcnt lgkmcnt(2)
	v_fma_f64 v[6:7], -v[18:19], v[6:7], v[36:37]
	s_add_i32 s18, s18, s25
	v_fma_f64 v[12:13], -v[12:13], v[42:43], v[38:39]
	v_mul_f64 v[48:49], v[40:41], v[58:59]
	v_mov_b32_e32 v40, s18
	s_sub_i32 s18, s23, 40
	s_waitcnt lgkmcnt(1)
	v_fma_f64 v[16:17], -v[30:31], v[2:3], v[16:17]
	v_mov_b32_e32 v2, s18
	ds_read2_b64 v[36:39], v2 offset1:1
	v_fma_f64 v[6:7], -v[20:21], v[4:5], v[6:7]
	s_sub_i32 s18, s23, 56
	v_mov_b32_e32 v2, s18
	s_add_i32 s18, s21, 0xffffff98
	s_waitcnt lgkmcnt(0)
	v_fma_f64 v[42:43], -v[14:15], v[38:39], v[12:13]
	ds_read2_b64 v[12:15], v40 offset1:1
	v_fma_f64 v[0:1], -v[34:35], v[0:1], v[16:17]
	ds_read2_b64 v[2:5], v2 offset1:1
	v_fma_f64 v[6:7], -v[24:25], v[10:11], v[6:7]
	v_mov_b32_e32 v10, s18
	ds_read2_b64 v[38:41], v10 offset1:1
	s_add_i32 s18, s21, 0xffffff88
	v_fma_f64 v[10:11], -v[18:19], v[36:37], v[42:43]
	v_mov_b32_e32 v16, s18
	s_add_i32 s18, s24, 0xffffffb0
	s_waitcnt lgkmcnt(0)
	v_fma_f64 v[0:1], -v[22:23], v[40:41], v[0:1]
	v_fma_f64 v[36:37], -v[28:29], v[8:9], v[6:7]
	v_mov_b32_e32 v6, s18
	ds_read2_b64 v[6:9], v6 offset1:1
	s_add_i32 s18, s24, 0xffffffa0
	v_fma_f64 v[4:5], -v[20:21], v[4:5], v[10:11]
	v_mov_b32_e32 v10, s18
	ds_read2_b64 v[40:43], v10 offset1:1
	v_fma_f64 v[10:11], -v[48:49], v[14:15], v[52:53]
	s_waitcnt lgkmcnt(1)
	v_fma_f64 v[8:9], -v[32:33], v[8:9], v[36:37]
	v_mov_b32_e32 v36, s7
	s_add_i32 s7, s23, 0xffffffb8
	v_fma_f64 v[14:15], -v[60:61], v[38:39], v[0:1]
	v_fma_f64 v[20:21], -v[24:25], v[2:3], v[4:5]
	v_mov_b32_e32 v0, s7
	ds_read2_b64 v[0:3], v0 offset1:1
	s_add_i32 s7, s23, 0xffffffa8
	v_mov_b32_e32 v4, s7
	v_fma_f64 v[8:9], -v[30:31], v[6:7], v[8:9]
	ds_read2_b64 v[4:7], v4 offset1:1
	ds_read2_b64 v[16:19], v16 offset1:1
	s_waitcnt lgkmcnt(2)
	v_fma_f64 v[2:3], -v[28:29], v[2:3], v[20:21]
	v_add_co_u32_e32 v20, vcc, s6, v72
	v_addc_co_u32_e32 v21, vcc, v73, v36, vcc
	s_waitcnt lgkmcnt(0)
	v_fma_f64 v[14:15], -v[26:27], v[18:19], v[14:15]
	v_fma_f64 v[8:9], -v[34:35], v[42:43], v[8:9]
	v_mul_f64 v[18:19], v[12:13], v[10:11]
	v_fma_f64 v[10:11], -v[32:33], v[0:1], v[2:3]
	global_store_dwordx2 v[20:21], v[34:35], off
	s_add_i32 s18, s24, 0xffffff90
	v_mov_b32_e32 v0, s18
	ds_read2_b64 v[0:3], v0 offset1:1
	v_fma_f64 v[20:21], -v[48:49], v[16:17], v[14:15]
	v_fma_f64 v[12:13], -v[22:23], v[40:41], v[8:9]
	s_lshl_b64 s[6:7], s[4:5], 3
	v_fma_f64 v[14:15], -v[30:31], v[6:7], v[10:11]
	s_sub_i32 s4, s2, 17
	s_add_i32 s18, s24, 0xffffff80
	v_mov_b32_e32 v28, s9
	s_lshl_b32 s9, s4, 3
	v_mov_b32_e32 v6, s18
	ds_read2_b64 v[6:9], v6 offset1:1
	s_waitcnt lgkmcnt(1)
	v_fma_f64 v[16:17], -v[60:61], v[2:3], v[12:13]
	s_add_i32 s9, s19, s9
	v_fma_f64 v[24:25], -v[34:35], v[4:5], v[14:15]
	v_mov_b32_e32 v2, s9
	s_add_i32 s9, s23, 0xffffff98
	ds_read2_b64 v[10:13], v2 offset1:1
	v_mov_b32_e32 v2, s9
	ds_read2_b64 v[2:5], v2 offset1:1
	s_add_i32 s9, s23, 0xffffff88
	v_mov_b32_e32 v14, s9
	v_fma_f64 v[0:1], -v[26:27], v[0:1], v[16:17]
	ds_read2_b64 v[14:17], v14 offset1:1
	s_waitcnt lgkmcnt(1)
	v_fma_f64 v[4:5], -v[22:23], v[4:5], v[24:25]
	v_add_co_u32_e32 v24, vcc, s8, v72
	v_addc_co_u32_e32 v25, vcc, v73, v28, vcc
	global_store_dwordx2 v[24:25], v[22:23], off
	v_mov_b32_e32 v22, s15
	v_fma_f64 v[12:13], -v[18:19], v[12:13], v[20:21]
	v_fma_f64 v[2:3], -v[60:61], v[2:3], v[4:5]
	v_add_co_u32_e32 v4, vcc, s14, v72
	v_addc_co_u32_e32 v5, vcc, v73, v22, vcc
	v_fma_f64 v[0:1], -v[48:49], v[8:9], v[0:1]
	global_store_dwordx2 v[4:5], v[60:61], off
	s_lshl_b64 s[8:9], s[4:5], 3
	s_waitcnt lgkmcnt(0)
	v_fma_f64 v[4:5], -v[26:27], v[16:17], v[2:3]
	s_sub_i32 s4, s2, 18
	v_mov_b32_e32 v20, s13
	s_lshl_b32 s13, s4, 3
	v_mul_f64 v[8:9], v[10:11], v[12:13]
	v_fma_f64 v[10:11], -v[18:19], v[6:7], v[0:1]
	s_add_i32 s13, s20, s13
	v_mov_b32_e32 v0, s13
	v_fma_f64 v[12:13], -v[48:49], v[14:15], v[4:5]
	s_add_i32 s13, s23, 0xffffff78
	v_mov_b32_e32 v4, s13
	ds_read2_b64 v[0:3], v0 offset1:1
	ds_read2_b64 v[4:7], v4 offset1:1
	v_add_co_u32_e32 v14, vcc, s12, v72
	v_addc_co_u32_e32 v15, vcc, v73, v20, vcc
	s_waitcnt lgkmcnt(1)
	v_fma_f64 v[2:3], -v[8:9], v[2:3], v[10:11]
	s_waitcnt lgkmcnt(0)
	v_fma_f64 v[6:7], -v[18:19], v[6:7], v[12:13]
	global_store_dwordx2 v[14:15], v[26:27], off
	v_mov_b32_e32 v14, s17
	v_add_co_u32_e32 v10, vcc, s16, v72
	v_addc_co_u32_e32 v11, vcc, v73, v14, vcc
	s_lshl_b64 s[12:13], s[4:5], 3
	s_sub_i32 s4, s2, 19
	global_store_dwordx2 v[10:11], v[48:49], off
	v_mov_b32_e32 v12, s7
	v_mul_f64 v[10:11], v[0:1], v[2:3]
	v_fma_f64 v[4:5], -v[8:9], v[4:5], v[6:7]
	s_lshl_b32 s7, s4, 3
	s_add_i32 s3, s3, s7
	v_mov_b32_e32 v0, s3
	ds_read2_b64 v[0:3], v0 offset1:1
	v_add_co_u32_e32 v6, vcc, s6, v72
	v_addc_co_u32_e32 v7, vcc, v73, v12, vcc
	s_waitcnt lgkmcnt(0)
	v_fma_f64 v[2:3], -v[10:11], v[2:3], v[4:5]
	global_store_dwordx2 v[6:7], v[18:19], off
	v_mov_b32_e32 v6, s9
	v_add_co_u32_e32 v4, vcc, s8, v72
	v_addc_co_u32_e32 v5, vcc, v73, v6, vcc
	global_store_dwordx2 v[4:5], v[8:9], off
	v_mul_f64 v[0:1], v[0:1], v[2:3]
	v_mov_b32_e32 v5, s13
	v_add_co_u32_e32 v4, vcc, s12, v72
	v_addc_co_u32_e32 v5, vcc, v73, v5, vcc
	s_lshl_b64 s[4:5], s[4:5], 3
	v_mov_b32_e32 v3, s5
	v_add_co_u32_e32 v2, vcc, s4, v72
	v_addc_co_u32_e32 v3, vcc, v73, v3, vcc
	s_sub_i32 s2, s2, 20
	global_store_dwordx2 v[4:5], v[10:11], off
	global_store_dwordx2 v[2:3], v[0:1], off
.LBB95_16:
	s_cmp_lt_i32 s2, 0
	s_cbranch_scc1 .LBB95_29
; %bb.17:
	s_bitcmp1_b32 s2, 0
	s_cselect_b64 s[4:5], -1, 0
	s_and_b64 vcc, exec, s[4:5]
	s_mov_b32 s4, s2
	s_cbranch_vccnz .LBB95_22
; %bb.18:
	s_mov_b32 s5, 0
	s_mov_b32 s3, s5
	s_lshl_b64 s[6:7], s[2:3], 3
	v_mov_b32_e32 v1, s7
	v_add_co_u32_e32 v0, vcc, s6, v72
	v_addc_co_u32_e32 v1, vcc, v73, v1, vcc
	global_load_dwordx2 v[2:3], v[0:1], off
	s_cmp_le_i32 s11, s2
	s_waitcnt vmcnt(0)
	v_mul_f64 v[2:3], s[0:1], v[2:3]
	s_cbranch_scc1 .LBB95_21
; %bb.19:
	s_mul_i32 s3, s2, 0xc0
	s_lshl_b32 s4, s22, 3
	s_add_i32 s3, s3, s4
	s_add_i32 s3, s3, -8
	s_mov_b32 s4, s11
.LBB95_20:                              ; =>This Inner Loop Header: Depth=1
	s_lshl_b64 s[6:7], s[4:5], 3
	v_mov_b32_e32 v5, s7
	v_add_co_u32_e32 v4, vcc, s6, v72
	v_addc_co_u32_e32 v5, vcc, v73, v5, vcc
	global_load_dwordx2 v[4:5], v[4:5], off
	v_mov_b32_e32 v6, s3
	ds_read_b64 v[6:7], v6
	s_add_i32 s4, s4, -1
	s_add_i32 s3, s3, -8
	s_cmp_gt_i32 s4, s2
	s_waitcnt vmcnt(0) lgkmcnt(0)
	v_fma_f64 v[2:3], -v[4:5], v[6:7], v[2:3]
	s_cbranch_scc1 .LBB95_20
.LBB95_21:
	s_mul_i32 s3, s2, 0xc8
	v_mov_b32_e32 v4, s3
	ds_read_b64 v[4:5], v4
	s_add_i32 s4, s2, -1
	s_waitcnt lgkmcnt(0)
	v_mul_f64 v[2:3], v[4:5], v[2:3]
	global_store_dwordx2 v[0:1], v[2:3], off
.LBB95_22:
	s_cmp_eq_u32 s2, 0
	s_mov_b32 s3, 0
	s_cbranch_scc1 .LBB95_29
; %bb.23:
	s_mul_i32 s2, s4, 0xc0
	s_lshl_b32 s5, s22, 3
	s_add_i32 s2, s2, s5
	s_add_i32 s6, s2, -8
	s_add_i32 s7, s2, 0xffffff38
	s_branch .LBB95_25
.LBB95_24:                              ;   in Loop: Header=BB95_25 Depth=1
	s_add_i32 s2, s5, 0xffffff38
	v_mov_b32_e32 v0, s2
	ds_read_b64 v[0:1], v0
	s_add_i32 s2, s4, -2
	s_addk_i32 s6, 0xfe80
	s_addk_i32 s7, 0xfe80
	s_cmp_lt_i32 s4, 2
	s_waitcnt lgkmcnt(0)
	v_mul_f64 v[0:1], v[0:1], v[4:5]
	s_mov_b32 s4, s2
	global_store_dwordx2 v[2:3], v[0:1], off
	s_cbranch_scc1 .LBB95_29
.LBB95_25:                              ; =>This Loop Header: Depth=1
                                        ;     Child Loop BB95_26 Depth 2
                                        ;     Child Loop BB95_28 Depth 2
	s_mov_b32 s5, s3
	s_lshl_b64 s[8:9], s[4:5], 3
	v_mov_b32_e32 v1, s9
	v_add_co_u32_e32 v0, vcc, s8, v72
	v_addc_co_u32_e32 v1, vcc, v73, v1, vcc
	global_load_dwordx2 v[2:3], v[0:1], off
	s_cmp_le_i32 s11, s4
	s_mov_b32 s5, s6
	s_mov_b32 s2, s11
	s_waitcnt vmcnt(0)
	v_mul_f64 v[4:5], s[0:1], v[2:3]
	s_cbranch_scc1 .LBB95_27
.LBB95_26:                              ;   Parent Loop BB95_25 Depth=1
                                        ; =>  This Inner Loop Header: Depth=2
	s_lshl_b64 s[8:9], s[2:3], 3
	v_mov_b32_e32 v3, s9
	v_add_co_u32_e32 v2, vcc, s8, v72
	v_addc_co_u32_e32 v3, vcc, v73, v3, vcc
	global_load_dwordx2 v[2:3], v[2:3], off
	v_mov_b32_e32 v6, s5
	ds_read_b64 v[6:7], v6
	s_add_i32 s2, s2, -1
	s_add_i32 s5, s5, -8
	s_cmp_gt_i32 s2, s4
	s_waitcnt vmcnt(0) lgkmcnt(0)
	v_fma_f64 v[4:5], -v[2:3], v[6:7], v[4:5]
	s_cbranch_scc1 .LBB95_26
.LBB95_27:                              ;   in Loop: Header=BB95_25 Depth=1
	s_add_i32 s2, s4, -1
	s_lshl_b64 s[8:9], s[2:3], 3
	v_mov_b32_e32 v3, s9
	v_add_co_u32_e32 v2, vcc, s8, v72
	v_addc_co_u32_e32 v3, vcc, v73, v3, vcc
	global_load_dwordx2 v[6:7], v[2:3], off
	s_mul_i32 s5, s4, 0xc8
	v_mov_b32_e32 v8, s5
	ds_read_b64 v[8:9], v8
	s_cmp_le_i32 s22, s4
	s_mov_b32 s8, s7
	s_mov_b32 s2, s22
	s_waitcnt lgkmcnt(0)
	v_mul_f64 v[8:9], v[8:9], v[4:5]
	global_store_dwordx2 v[0:1], v[8:9], off
	s_waitcnt vmcnt(1)
	v_mul_f64 v[4:5], s[0:1], v[6:7]
	s_cbranch_scc1 .LBB95_24
.LBB95_28:                              ;   Parent Loop BB95_25 Depth=1
                                        ; =>  This Inner Loop Header: Depth=2
	s_add_i32 s2, s2, -1
	s_lshl_b64 s[12:13], s[2:3], 3
	v_mov_b32_e32 v1, s13
	v_add_co_u32_e32 v0, vcc, s12, v72
	v_addc_co_u32_e32 v1, vcc, v73, v1, vcc
	global_load_dwordx2 v[0:1], v[0:1], off
	v_mov_b32_e32 v6, s8
	ds_read_b64 v[6:7], v6
	s_add_i32 s8, s8, -8
	s_cmp_gt_i32 s2, s4
	s_waitcnt vmcnt(0) lgkmcnt(0)
	v_fma_f64 v[4:5], -v[0:1], v[6:7], v[4:5]
	s_cbranch_scc1 .LBB95_28
	s_branch .LBB95_24
.LBB95_29:
	s_mov_b64 s[2:3], 0
.LBB95_30:
	s_and_b64 vcc, exec, s[2:3]
	s_cbranch_vccz .LBB95_44
; %bb.31:
	s_cmp_gt_i32 s10, 23
	s_cselect_b64 s[2:3], -1, 0
	s_mov_b32 s4, 0
	s_and_b64 vcc, exec, s[2:3]
	s_cbranch_vccz .LBB95_33
; %bb.32:
	global_load_dwordx4 v[16:19], v[72:73], off offset:48
	global_load_dwordx4 v[12:15], v[72:73], off offset:32
	;; [unrolled: 1-line block ×3, first 2 shown]
	global_load_dwordx4 v[4:7], v[72:73], off
	v_mov_b32_e32 v74, 0
	global_load_dwordx4 v[32:35], v[72:73], off offset:112
	global_load_dwordx4 v[28:31], v[72:73], off offset:96
	global_load_dwordx4 v[24:27], v[72:73], off offset:80
	global_load_dwordx4 v[20:23], v[72:73], off offset:64
	global_load_dwordx4 v[0:3], v[72:73], off offset:176
	global_load_dwordx4 v[44:47], v[72:73], off offset:160
	global_load_dwordx4 v[40:43], v[72:73], off offset:144
	global_load_dwordx4 v[36:39], v[72:73], off offset:128
	ds_read_b128 v[48:51], v74
	ds_read_b128 v[52:55], v74 offset:16
	ds_read_b128 v[56:59], v74 offset:32
	s_movk_i32 s4, 0x400
	s_waitcnt vmcnt(8)
	v_mul_f64 v[4:5], s[0:1], v[4:5]
	s_waitcnt lgkmcnt(2)
	v_mul_f64 v[4:5], v[48:49], v[4:5]
	v_mul_f64 v[48:49], v[4:5], v[50:51]
	v_fma_f64 v[6:7], s[0:1], v[6:7], -v[48:49]
	ds_read2_b64 v[48:51], v74 offset0:25 offset1:26
	s_waitcnt lgkmcnt(0)
	v_mul_f64 v[6:7], v[48:49], v[6:7]
	v_mul_f64 v[48:49], v[4:5], v[52:53]
	global_store_dwordx4 v[72:73], v[4:7], off
	v_fma_f64 v[8:9], s[0:1], v[8:9], -v[48:49]
	v_fma_f64 v[8:9], -v[6:7], v[50:51], v[8:9]
	ds_read_b128 v[48:51], v74 offset:400
	s_waitcnt lgkmcnt(0)
	v_mul_f64 v[8:9], v[48:49], v[8:9]
	v_mul_f64 v[48:49], v[4:5], v[54:55]
	ds_read2_b64 v[52:55], v74 offset0:27 offset1:28
	v_fma_f64 v[10:11], s[0:1], v[10:11], -v[48:49]
	s_waitcnt lgkmcnt(0)
	v_fma_f64 v[10:11], -v[6:7], v[52:53], v[10:11]
	v_fma_f64 v[10:11], -v[8:9], v[50:51], v[10:11]
	ds_read2_b64 v[48:51], v74 offset0:75 offset1:76
	s_waitcnt lgkmcnt(0)
	v_mul_f64 v[10:11], v[48:49], v[10:11]
	v_mul_f64 v[48:49], v[4:5], v[56:57]
	global_store_dwordx4 v[72:73], v[8:11], off offset:16
	v_fma_f64 v[12:13], s[0:1], v[12:13], -v[48:49]
	v_fma_f64 v[12:13], -v[6:7], v[54:55], v[12:13]
	ds_read_b128 v[52:55], v74 offset:416
	s_waitcnt lgkmcnt(0)
	v_fma_f64 v[12:13], -v[8:9], v[52:53], v[12:13]
	v_fma_f64 v[12:13], -v[10:11], v[50:51], v[12:13]
	ds_read_b128 v[48:51], v74 offset:800
	s_waitcnt lgkmcnt(0)
	v_mul_f64 v[12:13], v[48:49], v[12:13]
	v_mul_f64 v[48:49], v[4:5], v[58:59]
	ds_read2_b64 v[56:59], v74 offset0:29 offset1:30
	v_fma_f64 v[14:15], s[0:1], v[14:15], -v[48:49]
	s_waitcnt lgkmcnt(0)
	v_fma_f64 v[14:15], -v[6:7], v[56:57], v[14:15]
	v_fma_f64 v[14:15], -v[8:9], v[54:55], v[14:15]
	ds_read2_b64 v[52:55], v74 offset0:77 offset1:78
	s_waitcnt lgkmcnt(0)
	v_fma_f64 v[14:15], -v[10:11], v[52:53], v[14:15]
	v_fma_f64 v[14:15], -v[12:13], v[50:51], v[14:15]
	ds_read2_b64 v[48:51], v74 offset0:125 offset1:126
	s_waitcnt lgkmcnt(0)
	v_mul_f64 v[14:15], v[48:49], v[14:15]
	global_store_dwordx4 v[72:73], v[12:15], off offset:32
	ds_read_b128 v[60:63], v74 offset:48
	ds_read_b128 v[64:67], v74 offset:64
	;; [unrolled: 1-line block ×5, first 2 shown]
	s_waitcnt lgkmcnt(4)
	v_mul_f64 v[48:49], v[4:5], v[60:61]
	ds_read_b128 v[83:86], v74 offset:128
	ds_read_b128 v[87:90], v74 offset:144
	;; [unrolled: 1-line block ×3, first 2 shown]
	v_fma_f64 v[16:17], s[0:1], v[16:17], -v[48:49]
	v_fma_f64 v[16:17], -v[6:7], v[58:59], v[16:17]
	ds_read_b128 v[56:59], v74 offset:432
	s_waitcnt lgkmcnt(0)
	v_fma_f64 v[16:17], -v[8:9], v[56:57], v[16:17]
	v_fma_f64 v[16:17], -v[10:11], v[54:55], v[16:17]
	ds_read_b128 v[52:55], v74 offset:816
	s_waitcnt lgkmcnt(0)
	v_fma_f64 v[16:17], -v[12:13], v[52:53], v[16:17]
	v_fma_f64 v[16:17], -v[14:15], v[50:51], v[16:17]
	ds_read_b128 v[48:51], v74 offset:1200
	s_waitcnt lgkmcnt(0)
	v_mul_f64 v[16:17], v[48:49], v[16:17]
	v_mul_f64 v[48:49], v[4:5], v[62:63]
	ds_read2_b64 v[60:63], v74 offset0:31 offset1:32
	v_fma_f64 v[18:19], s[0:1], v[18:19], -v[48:49]
	s_waitcnt lgkmcnt(0)
	v_fma_f64 v[18:19], -v[6:7], v[60:61], v[18:19]
	v_fma_f64 v[18:19], -v[8:9], v[58:59], v[18:19]
	ds_read2_b64 v[56:59], v74 offset0:79 offset1:80
	s_waitcnt lgkmcnt(0)
	v_fma_f64 v[18:19], -v[10:11], v[56:57], v[18:19]
	v_fma_f64 v[18:19], -v[12:13], v[54:55], v[18:19]
	ds_read2_b64 v[52:55], v74 offset0:127 offset1:128
	;; [unrolled: 4-line block ×3, first 2 shown]
	s_waitcnt lgkmcnt(0)
	v_mul_f64 v[18:19], v[48:49], v[18:19]
	v_mul_f64 v[48:49], v[4:5], v[64:65]
	global_store_dwordx4 v[72:73], v[16:19], off offset:48
	s_waitcnt vmcnt(8)
	v_fma_f64 v[20:21], s[0:1], v[20:21], -v[48:49]
	v_fma_f64 v[20:21], -v[6:7], v[62:63], v[20:21]
	ds_read_b128 v[60:63], v74 offset:448
	s_waitcnt lgkmcnt(0)
	v_fma_f64 v[20:21], -v[8:9], v[60:61], v[20:21]
	v_fma_f64 v[20:21], -v[10:11], v[58:59], v[20:21]
	ds_read_b128 v[56:59], v74 offset:832
	s_waitcnt lgkmcnt(0)
	v_fma_f64 v[20:21], -v[12:13], v[56:57], v[20:21]
	v_fma_f64 v[20:21], -v[14:15], v[54:55], v[20:21]
	ds_read_b128 v[52:55], v74 offset:1216
	s_waitcnt lgkmcnt(0)
	v_fma_f64 v[20:21], -v[16:17], v[52:53], v[20:21]
	v_fma_f64 v[20:21], -v[18:19], v[50:51], v[20:21]
	ds_read_b128 v[48:51], v74 offset:1600
	s_waitcnt lgkmcnt(0)
	v_mul_f64 v[20:21], v[48:49], v[20:21]
	v_mul_f64 v[48:49], v[4:5], v[66:67]
	ds_read2_b64 v[64:67], v74 offset0:33 offset1:34
	v_fma_f64 v[22:23], s[0:1], v[22:23], -v[48:49]
	s_waitcnt lgkmcnt(0)
	v_fma_f64 v[22:23], -v[6:7], v[64:65], v[22:23]
	v_fma_f64 v[22:23], -v[8:9], v[62:63], v[22:23]
	ds_read2_b64 v[60:63], v74 offset0:81 offset1:82
	s_waitcnt lgkmcnt(0)
	v_fma_f64 v[22:23], -v[10:11], v[60:61], v[22:23]
	v_fma_f64 v[22:23], -v[12:13], v[58:59], v[22:23]
	ds_read2_b64 v[56:59], v74 offset0:129 offset1:130
	;; [unrolled: 4-line block ×4, first 2 shown]
	s_waitcnt lgkmcnt(0)
	v_mul_f64 v[22:23], v[48:49], v[22:23]
	v_mul_f64 v[48:49], v[4:5], v[68:69]
	global_store_dwordx4 v[72:73], v[20:23], off offset:64
	v_fma_f64 v[24:25], s[0:1], v[24:25], -v[48:49]
	v_fma_f64 v[24:25], -v[6:7], v[66:67], v[24:25]
	ds_read_b128 v[64:67], v74 offset:464
	s_waitcnt lgkmcnt(0)
	v_fma_f64 v[24:25], -v[8:9], v[64:65], v[24:25]
	v_fma_f64 v[24:25], -v[10:11], v[62:63], v[24:25]
	ds_read_b128 v[60:63], v74 offset:848
	s_waitcnt lgkmcnt(0)
	v_fma_f64 v[24:25], -v[12:13], v[60:61], v[24:25]
	;; [unrolled: 4-line block ×4, first 2 shown]
	v_fma_f64 v[24:25], -v[22:23], v[50:51], v[24:25]
	ds_read_b128 v[48:51], v74 offset:2000
	s_waitcnt lgkmcnt(0)
	v_mul_f64 v[24:25], v[48:49], v[24:25]
	v_mul_f64 v[48:49], v[4:5], v[70:71]
	ds_read2_b64 v[68:71], v74 offset0:35 offset1:36
	v_fma_f64 v[26:27], s[0:1], v[26:27], -v[48:49]
	v_mov_b32_e32 v48, 0x898
	s_waitcnt lgkmcnt(0)
	v_fma_f64 v[26:27], -v[6:7], v[68:69], v[26:27]
	v_fma_f64 v[26:27], -v[8:9], v[66:67], v[26:27]
	ds_read2_b64 v[64:67], v74 offset0:83 offset1:84
	s_waitcnt lgkmcnt(0)
	v_fma_f64 v[26:27], -v[10:11], v[64:65], v[26:27]
	v_fma_f64 v[26:27], -v[12:13], v[62:63], v[26:27]
	ds_read2_b64 v[60:63], v74 offset0:131 offset1:132
	s_waitcnt lgkmcnt(0)
	v_fma_f64 v[26:27], -v[14:15], v[60:61], v[26:27]
	v_fma_f64 v[26:27], -v[16:17], v[58:59], v[26:27]
	ds_read2_b64 v[56:59], v74 offset0:179 offset1:180
	s_waitcnt lgkmcnt(0)
	v_fma_f64 v[26:27], -v[18:19], v[56:57], v[26:27]
	v_fma_f64 v[26:27], -v[20:21], v[54:55], v[26:27]
	ds_read2_b64 v[52:55], v74 offset0:227 offset1:228
	s_waitcnt lgkmcnt(0)
	v_fma_f64 v[26:27], -v[22:23], v[52:53], v[26:27]
	v_fma_f64 v[26:27], -v[24:25], v[50:51], v[26:27]
	ds_read2_b64 v[48:51], v48 offset1:1
	s_waitcnt lgkmcnt(0)
	v_mul_f64 v[26:27], v[48:49], v[26:27]
	v_mul_f64 v[48:49], v[4:5], v[75:76]
	global_store_dwordx4 v[72:73], v[24:27], off offset:80
	v_fma_f64 v[28:29], s[0:1], v[28:29], -v[48:49]
	v_fma_f64 v[28:29], -v[6:7], v[70:71], v[28:29]
	ds_read_b128 v[68:71], v74 offset:480
	s_waitcnt lgkmcnt(0)
	v_fma_f64 v[28:29], -v[8:9], v[68:69], v[28:29]
	v_fma_f64 v[28:29], -v[10:11], v[66:67], v[28:29]
	ds_read_b128 v[64:67], v74 offset:864
	s_waitcnt lgkmcnt(0)
	v_fma_f64 v[28:29], -v[12:13], v[64:65], v[28:29]
	;; [unrolled: 4-line block ×5, first 2 shown]
	v_fma_f64 v[28:29], -v[26:27], v[50:51], v[28:29]
	ds_read_b128 v[48:51], v74 offset:2400
	s_waitcnt lgkmcnt(0)
	v_mul_f64 v[28:29], v[48:49], v[28:29]
	v_mul_f64 v[48:49], v[4:5], v[77:78]
	ds_read2_b64 v[75:78], v74 offset0:37 offset1:38
	v_fma_f64 v[30:31], s[0:1], v[30:31], -v[48:49]
	v_mov_b32_e32 v48, 0x8a8
	s_waitcnt lgkmcnt(0)
	v_fma_f64 v[30:31], -v[6:7], v[75:76], v[30:31]
	v_fma_f64 v[30:31], -v[8:9], v[70:71], v[30:31]
	ds_read2_b64 v[68:71], v74 offset0:85 offset1:86
	s_waitcnt lgkmcnt(0)
	v_fma_f64 v[30:31], -v[10:11], v[68:69], v[30:31]
	v_fma_f64 v[30:31], -v[12:13], v[66:67], v[30:31]
	ds_read2_b64 v[64:67], v74 offset0:133 offset1:134
	;; [unrolled: 4-line block ×4, first 2 shown]
	s_waitcnt lgkmcnt(0)
	v_fma_f64 v[30:31], -v[22:23], v[56:57], v[30:31]
	v_fma_f64 v[30:31], -v[24:25], v[54:55], v[30:31]
	ds_read2_b64 v[52:55], v48 offset1:1
	v_mov_b32_e32 v48, 0xa28
	s_waitcnt lgkmcnt(0)
	v_fma_f64 v[30:31], -v[26:27], v[52:53], v[30:31]
	v_fma_f64 v[30:31], -v[28:29], v[50:51], v[30:31]
	ds_read2_b64 v[48:51], v48 offset1:1
	s_waitcnt lgkmcnt(0)
	v_mul_f64 v[30:31], v[48:49], v[30:31]
	v_mul_f64 v[48:49], v[4:5], v[79:80]
	global_store_dwordx4 v[72:73], v[28:31], off offset:96
	v_fma_f64 v[32:33], s[0:1], v[32:33], -v[48:49]
	v_fma_f64 v[32:33], -v[6:7], v[77:78], v[32:33]
	ds_read_b128 v[75:78], v74 offset:496
	s_waitcnt lgkmcnt(0)
	v_fma_f64 v[32:33], -v[8:9], v[75:76], v[32:33]
	v_fma_f64 v[32:33], -v[10:11], v[70:71], v[32:33]
	ds_read_b128 v[68:71], v74 offset:880
	s_waitcnt lgkmcnt(0)
	v_fma_f64 v[32:33], -v[12:13], v[68:69], v[32:33]
	;; [unrolled: 4-line block ×6, first 2 shown]
	v_fma_f64 v[32:33], -v[30:31], v[50:51], v[32:33]
	ds_read_b128 v[48:51], v74 offset:2800
	s_waitcnt lgkmcnt(0)
	v_mul_f64 v[32:33], v[48:49], v[32:33]
	v_mul_f64 v[48:49], v[4:5], v[81:82]
	ds_read2_b64 v[79:82], v74 offset0:39 offset1:40
	v_fma_f64 v[34:35], s[0:1], v[34:35], -v[48:49]
	v_mov_b32_e32 v48, 0x8b8
	s_waitcnt lgkmcnt(0)
	v_fma_f64 v[34:35], -v[6:7], v[79:80], v[34:35]
	v_fma_f64 v[34:35], -v[8:9], v[77:78], v[34:35]
	ds_read2_b64 v[75:78], v74 offset0:87 offset1:88
	s_waitcnt lgkmcnt(0)
	v_fma_f64 v[34:35], -v[10:11], v[75:76], v[34:35]
	v_fma_f64 v[34:35], -v[12:13], v[70:71], v[34:35]
	ds_read2_b64 v[68:71], v74 offset0:135 offset1:136
	;; [unrolled: 4-line block ×4, first 2 shown]
	s_waitcnt lgkmcnt(0)
	v_fma_f64 v[34:35], -v[22:23], v[60:61], v[34:35]
	v_fma_f64 v[34:35], -v[24:25], v[58:59], v[34:35]
	ds_read2_b64 v[56:59], v48 offset1:1
	v_mov_b32_e32 v48, 0xa38
	s_waitcnt lgkmcnt(0)
	v_fma_f64 v[34:35], -v[26:27], v[56:57], v[34:35]
	v_fma_f64 v[34:35], -v[28:29], v[54:55], v[34:35]
	ds_read2_b64 v[52:55], v48 offset1:1
	v_mov_b32_e32 v48, 0xbb8
	s_waitcnt lgkmcnt(0)
	v_fma_f64 v[34:35], -v[30:31], v[52:53], v[34:35]
	v_fma_f64 v[34:35], -v[32:33], v[50:51], v[34:35]
	ds_read2_b64 v[48:51], v48 offset1:1
	s_waitcnt lgkmcnt(0)
	v_mul_f64 v[34:35], v[48:49], v[34:35]
	v_mul_f64 v[48:49], v[4:5], v[83:84]
	global_store_dwordx4 v[72:73], v[32:35], off offset:112
	s_waitcnt vmcnt(8)
	v_fma_f64 v[36:37], s[0:1], v[36:37], -v[48:49]
	v_fma_f64 v[36:37], -v[6:7], v[81:82], v[36:37]
	ds_read_b128 v[79:82], v74 offset:512
	s_waitcnt lgkmcnt(0)
	v_fma_f64 v[36:37], -v[8:9], v[79:80], v[36:37]
	v_fma_f64 v[36:37], -v[10:11], v[77:78], v[36:37]
	ds_read_b128 v[75:78], v74 offset:896
	s_waitcnt lgkmcnt(0)
	v_fma_f64 v[36:37], -v[12:13], v[75:76], v[36:37]
	;; [unrolled: 4-line block ×7, first 2 shown]
	v_fma_f64 v[36:37], -v[34:35], v[50:51], v[36:37]
	ds_read_b128 v[48:51], v74 offset:3200
	s_waitcnt lgkmcnt(0)
	v_mul_f64 v[36:37], v[48:49], v[36:37]
	v_mul_f64 v[48:49], v[4:5], v[85:86]
	ds_read2_b64 v[83:86], v74 offset0:41 offset1:42
	v_fma_f64 v[38:39], s[0:1], v[38:39], -v[48:49]
	v_mov_b32_e32 v48, 0x8c8
	s_waitcnt lgkmcnt(0)
	v_fma_f64 v[38:39], -v[6:7], v[83:84], v[38:39]
	v_fma_f64 v[38:39], -v[8:9], v[81:82], v[38:39]
	ds_read2_b64 v[79:82], v74 offset0:89 offset1:90
	s_waitcnt lgkmcnt(0)
	v_fma_f64 v[38:39], -v[10:11], v[79:80], v[38:39]
	v_fma_f64 v[38:39], -v[12:13], v[77:78], v[38:39]
	ds_read2_b64 v[75:78], v74 offset0:137 offset1:138
	;; [unrolled: 4-line block ×4, first 2 shown]
	s_waitcnt lgkmcnt(0)
	v_fma_f64 v[38:39], -v[22:23], v[64:65], v[38:39]
	v_fma_f64 v[38:39], -v[24:25], v[62:63], v[38:39]
	ds_read2_b64 v[60:63], v48 offset1:1
	v_mov_b32_e32 v48, 0xa48
	s_waitcnt lgkmcnt(0)
	v_fma_f64 v[38:39], -v[26:27], v[60:61], v[38:39]
	v_fma_f64 v[38:39], -v[28:29], v[58:59], v[38:39]
	ds_read2_b64 v[56:59], v48 offset1:1
	v_mov_b32_e32 v48, 0xbc8
	;; [unrolled: 5-line block ×3, first 2 shown]
	s_waitcnt lgkmcnt(0)
	v_fma_f64 v[38:39], -v[34:35], v[52:53], v[38:39]
	v_fma_f64 v[38:39], -v[36:37], v[50:51], v[38:39]
	ds_read2_b64 v[48:51], v48 offset1:1
	s_waitcnt lgkmcnt(0)
	v_mul_f64 v[38:39], v[48:49], v[38:39]
	v_mul_f64 v[48:49], v[4:5], v[87:88]
	global_store_dwordx4 v[72:73], v[36:39], off offset:128
	v_fma_f64 v[40:41], s[0:1], v[40:41], -v[48:49]
	v_fma_f64 v[40:41], -v[6:7], v[85:86], v[40:41]
	ds_read_b128 v[83:86], v74 offset:528
	s_waitcnt lgkmcnt(0)
	v_fma_f64 v[40:41], -v[8:9], v[83:84], v[40:41]
	v_fma_f64 v[40:41], -v[10:11], v[81:82], v[40:41]
	ds_read_b128 v[79:82], v74 offset:912
	s_waitcnt lgkmcnt(0)
	v_fma_f64 v[40:41], -v[12:13], v[79:80], v[40:41]
	v_fma_f64 v[40:41], -v[14:15], v[77:78], v[40:41]
	ds_read_b128 v[75:78], v74 offset:1296
	s_waitcnt lgkmcnt(0)
	v_fma_f64 v[40:41], -v[16:17], v[75:76], v[40:41]
	v_fma_f64 v[40:41], -v[18:19], v[70:71], v[40:41]
	ds_read_b128 v[68:71], v74 offset:1680
	s_waitcnt lgkmcnt(0)
	v_fma_f64 v[40:41], -v[20:21], v[68:69], v[40:41]
	v_fma_f64 v[40:41], -v[22:23], v[66:67], v[40:41]
	ds_read_b128 v[64:67], v74 offset:2064
	s_waitcnt lgkmcnt(0)
	v_fma_f64 v[40:41], -v[24:25], v[64:65], v[40:41]
	v_fma_f64 v[40:41], -v[26:27], v[62:63], v[40:41]
	ds_read_b128 v[60:63], v74 offset:2448
	s_waitcnt lgkmcnt(0)
	v_fma_f64 v[40:41], -v[28:29], v[60:61], v[40:41]
	v_fma_f64 v[40:41], -v[30:31], v[58:59], v[40:41]
	ds_read_b128 v[56:59], v74 offset:2832
	s_waitcnt lgkmcnt(0)
	v_fma_f64 v[40:41], -v[32:33], v[56:57], v[40:41]
	v_fma_f64 v[40:41], -v[34:35], v[54:55], v[40:41]
	ds_read_b128 v[52:55], v74 offset:3216
	s_waitcnt lgkmcnt(0)
	v_fma_f64 v[40:41], -v[36:37], v[52:53], v[40:41]
	v_fma_f64 v[40:41], -v[38:39], v[50:51], v[40:41]
	ds_read_b128 v[48:51], v74 offset:3600
	s_waitcnt lgkmcnt(0)
	v_mul_f64 v[40:41], v[48:49], v[40:41]
	v_mul_f64 v[48:49], v[4:5], v[89:90]
	ds_read2_b64 v[87:90], v74 offset0:43 offset1:44
	v_fma_f64 v[42:43], s[0:1], v[42:43], -v[48:49]
	v_mov_b32_e32 v48, 0x8d8
	s_waitcnt lgkmcnt(0)
	v_fma_f64 v[42:43], -v[6:7], v[87:88], v[42:43]
	v_fma_f64 v[42:43], -v[8:9], v[85:86], v[42:43]
	ds_read2_b64 v[83:86], v74 offset0:91 offset1:92
	s_waitcnt lgkmcnt(0)
	v_fma_f64 v[42:43], -v[10:11], v[83:84], v[42:43]
	v_fma_f64 v[42:43], -v[12:13], v[81:82], v[42:43]
	ds_read2_b64 v[79:82], v74 offset0:139 offset1:140
	;; [unrolled: 4-line block ×4, first 2 shown]
	s_waitcnt lgkmcnt(0)
	v_fma_f64 v[42:43], -v[22:23], v[68:69], v[42:43]
	v_fma_f64 v[42:43], -v[24:25], v[66:67], v[42:43]
	ds_read2_b64 v[66:69], v48 offset1:1
	v_mov_b32_e32 v48, 0xa58
	ds_read2_b64 v[91:94], v48 offset1:1
	s_waitcnt lgkmcnt(1)
	v_fma_f64 v[42:43], -v[26:27], v[66:67], v[42:43]
	ds_read_b128 v[64:67], v74 offset:1696
	v_fma_f64 v[42:43], -v[28:29], v[62:63], v[42:43]
	ds_read_b128 v[60:63], v74 offset:1312
	v_mov_b32_e32 v48, 0xbd8
	ds_read2_b64 v[95:98], v48 offset1:1
	v_mov_b32_e32 v48, 0xd58
	ds_read2_b64 v[99:102], v48 offset1:1
	;; [unrolled: 2-line block ×3, first 2 shown]
	v_mul_f64 v[48:49], v[4:5], v[107:108]
	s_waitcnt lgkmcnt(5)
	v_fma_f64 v[42:43], -v[30:31], v[91:92], v[42:43]
	v_fma_f64 v[44:45], s[0:1], v[44:45], -v[48:49]
	v_fma_f64 v[42:43], -v[32:33], v[58:59], v[42:43]
	v_fma_f64 v[44:45], -v[6:7], v[89:90], v[44:45]
	ds_read_b128 v[87:90], v74 offset:544
	s_waitcnt lgkmcnt(3)
	v_fma_f64 v[42:43], -v[34:35], v[95:96], v[42:43]
	s_waitcnt lgkmcnt(0)
	v_fma_f64 v[44:45], -v[8:9], v[87:88], v[44:45]
	v_fma_f64 v[42:43], -v[36:37], v[54:55], v[42:43]
	;; [unrolled: 1-line block ×3, first 2 shown]
	ds_read_b128 v[83:86], v74 offset:928
	v_fma_f64 v[42:43], -v[38:39], v[99:100], v[42:43]
	s_waitcnt lgkmcnt(0)
	v_fma_f64 v[44:45], -v[12:13], v[83:84], v[44:45]
	v_fma_f64 v[42:43], -v[40:41], v[50:51], v[42:43]
	;; [unrolled: 1-line block ×3, first 2 shown]
	ds_read2_b64 v[79:82], v74 offset0:141 offset1:142
	v_mul_f64 v[42:43], v[103:104], v[42:43]
	v_fma_f64 v[44:45], -v[16:17], v[60:61], v[44:45]
	ds_read_b128 v[58:61], v74 offset:2080
	global_store_dwordx4 v[72:73], v[40:43], off offset:144
	v_fma_f64 v[44:45], -v[18:19], v[77:78], v[44:45]
	ds_read2_b64 v[75:78], v74 offset0:93 offset1:94
	v_fma_f64 v[44:45], -v[20:21], v[64:65], v[44:45]
	v_fma_f64 v[44:45], -v[22:23], v[70:71], v[44:45]
	s_waitcnt lgkmcnt(1)
	v_fma_f64 v[44:45], -v[24:25], v[58:59], v[44:45]
	ds_read_b128 v[56:59], v74 offset:2464
	v_fma_f64 v[44:45], -v[26:27], v[68:69], v[44:45]
	ds_read_b128 v[68:71], v74 offset:176
	s_waitcnt lgkmcnt(1)
	v_fma_f64 v[44:45], -v[28:29], v[56:57], v[44:45]
	ds_read_b128 v[54:57], v74 offset:2848
	v_fma_f64 v[44:45], -v[30:31], v[93:94], v[44:45]
	s_waitcnt lgkmcnt(0)
	v_fma_f64 v[44:45], -v[32:33], v[54:55], v[44:45]
	ds_read_b128 v[52:55], v74 offset:3232
	v_fma_f64 v[44:45], -v[34:35], v[97:98], v[44:45]
	;; [unrolled: 4-line block ×4, first 2 shown]
	s_waitcnt lgkmcnt(0)
	v_mul_f64 v[44:45], v[48:49], v[44:45]
	v_mul_f64 v[48:49], v[4:5], v[109:110]
	v_fma_f64 v[64:65], s[0:1], v[46:47], -v[48:49]
	ds_read2_b64 v[46:49], v74 offset0:45 offset1:46
	s_waitcnt lgkmcnt(0)
	v_fma_f64 v[46:47], -v[6:7], v[46:47], v[64:65]
	v_fma_f64 v[46:47], -v[8:9], v[89:90], v[46:47]
	ds_read2_b64 v[87:90], v74 offset0:237 offset1:238
	v_fma_f64 v[46:47], -v[10:11], v[75:76], v[46:47]
	v_fma_f64 v[46:47], -v[12:13], v[85:86], v[46:47]
	ds_read2_b64 v[83:86], v74 offset0:189 offset1:190
	v_fma_f64 v[46:47], -v[14:15], v[79:80], v[46:47]
	v_fma_f64 v[46:47], -v[16:17], v[62:63], v[46:47]
	s_waitcnt lgkmcnt(0)
	v_fma_f64 v[46:47], -v[18:19], v[83:84], v[46:47]
	v_fma_f64 v[46:47], -v[20:21], v[66:67], v[46:47]
	;; [unrolled: 1-line block ×4, first 2 shown]
	v_mov_b32_e32 v60, 0x8e8
	ds_read2_b64 v[91:94], v60 offset1:1
	s_waitcnt lgkmcnt(0)
	v_fma_f64 v[46:47], -v[26:27], v[91:92], v[46:47]
	v_fma_f64 v[46:47], -v[28:29], v[58:59], v[46:47]
	v_mov_b32_e32 v58, 0xa68
	ds_read2_b64 v[95:98], v58 offset1:1
	s_waitcnt lgkmcnt(0)
	v_fma_f64 v[46:47], -v[30:31], v[95:96], v[46:47]
	v_fma_f64 v[46:47], -v[32:33], v[56:57], v[46:47]
	;; [unrolled: 5-line block ×5, first 2 shown]
	v_mov_b32_e32 v50, 0x1068
	ds_read2_b64 v[111:114], v50 offset1:1
	v_mul_f64 v[50:51], v[4:5], v[68:69]
	ds_read_b128 v[66:69], v74 offset:560
	v_mul_f64 v[4:5], v[4:5], v[70:71]
	s_waitcnt lgkmcnt(1)
	v_mul_f64 v[46:47], v[111:112], v[46:47]
	v_fma_f64 v[0:1], s[0:1], v[0:1], -v[50:51]
	global_store_dwordx4 v[72:73], v[44:47], off offset:160
	v_fma_f64 v[0:1], -v[6:7], v[48:49], v[0:1]
	s_waitcnt lgkmcnt(0)
	v_fma_f64 v[0:1], -v[8:9], v[66:67], v[0:1]
	ds_read_b128 v[64:67], v74 offset:944
	v_fma_f64 v[0:1], -v[10:11], v[77:78], v[0:1]
	ds_read_b128 v[75:78], v74 offset:4400
	s_waitcnt lgkmcnt(1)
	v_fma_f64 v[0:1], -v[12:13], v[64:65], v[0:1]
	ds_read_b128 v[62:65], v74 offset:1328
	v_fma_f64 v[0:1], -v[14:15], v[81:82], v[0:1]
	s_waitcnt lgkmcnt(0)
	v_fma_f64 v[0:1], -v[16:17], v[62:63], v[0:1]
	ds_read_b128 v[60:63], v74 offset:1712
	v_fma_f64 v[0:1], -v[18:19], v[85:86], v[0:1]
	;; [unrolled: 4-line block ×8, first 2 shown]
	s_waitcnt lgkmcnt(0)
	v_fma_f64 v[0:1], -v[44:45], v[48:49], v[0:1]
	v_fma_f64 v[48:49], s[0:1], v[2:3], -v[4:5]
	ds_read2_b64 v[2:5], v74 offset0:47 offset1:95
	v_fma_f64 v[0:1], -v[46:47], v[113:114], v[0:1]
	s_waitcnt lgkmcnt(0)
	v_fma_f64 v[2:3], -v[6:7], v[2:3], v[48:49]
	v_mul_f64 v[0:1], v[75:76], v[0:1]
	v_fma_f64 v[2:3], -v[8:9], v[68:69], v[2:3]
	v_fma_f64 v[2:3], -v[10:11], v[4:5], v[2:3]
	;; [unrolled: 1-line block ×3, first 2 shown]
	ds_read2_b64 v[2:5], v74 offset0:143 offset1:191
	s_waitcnt lgkmcnt(0)
	v_fma_f64 v[2:3], -v[14:15], v[2:3], v[6:7]
	v_fma_f64 v[2:3], -v[16:17], v[64:65], v[2:3]
	;; [unrolled: 1-line block ×4, first 2 shown]
	v_add_u32_e64 v2, s4, 0
	ds_read2_b64 v[2:5], v2 offset0:111 offset1:159
	s_movk_i32 s4, 0x800
	v_add_u32_e64 v8, s4, 0
	s_movk_i32 s4, 0x1000
	s_waitcnt lgkmcnt(0)
	v_fma_f64 v[2:3], -v[22:23], v[2:3], v[6:7]
	v_fma_f64 v[2:3], -v[24:25], v[60:61], v[2:3]
	;; [unrolled: 1-line block ×4, first 2 shown]
	ds_read2_b64 v[2:5], v8 offset0:79 offset1:127
	s_waitcnt lgkmcnt(0)
	v_fma_f64 v[2:3], -v[30:31], v[2:3], v[6:7]
	v_fma_f64 v[2:3], -v[32:33], v[56:57], v[2:3]
	;; [unrolled: 1-line block ×4, first 2 shown]
	ds_read2_b64 v[2:5], v8 offset0:175 offset1:223
	s_waitcnt lgkmcnt(0)
	v_fma_f64 v[2:3], -v[38:39], v[2:3], v[6:7]
	v_fma_f64 v[2:3], -v[40:41], v[52:53], v[2:3]
	;; [unrolled: 1-line block ×4, first 2 shown]
	v_add_u32_e64 v2, s4, 0
	ds_read2_b64 v[2:5], v2 offset0:15 offset1:63
	s_mov_b32 s4, 24
	s_waitcnt lgkmcnt(0)
	v_fma_f64 v[2:3], -v[46:47], v[2:3], v[6:7]
	v_fma_f64 v[2:3], -v[0:1], v[77:78], v[2:3]
	v_mul_f64 v[2:3], v[4:5], v[2:3]
	global_store_dwordx4 v[72:73], v[0:3], off offset:176
.LBB95_33:
	s_cmp_lt_i32 s4, s22
	s_cbranch_scc0 .LBB95_44
; %bb.34:
	s_add_i32 s5, s4, 19
	s_cmp_ge_u32 s5, s22
	s_cbranch_scc1 .LBB95_39
; %bb.35:
	s_lshl_b32 s6, s4, 3
	v_add_co_u32_e32 v40, vcc, s6, v72
	v_addc_co_u32_e32 v41, vcc, 0, v73, vcc
	global_load_dwordx4 v[0:3], v[40:41], off
	global_load_dwordx4 v[4:7], v[40:41], off offset:16
	global_load_dwordx4 v[8:11], v[40:41], off offset:32
	;; [unrolled: 1-line block ×9, first 2 shown]
	s_andn2_b64 vcc, exec, s[2:3]
	s_waitcnt vmcnt(9)
	v_mul_f64 v[0:1], s[0:1], v[0:1]
	v_mul_f64 v[34:35], s[0:1], v[2:3]
	s_waitcnt vmcnt(8)
	v_mul_f64 v[28:29], s[0:1], v[4:5]
	v_mul_f64 v[30:31], s[0:1], v[6:7]
	;; [unrolled: 3-line block ×10, first 2 shown]
	s_cbranch_vccnz .LBB95_38
; %bb.36:
	v_mov_b32_e32 v36, v72
	v_mov_b32_e32 v37, v73
	s_mov_b32 s2, s4
.LBB95_37:                              ; =>This Inner Loop Header: Depth=1
	global_load_dwordx2 v[38:39], v[36:37], off
	v_mov_b32_e32 v54, s6
	ds_read_b128 v[46:49], v54
	ds_read_b128 v[50:53], v54 offset:16
	s_add_i32 s2, s2, -1
	s_addk_i32 s6, 0xc0
	v_add_co_u32_e32 v36, vcc, 8, v36
	s_cmp_lg_u32 s2, 0
	v_addc_co_u32_e32 v37, vcc, 0, v37, vcc
	s_waitcnt vmcnt(0) lgkmcnt(1)
	v_fma_f64 v[0:1], -v[38:39], v[46:47], v[0:1]
	v_fma_f64 v[34:35], -v[38:39], v[48:49], v[34:35]
	ds_read_b128 v[46:49], v54 offset:32
	s_waitcnt lgkmcnt(1)
	v_fma_f64 v[28:29], -v[38:39], v[50:51], v[28:29]
	v_fma_f64 v[30:31], -v[38:39], v[52:53], v[30:31]
	ds_read_b128 v[50:53], v54 offset:48
	s_waitcnt lgkmcnt(1)
	;; [unrolled: 4-line block ×8, first 2 shown]
	v_fma_f64 v[24:25], -v[38:39], v[46:47], v[24:25]
	v_fma_f64 v[32:33], -v[38:39], v[48:49], v[32:33]
	s_waitcnt lgkmcnt(0)
	v_fma_f64 v[44:45], -v[38:39], v[50:51], v[44:45]
	v_fma_f64 v[42:43], -v[38:39], v[52:53], v[42:43]
	s_cbranch_scc1 .LBB95_37
.LBB95_38:
	s_lshl_b32 s2, s4, 3
	s_mul_i32 s3, s4, 0xc0
	s_add_i32 s2, s2, s3
	v_mov_b32_e32 v46, s2
	ds_read_b128 v[36:39], v46
	ds_read_b128 v[47:50], v46 offset:16
	s_mul_i32 s3, s4, 0xc8
	s_add_i32 s6, s3, 0x898
	s_add_i32 s4, s4, 20
	s_waitcnt lgkmcnt(1)
	v_mul_f64 v[0:1], v[36:37], v[0:1]
	ds_read2_b64 v[68:71], v46 offset0:185 offset1:186
	v_fma_f64 v[38:39], -v[0:1], v[38:39], v[34:35]
	ds_read_b128 v[34:37], v46 offset:32
	s_waitcnt lgkmcnt(2)
	v_fma_f64 v[47:48], -v[0:1], v[47:48], v[28:29]
	v_fma_f64 v[49:50], -v[0:1], v[49:50], v[30:31]
	ds_read_b128 v[28:31], v46 offset:48
	s_waitcnt lgkmcnt(1)
	v_fma_f64 v[22:23], -v[0:1], v[34:35], v[22:23]
	;; [unrolled: 4-line block ×3, first 2 shown]
	v_fma_f64 v[30:31], -v[0:1], v[30:31], v[18:19]
	ds_read2_b64 v[16:19], v46 offset0:25 offset1:26
	ds_read_b128 v[26:29], v46 offset:80
	s_waitcnt lgkmcnt(2)
	v_fma_f64 v[34:35], -v[0:1], v[34:35], v[2:3]
	v_fma_f64 v[12:13], -v[0:1], v[36:37], v[12:13]
	s_waitcnt lgkmcnt(1)
	v_mul_f64 v[2:3], v[16:17], v[38:39]
	s_waitcnt lgkmcnt(0)
	v_fma_f64 v[36:37], -v[0:1], v[26:27], v[4:5]
	v_fma_f64 v[38:39], -v[0:1], v[28:29], v[6:7]
	ds_read2_b64 v[4:7], v46 offset0:27 offset1:28
	ds_read2_b64 v[26:29], v46 offset0:33 offset1:34
	v_fma_f64 v[47:48], -v[2:3], v[18:19], v[47:48]
	ds_read2_b64 v[16:19], v46 offset0:29 offset1:30
	s_waitcnt lgkmcnt(2)
	v_fma_f64 v[49:50], -v[2:3], v[4:5], v[49:50]
	v_fma_f64 v[22:23], -v[2:3], v[6:7], v[22:23]
	ds_read2_b64 v[4:7], v46 offset0:31 offset1:32
	s_waitcnt lgkmcnt(2)
	v_fma_f64 v[12:13], -v[2:3], v[26:27], v[12:13]
	s_waitcnt lgkmcnt(1)
	v_fma_f64 v[51:52], -v[2:3], v[16:17], v[51:52]
	v_fma_f64 v[53:54], -v[2:3], v[18:19], v[53:54]
	ds_read_b128 v[16:19], v46 offset:400
	s_waitcnt lgkmcnt(1)
	v_fma_f64 v[30:31], -v[2:3], v[4:5], v[30:31]
	v_fma_f64 v[36:37], -v[2:3], v[28:29], v[36:37]
	ds_read_b128 v[26:29], v46 offset:416
	v_fma_f64 v[34:35], -v[2:3], v[6:7], v[34:35]
	s_waitcnt lgkmcnt(1)
	v_mul_f64 v[4:5], v[16:17], v[47:48]
	v_fma_f64 v[6:7], -v[4:5], v[18:19], v[49:50]
	s_waitcnt lgkmcnt(0)
	v_fma_f64 v[22:23], -v[4:5], v[26:27], v[22:23]
	v_fma_f64 v[47:48], -v[4:5], v[28:29], v[51:52]
	ds_read2_b64 v[26:29], v46 offset0:75 offset1:76
	ds_read_b128 v[16:19], v46 offset:432
	s_waitcnt lgkmcnt(1)
	v_mul_f64 v[6:7], v[26:27], v[6:7]
	v_fma_f64 v[22:23], -v[6:7], v[28:29], v[22:23]
	ds_read_b128 v[26:29], v46 offset:464
	s_waitcnt lgkmcnt(1)
	v_fma_f64 v[49:50], -v[4:5], v[16:17], v[53:54]
	v_fma_f64 v[30:31], -v[4:5], v[18:19], v[30:31]
	ds_read_b128 v[16:19], v46 offset:448
	s_waitcnt lgkmcnt(1)
	v_fma_f64 v[26:27], -v[4:5], v[26:27], v[36:37]
	s_waitcnt lgkmcnt(0)
	v_fma_f64 v[34:35], -v[4:5], v[16:17], v[34:35]
	v_fma_f64 v[12:13], -v[4:5], v[18:19], v[12:13]
	ds_read2_b64 v[16:19], v46 offset0:77 offset1:78
	s_waitcnt lgkmcnt(0)
	v_fma_f64 v[47:48], -v[6:7], v[16:17], v[47:48]
	v_fma_f64 v[49:50], -v[6:7], v[18:19], v[49:50]
	ds_read2_b64 v[16:19], v46 offset0:79 offset1:80
	;; [unrolled: 4-line block ×4, first 2 shown]
	s_waitcnt lgkmcnt(0)
	v_fma_f64 v[16:17], -v[2:3], v[16:17], v[38:39]
	v_fma_f64 v[36:37], -v[4:5], v[28:29], v[16:17]
	ds_read_b128 v[26:29], v46 offset:96
	s_waitcnt lgkmcnt(0)
	v_fma_f64 v[8:9], -v[0:1], v[26:27], v[8:9]
	v_fma_f64 v[26:27], -v[2:3], v[18:19], v[8:9]
	ds_read_b128 v[16:19], v46 offset:800
	s_waitcnt lgkmcnt(0)
	v_mul_f64 v[8:9], v[16:17], v[22:23]
	v_fma_f64 v[22:23], -v[8:9], v[18:19], v[47:48]
	ds_read_b128 v[16:19], v46 offset:816
	s_waitcnt lgkmcnt(0)
	v_fma_f64 v[38:39], -v[8:9], v[16:17], v[49:50]
	v_fma_f64 v[30:31], -v[8:9], v[18:19], v[30:31]
	ds_read_b128 v[16:19], v46 offset:832
	s_waitcnt lgkmcnt(0)
	v_fma_f64 v[47:48], -v[8:9], v[16:17], v[34:35]
	v_fma_f64 v[49:50], -v[8:9], v[18:19], v[12:13]
	ds_read2_b64 v[16:19], v46 offset0:83 offset1:84
	s_waitcnt lgkmcnt(0)
	v_fma_f64 v[12:13], -v[6:7], v[16:17], v[36:37]
	ds_read_b128 v[34:37], v46 offset:848
	s_waitcnt lgkmcnt(0)
	v_fma_f64 v[51:52], -v[8:9], v[34:35], v[51:52]
	v_fma_f64 v[53:54], -v[8:9], v[36:37], v[12:13]
	ds_read_b128 v[34:37], v46 offset:480
	s_waitcnt lgkmcnt(0)
	v_fma_f64 v[12:13], -v[4:5], v[34:35], v[26:27]
	v_fma_f64 v[34:35], -v[0:1], v[28:29], v[10:11]
	;; [unrolled: 1-line block ×3, first 2 shown]
	ds_read2_b64 v[10:13], v46 offset0:125 offset1:126
	ds_read2_b64 v[16:19], v46 offset0:127 offset1:128
	s_waitcnt lgkmcnt(1)
	v_mul_f64 v[10:11], v[10:11], v[22:23]
	s_waitcnt lgkmcnt(0)
	v_fma_f64 v[22:23], -v[10:11], v[16:17], v[30:31]
	v_fma_f64 v[30:31], -v[10:11], v[18:19], v[47:48]
	ds_read2_b64 v[16:19], v46 offset0:129 offset1:130
	v_fma_f64 v[12:13], -v[10:11], v[12:13], v[38:39]
	s_waitcnt lgkmcnt(0)
	v_fma_f64 v[38:39], -v[10:11], v[16:17], v[49:50]
	v_fma_f64 v[47:48], -v[10:11], v[18:19], v[51:52]
	ds_read_b128 v[16:19], v46 offset:864
	s_waitcnt lgkmcnt(0)
	v_fma_f64 v[16:17], -v[8:9], v[16:17], v[26:27]
	ds_read2_b64 v[26:29], v46 offset0:131 offset1:132
	s_waitcnt lgkmcnt(0)
	v_fma_f64 v[49:50], -v[10:11], v[26:27], v[53:54]
	v_fma_f64 v[51:52], -v[10:11], v[28:29], v[16:17]
	ds_read2_b64 v[26:29], v46 offset0:37 offset1:38
	s_waitcnt lgkmcnt(0)
	v_fma_f64 v[16:17], -v[2:3], v[26:27], v[34:35]
	v_fma_f64 v[53:54], -v[4:5], v[36:37], v[16:17]
	ds_read_b128 v[34:37], v46 offset:1200
	s_waitcnt lgkmcnt(0)
	v_mul_f64 v[12:13], v[34:35], v[12:13]
	v_fma_f64 v[22:23], -v[12:13], v[36:37], v[22:23]
	ds_read_b128 v[34:37], v46 offset:1216
	s_waitcnt lgkmcnt(0)
	v_fma_f64 v[26:27], -v[12:13], v[34:35], v[30:31]
	v_fma_f64 v[30:31], -v[12:13], v[36:37], v[38:39]
	ds_read_b128 v[34:37], v46 offset:1232
	s_waitcnt lgkmcnt(0)
	v_fma_f64 v[38:39], -v[12:13], v[34:35], v[47:48]
	v_fma_f64 v[55:56], -v[12:13], v[36:37], v[49:50]
	ds_read_b128 v[34:37], v46 offset:112
	ds_read2_b64 v[47:50], v46 offset0:179 offset1:180
	s_waitcnt lgkmcnt(1)
	v_fma_f64 v[14:15], -v[0:1], v[34:35], v[14:15]
	v_fma_f64 v[34:35], -v[2:3], v[28:29], v[14:15]
	ds_read2_b64 v[14:17], v46 offset0:175 offset1:176
	s_waitcnt lgkmcnt(0)
	v_mul_f64 v[14:15], v[14:15], v[22:23]
	v_fma_f64 v[22:23], -v[14:15], v[16:17], v[26:27]
	ds_read2_b64 v[26:29], v46 offset0:177 offset1:178
	v_fma_f64 v[55:56], -v[14:15], v[47:48], v[55:56]
	s_waitcnt lgkmcnt(0)
	v_fma_f64 v[30:31], -v[14:15], v[26:27], v[30:31]
	v_fma_f64 v[38:39], -v[14:15], v[28:29], v[38:39]
	ds_read_b128 v[26:29], v46 offset:1248
	s_waitcnt lgkmcnt(0)
	v_fma_f64 v[16:17], -v[12:13], v[26:27], v[51:52]
	v_fma_f64 v[59:60], -v[14:15], v[49:50], v[16:17]
	ds_read2_b64 v[47:50], v46 offset0:85 offset1:86
	s_waitcnt lgkmcnt(0)
	v_fma_f64 v[16:17], -v[6:7], v[47:48], v[53:54]
	ds_read_b128 v[51:54], v46 offset:496
	v_fma_f64 v[26:27], -v[8:9], v[18:19], v[16:17]
	s_waitcnt lgkmcnt(0)
	v_fma_f64 v[16:17], -v[4:5], v[51:52], v[34:35]
	v_fma_f64 v[34:35], -v[6:7], v[49:50], v[16:17]
	ds_read2_b64 v[16:19], v46 offset0:133 offset1:134
	ds_read_b128 v[47:50], v46 offset:1616
	s_waitcnt lgkmcnt(1)
	v_fma_f64 v[16:17], -v[10:11], v[16:17], v[26:27]
	v_fma_f64 v[51:52], -v[12:13], v[28:29], v[16:17]
	ds_read_b128 v[26:29], v46 offset:880
	s_waitcnt lgkmcnt(0)
	v_fma_f64 v[16:17], -v[8:9], v[26:27], v[34:35]
	v_fma_f64 v[26:27], -v[10:11], v[18:19], v[16:17]
	ds_read_b128 v[16:19], v46 offset:1600
	s_waitcnt lgkmcnt(0)
	v_mul_f64 v[16:17], v[16:17], v[22:23]
	v_fma_f64 v[18:19], -v[16:17], v[18:19], v[30:31]
	v_fma_f64 v[22:23], -v[16:17], v[47:48], v[38:39]
	;; [unrolled: 1-line block ×3, first 2 shown]
	ds_read2_b64 v[47:50], v46 offset0:181 offset1:182
	ds_read_b128 v[55:58], v46 offset:1632
	s_waitcnt lgkmcnt(1)
	v_fma_f64 v[34:35], -v[14:15], v[47:48], v[51:52]
	s_waitcnt lgkmcnt(0)
	v_fma_f64 v[38:39], -v[16:17], v[55:56], v[59:60]
	v_mov_b32_e32 v47, s3
	v_fma_f64 v[59:60], -v[0:1], v[36:37], v[20:21]
	v_fma_f64 v[34:35], -v[16:17], v[57:58], v[34:35]
	ds_read_b128 v[55:58], v46 offset:1264
	s_waitcnt lgkmcnt(0)
	v_fma_f64 v[26:27], -v[12:13], v[55:56], v[26:27]
	v_fma_f64 v[26:27], -v[14:15], v[49:50], v[26:27]
	ds_read2_b64 v[48:51], v47 offset0:225 offset1:226
	s_waitcnt lgkmcnt(0)
	v_mul_f64 v[18:19], v[48:49], v[18:19]
	v_fma_f64 v[55:56], -v[18:19], v[50:51], v[22:23]
	ds_read2_b64 v[48:51], v46 offset0:227 offset1:228
	ds_read2_b64 v[20:23], v46 offset0:229 offset1:230
	s_waitcnt lgkmcnt(1)
	v_fma_f64 v[30:31], -v[18:19], v[48:49], v[30:31]
	v_fma_f64 v[38:39], -v[18:19], v[50:51], v[38:39]
	ds_read_b128 v[48:51], v46 offset:1648
	s_waitcnt lgkmcnt(0)
	v_fma_f64 v[26:27], -v[16:17], v[48:49], v[26:27]
	v_fma_f64 v[48:49], -v[18:19], v[20:21], v[34:35]
	ds_read2_b64 v[34:37], v46 offset0:39 offset1:40
	s_waitcnt lgkmcnt(0)
	v_fma_f64 v[20:21], -v[2:3], v[34:35], v[59:60]
	v_fma_f64 v[61:62], -v[18:19], v[22:23], v[26:27]
	;; [unrolled: 1-line block ×3, first 2 shown]
	ds_read_b128 v[20:23], v47 offset:2000
	s_waitcnt lgkmcnt(0)
	v_mul_f64 v[20:21], v[20:21], v[55:56]
	ds_read_b128 v[52:55], v46 offset:2016
	v_fma_f64 v[22:23], -v[20:21], v[22:23], v[30:31]
	s_waitcnt lgkmcnt(0)
	v_fma_f64 v[30:31], -v[20:21], v[52:53], v[38:39]
	v_fma_f64 v[34:35], -v[20:21], v[54:55], v[48:49]
	ds_read2_b64 v[52:55], v46 offset0:87 offset1:88
	s_waitcnt lgkmcnt(0)
	v_fma_f64 v[26:27], -v[6:7], v[52:53], v[26:27]
	v_fma_f64 v[38:39], -v[8:9], v[28:29], v[26:27]
	v_mov_b32_e32 v26, s6
	ds_read2_b64 v[26:29], v26 offset1:1
	s_add_i32 s6, s2, 0x8a8
	v_mov_b32_e32 v48, s6
	s_add_i32 s6, s3, 0xa28
	s_waitcnt lgkmcnt(0)
	v_mul_f64 v[22:23], v[26:27], v[22:23]
	v_fma_f64 v[30:31], -v[22:23], v[28:29], v[30:31]
	ds_read_b128 v[26:29], v46 offset:2032
	s_waitcnt lgkmcnt(0)
	v_fma_f64 v[26:27], -v[20:21], v[26:27], v[61:62]
	ds_read2_b64 v[59:62], v48 offset1:1
	s_waitcnt lgkmcnt(0)
	v_fma_f64 v[48:49], -v[22:23], v[59:60], v[34:35]
	v_fma_f64 v[63:64], -v[22:23], v[61:62], v[26:27]
	ds_read_b128 v[59:62], v46 offset:128
	s_waitcnt lgkmcnt(0)
	v_fma_f64 v[24:25], -v[0:1], v[59:60], v[24:25]
	v_fma_f64 v[34:35], -v[2:3], v[36:37], v[24:25]
	ds_read2_b64 v[24:27], v46 offset0:135 offset1:136
	s_waitcnt lgkmcnt(0)
	v_fma_f64 v[24:25], -v[10:11], v[24:25], v[38:39]
	ds_read_b128 v[36:39], v46 offset:512
	s_waitcnt lgkmcnt(0)
	v_fma_f64 v[34:35], -v[4:5], v[36:37], v[34:35]
	v_fma_f64 v[24:25], -v[12:13], v[57:58], v[24:25]
	;; [unrolled: 1-line block ×3, first 2 shown]
	ds_read2_b64 v[52:55], v46 offset0:183 offset1:184
	ds_read_b128 v[34:37], v46 offset:896
	s_waitcnt lgkmcnt(1)
	v_fma_f64 v[24:25], -v[14:15], v[52:53], v[24:25]
	v_fma_f64 v[52:53], -v[16:17], v[50:51], v[24:25]
	s_waitcnt lgkmcnt(0)
	v_fma_f64 v[24:25], -v[8:9], v[34:35], v[56:57]
	v_fma_f64 v[34:35], -v[10:11], v[26:27], v[24:25]
	ds_read_b128 v[24:27], v47 offset:2400
	s_waitcnt lgkmcnt(0)
	v_mul_f64 v[24:25], v[24:25], v[30:31]
	v_fma_f64 v[56:57], -v[24:25], v[26:27], v[48:49]
	ds_read2_b64 v[48:51], v46 offset0:231 offset1:232
	s_waitcnt lgkmcnt(0)
	v_fma_f64 v[26:27], -v[18:19], v[48:49], v[52:53]
	v_fma_f64 v[48:49], -v[20:21], v[28:29], v[26:27]
	ds_read_b128 v[28:31], v46 offset:1280
	s_waitcnt lgkmcnt(0)
	v_fma_f64 v[26:27], -v[12:13], v[28:29], v[34:35]
	v_fma_f64 v[65:66], -v[14:15], v[54:55], v[26:27]
	v_mov_b32_e32 v26, s6
	ds_read2_b64 v[26:29], v26 offset1:1
	ds_read_b128 v[52:55], v46 offset:2416
	s_add_i32 s6, s2, 0x8b8
	s_waitcnt lgkmcnt(1)
	v_mul_f64 v[26:27], v[26:27], v[56:57]
	s_waitcnt lgkmcnt(0)
	v_fma_f64 v[34:35], -v[24:25], v[52:53], v[63:64]
	v_fma_f64 v[52:53], -v[0:1], v[61:62], v[32:33]
	ds_read_b128 v[60:63], v47 offset:2800
	v_fma_f64 v[28:29], -v[26:27], v[28:29], v[34:35]
	v_mov_b32_e32 v34, s6
	ds_read2_b64 v[56:59], v34 offset1:1
	s_add_i32 s6, s2, 0xa38
	s_waitcnt lgkmcnt(0)
	v_fma_f64 v[34:35], -v[22:23], v[56:57], v[48:49]
	v_mul_f64 v[28:29], v[60:61], v[28:29]
	v_fma_f64 v[56:57], -v[24:25], v[54:55], v[34:35]
	ds_read_b128 v[32:35], v46 offset:1664
	s_waitcnt lgkmcnt(0)
	v_fma_f64 v[32:33], -v[16:17], v[32:33], v[65:66]
	ds_read_b128 v[64:67], v46 offset:2816
	v_fma_f64 v[32:33], -v[18:19], v[50:51], v[32:33]
	ds_read2_b64 v[48:51], v46 offset0:41 offset1:42
	s_waitcnt lgkmcnt(0)
	v_fma_f64 v[48:49], -v[2:3], v[48:49], v[52:53]
	v_fma_f64 v[38:39], -v[4:5], v[38:39], v[48:49]
	v_mov_b32_e32 v48, s6
	ds_read2_b64 v[52:55], v48 offset1:1
	s_add_i32 s6, s3, 0xbb8
	s_waitcnt lgkmcnt(0)
	v_fma_f64 v[48:49], -v[26:27], v[52:53], v[56:57]
	v_fma_f64 v[48:49], -v[28:29], v[62:63], v[48:49]
	ds_read_b128 v[60:63], v46 offset:2048
	s_waitcnt lgkmcnt(0)
	v_fma_f64 v[32:33], -v[20:21], v[60:61], v[32:33]
	v_fma_f64 v[32:33], -v[22:23], v[58:59], v[32:33]
	ds_read2_b64 v[56:59], v46 offset0:89 offset1:90
	s_waitcnt lgkmcnt(0)
	v_fma_f64 v[38:39], -v[6:7], v[56:57], v[38:39]
	v_fma_f64 v[56:57], -v[8:9], v[36:37], v[38:39]
	ds_read_b128 v[36:39], v46 offset:2432
	s_waitcnt lgkmcnt(0)
	v_fma_f64 v[32:33], -v[24:25], v[36:37], v[32:33]
	v_fma_f64 v[36:37], -v[26:27], v[54:55], v[32:33]
	ds_read2_b64 v[52:55], v46 offset0:137 offset1:138
	s_waitcnt lgkmcnt(0)
	v_fma_f64 v[32:33], -v[10:11], v[52:53], v[56:57]
	v_fma_f64 v[36:37], -v[28:29], v[64:65], v[36:37]
	;; [unrolled: 1-line block ×3, first 2 shown]
	v_mov_b32_e32 v30, s6
	ds_read2_b64 v[30:33], v30 offset1:1
	s_add_i32 s6, s2, 0x8c8
	s_waitcnt lgkmcnt(0)
	v_mul_f64 v[30:31], v[30:31], v[48:49]
	v_fma_f64 v[56:57], -v[30:31], v[32:33], v[36:37]
	v_fma_f64 v[32:33], -v[14:15], v[68:69], v[52:53]
	;; [unrolled: 1-line block ×3, first 2 shown]
	ds_read_b128 v[32:35], v46 offset:144
	s_waitcnt lgkmcnt(0)
	v_fma_f64 v[32:33], -v[0:1], v[32:33], v[44:45]
	v_fma_f64 v[44:45], -v[2:3], v[50:51], v[32:33]
	ds_read2_b64 v[48:51], v46 offset0:233 offset1:234
	s_waitcnt lgkmcnt(0)
	v_fma_f64 v[32:33], -v[18:19], v[48:49], v[36:37]
	v_fma_f64 v[48:49], -v[0:1], v[34:35], v[42:43]
	;; [unrolled: 1-line block ×3, first 2 shown]
	ds_read_b128 v[32:35], v46 offset:528
	s_waitcnt lgkmcnt(0)
	v_fma_f64 v[32:33], -v[4:5], v[32:33], v[44:45]
	ds_read2_b64 v[42:45], v46 offset0:43 offset1:91
	v_fma_f64 v[52:53], -v[6:7], v[58:59], v[32:33]
	s_waitcnt lgkmcnt(0)
	v_fma_f64 v[32:33], -v[2:3], v[42:43], v[48:49]
	v_fma_f64 v[42:43], -v[4:5], v[34:35], v[32:33]
	ds_read_b128 v[32:35], v46 offset:912
	s_waitcnt lgkmcnt(0)
	v_fma_f64 v[32:33], -v[8:9], v[32:33], v[52:53]
	v_fma_f64 v[48:49], -v[10:11], v[54:55], v[32:33]
	;; [unrolled: 1-line block ×3, first 2 shown]
	v_mov_b32_e32 v42, s6
	ds_read2_b64 v[42:45], v42 offset1:1
	s_add_i32 s6, s2, 0xa48
	s_addk_i32 s2, 0xbc8
	v_fma_f64 v[52:53], -v[8:9], v[34:35], v[32:33]
	ds_read_b128 v[32:35], v46 offset:1296
	s_waitcnt lgkmcnt(1)
	v_fma_f64 v[36:37], -v[22:23], v[42:43], v[36:37]
	s_waitcnt lgkmcnt(0)
	v_fma_f64 v[32:33], -v[12:13], v[32:33], v[48:49]
	v_fma_f64 v[42:43], -v[24:25], v[38:39], v[36:37]
	ds_read2_b64 v[36:39], v46 offset0:139 offset1:187
	v_fma_f64 v[48:49], -v[14:15], v[70:71], v[32:33]
	s_waitcnt lgkmcnt(0)
	v_fma_f64 v[32:33], -v[10:11], v[36:37], v[52:53]
	v_fma_f64 v[36:37], -v[12:13], v[34:35], v[32:33]
	ds_read_b128 v[32:35], v46 offset:1680
	s_waitcnt lgkmcnt(0)
	v_fma_f64 v[32:33], -v[16:17], v[32:33], v[48:49]
	v_fma_f64 v[48:49], -v[18:19], v[50:51], v[32:33]
	;; [unrolled: 1-line block ×3, first 2 shown]
	v_mov_b32_e32 v36, s6
	ds_read2_b64 v[36:39], v36 offset1:1
	s_waitcnt lgkmcnt(0)
	v_fma_f64 v[36:37], -v[26:27], v[36:37], v[42:43]
	v_fma_f64 v[50:51], -v[28:29], v[66:67], v[36:37]
	v_fma_f64 v[36:37], -v[16:17], v[34:35], v[32:33]
	ds_read_b128 v[32:35], v46 offset:2064
	s_waitcnt lgkmcnt(0)
	v_fma_f64 v[32:33], -v[20:21], v[32:33], v[48:49]
	v_fma_f64 v[48:49], -v[22:23], v[44:45], v[32:33]
	v_add_u32_e32 v32, 0x400, v46
	ds_read2_b64 v[42:45], v32 offset0:107 offset1:155
	s_waitcnt lgkmcnt(0)
	v_fma_f64 v[32:33], -v[18:19], v[42:43], v[36:37]
	v_fma_f64 v[36:37], -v[20:21], v[34:35], v[32:33]
	ds_read_b128 v[32:35], v46 offset:2448
	s_waitcnt lgkmcnt(0)
	v_fma_f64 v[32:33], -v[24:25], v[32:33], v[48:49]
	v_fma_f64 v[52:53], -v[22:23], v[44:45], v[36:37]
	ds_read_b128 v[42:45], v47 offset:3200
	v_fma_f64 v[48:49], -v[26:27], v[38:39], v[32:33]
	v_mov_b32_e32 v32, s2
	ds_read2_b64 v[36:39], v32 offset1:1
	s_waitcnt lgkmcnt(1)
	v_mul_f64 v[32:33], v[42:43], v[56:57]
	v_fma_f64 v[52:53], -v[24:25], v[34:35], v[52:53]
	s_add_i32 s2, s3, 0xd48
	s_waitcnt lgkmcnt(0)
	v_fma_f64 v[36:37], -v[30:31], v[36:37], v[50:51]
	v_fma_f64 v[50:51], -v[32:33], v[44:45], v[36:37]
	ds_read_b128 v[34:37], v46 offset:2832
	s_waitcnt lgkmcnt(0)
	v_fma_f64 v[34:35], -v[28:29], v[34:35], v[48:49]
	v_fma_f64 v[38:39], -v[30:31], v[38:39], v[34:35]
	v_add_u32_e32 v34, 0x800, v46
	ds_read2_b64 v[42:45], v34 offset0:75 offset1:123
	s_waitcnt lgkmcnt(0)
	v_fma_f64 v[34:35], -v[26:27], v[42:43], v[52:53]
	v_fma_f64 v[42:43], -v[28:29], v[36:37], v[34:35]
	v_mov_b32_e32 v34, s2
	ds_read2_b64 v[34:37], v34 offset1:1
	s_mul_i32 s2, s5, 0xc8
	v_fma_f64 v[48:49], -v[30:31], v[44:45], v[42:43]
	ds_read_b128 v[42:45], v46 offset:3216
	s_waitcnt lgkmcnt(1)
	v_mul_f64 v[34:35], v[34:35], v[50:51]
	s_waitcnt lgkmcnt(0)
	v_fma_f64 v[38:39], -v[32:33], v[42:43], v[38:39]
	v_fma_f64 v[44:45], -v[32:33], v[44:45], v[48:49]
	;; [unrolled: 1-line block ×3, first 2 shown]
	ds_read_b128 v[36:39], v47 offset:3600
	ds_read_b64 v[46:47], v46 offset:3416
	s_waitcnt lgkmcnt(1)
	v_mul_f64 v[36:37], v[36:37], v[42:43]
	s_waitcnt lgkmcnt(0)
	v_fma_f64 v[42:43], -v[34:35], v[46:47], v[44:45]
	v_fma_f64 v[38:39], -v[36:37], v[38:39], v[42:43]
	v_mov_b32_e32 v42, s2
	ds_read_b64 v[42:43], v42
	global_store_dwordx4 v[40:41], v[0:3], off
	global_store_dwordx4 v[40:41], v[4:7], off offset:16
	s_waitcnt lgkmcnt(0)
	v_mul_f64 v[38:39], v[42:43], v[38:39]
	global_store_dwordx4 v[40:41], v[8:11], off offset:32
	global_store_dwordx4 v[40:41], v[12:15], off offset:48
	;; [unrolled: 1-line block ×8, first 2 shown]
.LBB95_39:
	s_cmp_ge_i32 s4, s22
	s_cbranch_scc1 .LBB95_44
; %bb.40:
	s_lshl_b32 s2, s4, 3
	s_mov_b32 s5, 0
	s_branch .LBB95_42
.LBB95_41:                              ;   in Loop: Header=BB95_42 Depth=1
	s_mul_i32 s3, s4, 0xc8
	v_mov_b32_e32 v4, s3
	ds_read_b64 v[4:5], v4
	s_add_i32 s4, s4, 1
	s_add_i32 s2, s2, 8
	s_cmp_ge_i32 s4, s22
	s_waitcnt lgkmcnt(0)
	v_mul_f64 v[2:3], v[4:5], v[2:3]
	global_store_dwordx2 v[0:1], v[2:3], off
	s_cbranch_scc1 .LBB95_44
.LBB95_42:                              ; =>This Loop Header: Depth=1
                                        ;     Child Loop BB95_43 Depth 2
	s_lshl_b64 s[6:7], s[4:5], 3
	v_mov_b32_e32 v1, s7
	v_add_co_u32_e32 v0, vcc, s6, v72
	v_addc_co_u32_e32 v1, vcc, v73, v1, vcc
	global_load_dwordx2 v[2:3], v[0:1], off
	v_mov_b32_e32 v4, v72
	s_cmp_eq_u32 s4, 0
	v_mov_b32_e32 v5, v73
	s_mov_b32 s3, s2
	s_mov_b32 s6, s4
	s_waitcnt vmcnt(0)
	v_mul_f64 v[2:3], s[0:1], v[2:3]
	s_cbranch_scc1 .LBB95_41
.LBB95_43:                              ;   Parent Loop BB95_42 Depth=1
                                        ; =>  This Inner Loop Header: Depth=2
	global_load_dwordx2 v[6:7], v[4:5], off
	v_mov_b32_e32 v8, s3
	ds_read_b64 v[8:9], v8
	s_add_i32 s6, s6, -1
	s_addk_i32 s3, 0xc0
	v_add_co_u32_e32 v4, vcc, 8, v4
	s_cmp_lg_u32 s6, 0
	v_addc_co_u32_e32 v5, vcc, 0, v5, vcc
	s_waitcnt vmcnt(0) lgkmcnt(0)
	v_fma_f64 v[2:3], -v[6:7], v[8:9], v[2:3]
	s_cbranch_scc1 .LBB95_43
	s_branch .LBB95_41
.LBB95_44:
	s_endpgm
	.section	.rodata,"a",@progbits
	.p2align	6, 0x0
	.amdhsa_kernel _ZL30rocblas_trsm_small_left_deviceILi24ELi24ELb1EddPKdPdEv13rocblas_fill_18rocblas_operation_17rocblas_diagonal_iiT3_T4_lilT5_lili
		.amdhsa_group_segment_fixed_size 4608
		.amdhsa_private_segment_fixed_size 0
		.amdhsa_kernarg_size 360
		.amdhsa_user_sgpr_count 6
		.amdhsa_user_sgpr_private_segment_buffer 1
		.amdhsa_user_sgpr_dispatch_ptr 0
		.amdhsa_user_sgpr_queue_ptr 0
		.amdhsa_user_sgpr_kernarg_segment_ptr 1
		.amdhsa_user_sgpr_dispatch_id 0
		.amdhsa_user_sgpr_flat_scratch_init 0
		.amdhsa_user_sgpr_private_segment_size 0
		.amdhsa_uses_dynamic_stack 0
		.amdhsa_system_sgpr_private_segment_wavefront_offset 0
		.amdhsa_system_sgpr_workgroup_id_x 1
		.amdhsa_system_sgpr_workgroup_id_y 0
		.amdhsa_system_sgpr_workgroup_id_z 1
		.amdhsa_system_sgpr_workgroup_info 0
		.amdhsa_system_vgpr_workitem_id 0
		.amdhsa_next_free_vgpr 115
		.amdhsa_next_free_sgpr 98
		.amdhsa_reserve_vcc 1
		.amdhsa_reserve_flat_scratch 0
		.amdhsa_float_round_mode_32 0
		.amdhsa_float_round_mode_16_64 0
		.amdhsa_float_denorm_mode_32 3
		.amdhsa_float_denorm_mode_16_64 3
		.amdhsa_dx10_clamp 1
		.amdhsa_ieee_mode 1
		.amdhsa_fp16_overflow 0
		.amdhsa_exception_fp_ieee_invalid_op 0
		.amdhsa_exception_fp_denorm_src 0
		.amdhsa_exception_fp_ieee_div_zero 0
		.amdhsa_exception_fp_ieee_overflow 0
		.amdhsa_exception_fp_ieee_underflow 0
		.amdhsa_exception_fp_ieee_inexact 0
		.amdhsa_exception_int_div_zero 0
	.end_amdhsa_kernel
	.section	.text._ZL30rocblas_trsm_small_left_deviceILi24ELi24ELb1EddPKdPdEv13rocblas_fill_18rocblas_operation_17rocblas_diagonal_iiT3_T4_lilT5_lili,"axG",@progbits,_ZL30rocblas_trsm_small_left_deviceILi24ELi24ELb1EddPKdPdEv13rocblas_fill_18rocblas_operation_17rocblas_diagonal_iiT3_T4_lilT5_lili,comdat
.Lfunc_end95:
	.size	_ZL30rocblas_trsm_small_left_deviceILi24ELi24ELb1EddPKdPdEv13rocblas_fill_18rocblas_operation_17rocblas_diagonal_iiT3_T4_lilT5_lili, .Lfunc_end95-_ZL30rocblas_trsm_small_left_deviceILi24ELi24ELb1EddPKdPdEv13rocblas_fill_18rocblas_operation_17rocblas_diagonal_iiT3_T4_lilT5_lili
                                        ; -- End function
	.set _ZL30rocblas_trsm_small_left_deviceILi24ELi24ELb1EddPKdPdEv13rocblas_fill_18rocblas_operation_17rocblas_diagonal_iiT3_T4_lilT5_lili.num_vgpr, 115
	.set _ZL30rocblas_trsm_small_left_deviceILi24ELi24ELb1EddPKdPdEv13rocblas_fill_18rocblas_operation_17rocblas_diagonal_iiT3_T4_lilT5_lili.num_agpr, 0
	.set _ZL30rocblas_trsm_small_left_deviceILi24ELi24ELb1EddPKdPdEv13rocblas_fill_18rocblas_operation_17rocblas_diagonal_iiT3_T4_lilT5_lili.numbered_sgpr, 27
	.set _ZL30rocblas_trsm_small_left_deviceILi24ELi24ELb1EddPKdPdEv13rocblas_fill_18rocblas_operation_17rocblas_diagonal_iiT3_T4_lilT5_lili.num_named_barrier, 0
	.set _ZL30rocblas_trsm_small_left_deviceILi24ELi24ELb1EddPKdPdEv13rocblas_fill_18rocblas_operation_17rocblas_diagonal_iiT3_T4_lilT5_lili.private_seg_size, 0
	.set _ZL30rocblas_trsm_small_left_deviceILi24ELi24ELb1EddPKdPdEv13rocblas_fill_18rocblas_operation_17rocblas_diagonal_iiT3_T4_lilT5_lili.uses_vcc, 1
	.set _ZL30rocblas_trsm_small_left_deviceILi24ELi24ELb1EddPKdPdEv13rocblas_fill_18rocblas_operation_17rocblas_diagonal_iiT3_T4_lilT5_lili.uses_flat_scratch, 0
	.set _ZL30rocblas_trsm_small_left_deviceILi24ELi24ELb1EddPKdPdEv13rocblas_fill_18rocblas_operation_17rocblas_diagonal_iiT3_T4_lilT5_lili.has_dyn_sized_stack, 0
	.set _ZL30rocblas_trsm_small_left_deviceILi24ELi24ELb1EddPKdPdEv13rocblas_fill_18rocblas_operation_17rocblas_diagonal_iiT3_T4_lilT5_lili.has_recursion, 0
	.set _ZL30rocblas_trsm_small_left_deviceILi24ELi24ELb1EddPKdPdEv13rocblas_fill_18rocblas_operation_17rocblas_diagonal_iiT3_T4_lilT5_lili.has_indirect_call, 0
	.section	.AMDGPU.csdata,"",@progbits
; Kernel info:
; codeLenInByte = 20004
; TotalNumSgprs: 31
; NumVgprs: 115
; ScratchSize: 0
; MemoryBound: 1
; FloatMode: 240
; IeeeMode: 1
; LDSByteSize: 4608 bytes/workgroup (compile time only)
; SGPRBlocks: 12
; VGPRBlocks: 28
; NumSGPRsForWavesPerEU: 102
; NumVGPRsForWavesPerEU: 115
; Occupancy: 2
; WaveLimiterHint : 1
; COMPUTE_PGM_RSRC2:SCRATCH_EN: 0
; COMPUTE_PGM_RSRC2:USER_SGPR: 6
; COMPUTE_PGM_RSRC2:TRAP_HANDLER: 0
; COMPUTE_PGM_RSRC2:TGID_X_EN: 1
; COMPUTE_PGM_RSRC2:TGID_Y_EN: 0
; COMPUTE_PGM_RSRC2:TGID_Z_EN: 1
; COMPUTE_PGM_RSRC2:TIDIG_COMP_CNT: 0
	.section	.text._ZL31rocblas_trsm_small_right_deviceIddPKdPdLi24EEv13rocblas_fill_18rocblas_operation_17rocblas_diagonal_iiT0_T1_lilT2_lili,"axG",@progbits,_ZL31rocblas_trsm_small_right_deviceIddPKdPdLi24EEv13rocblas_fill_18rocblas_operation_17rocblas_diagonal_iiT0_T1_lilT2_lili,comdat
	.globl	_ZL31rocblas_trsm_small_right_deviceIddPKdPdLi24EEv13rocblas_fill_18rocblas_operation_17rocblas_diagonal_iiT0_T1_lilT2_lili ; -- Begin function _ZL31rocblas_trsm_small_right_deviceIddPKdPdLi24EEv13rocblas_fill_18rocblas_operation_17rocblas_diagonal_iiT0_T1_lilT2_lili
	.p2align	8
	.type	_ZL31rocblas_trsm_small_right_deviceIddPKdPdLi24EEv13rocblas_fill_18rocblas_operation_17rocblas_diagonal_iiT0_T1_lilT2_lili,@function
_ZL31rocblas_trsm_small_right_deviceIddPKdPdLi24EEv13rocblas_fill_18rocblas_operation_17rocblas_diagonal_iiT0_T1_lilT2_lili: ; @_ZL31rocblas_trsm_small_right_deviceIddPKdPdLi24EEv13rocblas_fill_18rocblas_operation_17rocblas_diagonal_iiT0_T1_lilT2_lili
; %bb.0:
	s_load_dwordx4 s[8:11], s[4:5], 0x0
	s_load_dword s22, s[4:5], 0x10
	s_load_dwordx4 s[12:15], s[4:5], 0x18
	s_load_dwordx2 s[20:21], s[4:5], 0x28
	s_load_dwordx4 s[0:3], s[4:5], 0x38
	s_load_dwordx2 s[16:17], s[4:5], 0x48
	s_waitcnt lgkmcnt(0)
	s_min_i32 s23, s22, 24
	v_cmp_gt_i32_e32 vcc, s23, v0
	s_and_saveexec_b64 s[18:19], vcc
	s_cbranch_execz .LBB96_5
; %bb.1:
	s_load_dword s24, s[4:5], 0x30
	s_mul_i32 s1, s1, s7
	s_mul_hi_u32 s25, s0, s7
	s_mul_i32 s0, s0, s7
	s_add_i32 s1, s25, s1
	s_waitcnt lgkmcnt(0)
	s_ashr_i32 s25, s24, 31
	s_lshl_b64 s[0:1], s[0:1], 3
	s_add_u32 s14, s14, s0
	s_addc_u32 s15, s15, s1
	s_lshl_b64 s[0:1], s[20:21], 3
	s_add_u32 s0, s14, s0
	s_addc_u32 s1, s15, s1
	v_lshlrev_b32_e32 v3, 3, v0
	v_mov_b32_e32 v2, s1
	v_add_co_u32_e32 v1, vcc, s0, v3
	s_lshl_b64 s[0:1], s[24:25], 3
	v_addc_co_u32_e32 v2, vcc, 0, v2, vcc
	v_mov_b32_e32 v4, s1
	v_mov_b32_e32 v5, v3
	s_mov_b32 s1, s23
.LBB96_2:                               ; =>This Inner Loop Header: Depth=1
	global_load_dwordx2 v[6:7], v[1:2], off
	v_add_co_u32_e32 v1, vcc, s0, v1
	s_add_i32 s1, s1, -1
	v_addc_co_u32_e32 v2, vcc, v2, v4, vcc
	s_cmp_eq_u32 s1, 0
	s_waitcnt vmcnt(0)
	ds_write_b64 v5, v[6:7]
	v_add_u32_e32 v5, 0xc0, v5
	s_cbranch_scc0 .LBB96_2
; %bb.3:
	s_cmpk_eq_i32 s10, 0x84
	s_cbranch_scc0 .LBB96_5
; %bb.4:
	s_movk_i32 s0, 0xc0
	v_mad_u32_u24 v3, v0, s0, v3
	v_mov_b32_e32 v1, 0
	v_mov_b32_e32 v2, 0x3ff00000
	ds_write_b64 v3, v[1:2]
.LBB96_5:
	s_or_b64 exec, exec, s[18:19]
	s_load_dword s0, s[4:5], 0x68
	s_load_dwordx2 s[14:15], s[4:5], 0x58
	s_load_dword s10, s[4:5], 0x50
	s_waitcnt lgkmcnt(0)
	s_mul_i32 s1, s15, s7
	s_mul_hi_u32 s5, s14, s7
	s_mul_i32 s4, s14, s7
	s_add_i32 s5, s5, s1
	s_lshl_b64 s[4:5], s[4:5], 3
	s_add_u32 s1, s2, s4
	s_addc_u32 s4, s3, s5
	s_lshl_b64 s[2:3], s[16:17], 3
	s_add_u32 s1, s1, s2
	s_addc_u32 s2, s4, s3
	s_mul_i32 s3, s6, 0xffffffe8
	s_add_i32 s0, s0, -1
	s_add_i32 s3, s11, s3
	s_cmp_ge_u32 s6, s0
	s_cselect_b32 s0, s3, 24
	s_mul_hi_i32 s3, s6, 0xc0
	s_mulk_i32 s6, 0xc0
	s_add_u32 s14, s1, s6
	s_addc_u32 s15, s2, s3
	v_cmp_gt_i32_e64 s[0:1], s0, v0
	s_and_saveexec_b64 s[2:3], s[0:1]
	s_cbranch_execz .LBB96_9
; %bb.6:
	s_cmp_lt_i32 s22, 1
	s_cbranch_scc1 .LBB96_9
; %bb.7:
	s_ashr_i32 s11, s10, 31
	v_lshlrev_b32_e32 v3, 3, v0
	v_mov_b32_e32 v2, s15
	v_add_co_u32_e32 v1, vcc, s14, v3
	s_lshl_b64 s[4:5], s[10:11], 3
	v_addc_co_u32_e32 v2, vcc, 0, v2, vcc
	v_or_b32_e32 v3, 0x1200, v3
	v_mov_b32_e32 v4, s5
	s_mov_b32 s5, s22
.LBB96_8:                               ; =>This Inner Loop Header: Depth=1
	global_load_dwordx2 v[5:6], v[1:2], off
	s_add_i32 s5, s5, -1
	v_add_co_u32_e32 v1, vcc, s4, v1
	v_addc_co_u32_e32 v2, vcc, v2, v4, vcc
	s_cmp_lg_u32 s5, 0
	s_waitcnt vmcnt(0)
	v_mul_f64 v[5:6], s[12:13], v[5:6]
	ds_write_b64 v3, v[5:6]
	v_add_u32_e32 v3, 0xc0, v3
	s_cbranch_scc1 .LBB96_8
.LBB96_9:
	s_or_b64 exec, exec, s[2:3]
	s_cmpk_eq_i32 s9, 0x6f
	s_cselect_b64 s[2:3], -1, 0
	s_cmpk_lg_i32 s8, 0x79
	s_cselect_b64 s[4:5], -1, 0
	s_cmpk_eq_i32 s8, 0x79
	s_cselect_b64 s[6:7], -1, 0
	s_and_b64 s[6:7], s[6:7], s[2:3]
	s_andn2_b64 vcc, exec, s[6:7]
	s_mov_b64 s[6:7], -1
	s_waitcnt lgkmcnt(0)
	; wave barrier
	s_cbranch_vccz .LBB96_66
; %bb.10:
	s_cmpk_lg_i32 s8, 0x7a
	s_cselect_b64 s[12:13], -1, 0
	s_xor_b64 s[2:3], s[2:3], -1
	s_add_i32 s8, s23, -1
	s_or_b64 s[12:13], s[12:13], s[2:3]
	v_mov_b32_e32 v1, 0x1200
	s_cmp_gt_i32 s22, 3
	v_lshl_or_b32 v9, v0, 3, v1
	s_cselect_b64 s[2:3], -1, 0
	s_and_b64 vcc, exec, s[12:13]
	s_cbranch_vccz .LBB96_45
; %bb.11:
	s_andn2_b64 vcc, exec, s[4:5]
	s_mov_b64 s[4:5], -1
	s_cbranch_vccnz .LBB96_24
; %bb.12:
	s_andn2_b64 vcc, exec, s[2:3]
	s_mov_b32 s6, 0
	s_cbranch_vccnz .LBB96_18
; %bb.13:
	v_mov_b32_e32 v1, 0x1200
	v_lshl_or_b32 v10, v0, 3, v1
	s_mov_b32 s4, 0
	s_mov_b32 s5, 0
.LBB96_14:                              ; =>This Loop Header: Depth=1
                                        ;     Child Loop BB96_15 Depth 2
	s_or_b32 s7, s5, 3
	s_mul_i32 s6, s5, 0xc0
	v_add_u32_e32 v11, s6, v9
	s_mulk_i32 s7, 0xc0
	ds_read2_b64 v[1:4], v11 offset1:24
	v_add_u32_e32 v12, s7, v9
	ds_read_b64 v[7:8], v11 offset:384
	ds_read_b64 v[5:6], v12
	s_cmp_eq_u32 s5, 0
	v_mov_b32_e32 v13, v10
	s_mov_b32 s7, s4
	s_mov_b32 s9, s5
	s_cbranch_scc1 .LBB96_16
.LBB96_15:                              ;   Parent Loop BB96_14 Depth=1
                                        ; =>  This Inner Loop Header: Depth=2
	v_mov_b32_e32 v18, s7
	ds_read_b64 v[22:23], v13
	ds_read_b128 v[14:17], v18
	ds_read_b128 v[18:21], v18 offset:16
	s_add_i32 s9, s9, -1
	s_addk_i32 s7, 0xc0
	s_cmp_eq_u32 s9, 0
	s_waitcnt lgkmcnt(1)
	v_fma_f64 v[1:2], -v[22:23], v[14:15], v[1:2]
	v_fma_f64 v[3:4], -v[22:23], v[16:17], v[3:4]
	s_waitcnt lgkmcnt(0)
	v_fma_f64 v[7:8], -v[22:23], v[18:19], v[7:8]
	v_fma_f64 v[5:6], -v[22:23], v[20:21], v[5:6]
	v_add_u32_e32 v13, 0xc0, v13
	s_cbranch_scc0 .LBB96_15
.LBB96_16:                              ;   in Loop: Header=BB96_14 Depth=1
	s_lshl_b32 s9, s5, 3
	s_add_i32 s11, s9, s6
	v_mov_b32_e32 v33, s11
	ds_read_b128 v[13:16], v33
	ds_read_b128 v[17:20], v33 offset:16
	s_addk_i32 s11, 0xc8
	s_add_i32 s4, s4, 32
	s_waitcnt lgkmcnt(1)
	v_div_scale_f64 v[21:22], s[6:7], v[13:14], v[13:14], v[1:2]
	v_rcp_f64_e32 v[23:24], v[21:22]
	v_fma_f64 v[25:26], -v[21:22], v[23:24], 1.0
	v_fma_f64 v[23:24], v[23:24], v[25:26], v[23:24]
	v_div_scale_f64 v[25:26], vcc, v[1:2], v[13:14], v[1:2]
	v_fma_f64 v[27:28], -v[21:22], v[23:24], 1.0
	v_fma_f64 v[23:24], v[23:24], v[27:28], v[23:24]
	v_mul_f64 v[27:28], v[25:26], v[23:24]
	v_fma_f64 v[21:22], -v[21:22], v[27:28], v[25:26]
	v_div_fmas_f64 v[21:22], v[21:22], v[23:24], v[27:28]
	v_div_fixup_f64 v[21:22], v[21:22], v[13:14], v[1:2]
	v_fma_f64 v[23:24], -v[21:22], v[15:16], v[3:4]
	ds_read2_b64 v[1:4], v33 offset0:25 offset1:26
	ds_read_b128 v[13:16], v33 offset:400
	s_waitcnt lgkmcnt(2)
	v_fma_f64 v[7:8], -v[21:22], v[17:18], v[7:8]
	v_fma_f64 v[5:6], -v[21:22], v[19:20], v[5:6]
	s_waitcnt lgkmcnt(1)
	v_div_scale_f64 v[25:26], s[6:7], v[1:2], v[1:2], v[23:24]
	v_rcp_f64_e32 v[27:28], v[25:26]
	v_fma_f64 v[29:30], -v[25:26], v[27:28], 1.0
	v_fma_f64 v[27:28], v[27:28], v[29:30], v[27:28]
	v_div_scale_f64 v[29:30], vcc, v[23:24], v[1:2], v[23:24]
	v_fma_f64 v[31:32], -v[25:26], v[27:28], 1.0
	v_fma_f64 v[27:28], v[27:28], v[31:32], v[27:28]
	v_mul_f64 v[31:32], v[29:30], v[27:28]
	v_fma_f64 v[25:26], -v[25:26], v[31:32], v[29:30]
	v_div_fmas_f64 v[25:26], v[25:26], v[27:28], v[31:32]
	v_div_fixup_f64 v[1:2], v[25:26], v[1:2], v[23:24]
	v_fma_f64 v[3:4], -v[1:2], v[3:4], v[7:8]
	s_waitcnt lgkmcnt(0)
	v_div_scale_f64 v[7:8], s[6:7], v[13:14], v[13:14], v[3:4]
	s_or_b32 s6, s9, 8
	s_sub_i32 s6, s11, s6
	s_add_i32 s6, s6, s9
	v_rcp_f64_e32 v[17:18], v[7:8]
	v_fma_f64 v[23:24], -v[7:8], v[17:18], 1.0
	v_fma_f64 v[17:18], v[17:18], v[23:24], v[17:18]
	v_div_scale_f64 v[23:24], vcc, v[3:4], v[13:14], v[3:4]
	v_fma_f64 v[25:26], -v[7:8], v[17:18], 1.0
	v_fma_f64 v[17:18], v[17:18], v[25:26], v[17:18]
	v_mul_f64 v[25:26], v[23:24], v[17:18]
	v_fma_f64 v[7:8], -v[7:8], v[25:26], v[23:24]
	v_div_fmas_f64 v[7:8], v[7:8], v[17:18], v[25:26]
	v_mov_b32_e32 v17, s6
	ds_read_b64 v[17:18], v17 offset:24
	ds_read_b64 v[19:20], v33 offset:600
	s_waitcnt lgkmcnt(1)
	v_fma_f64 v[5:6], -v[1:2], v[17:18], v[5:6]
	v_div_fixup_f64 v[3:4], v[7:8], v[13:14], v[3:4]
	ds_write2_b64 v11, v[21:22], v[1:2] offset1:24
	ds_write_b64 v11, v[3:4] offset:384
	v_fma_f64 v[5:6], -v[3:4], v[15:16], v[5:6]
	s_waitcnt lgkmcnt(2)
	v_div_scale_f64 v[7:8], s[6:7], v[19:20], v[19:20], v[5:6]
	v_div_scale_f64 v[17:18], vcc, v[5:6], v[19:20], v[5:6]
	s_add_i32 s6, s5, 4
	s_add_i32 s5, s5, 7
	s_cmp_ge_i32 s5, s23
	v_rcp_f64_e32 v[13:14], v[7:8]
	v_fma_f64 v[15:16], -v[7:8], v[13:14], 1.0
	v_fma_f64 v[13:14], v[13:14], v[15:16], v[13:14]
	v_fma_f64 v[15:16], -v[7:8], v[13:14], 1.0
	v_fma_f64 v[13:14], v[13:14], v[15:16], v[13:14]
	v_mul_f64 v[15:16], v[17:18], v[13:14]
	v_fma_f64 v[7:8], -v[7:8], v[15:16], v[17:18]
	v_div_fmas_f64 v[7:8], v[7:8], v[13:14], v[15:16]
	v_div_fixup_f64 v[5:6], v[7:8], v[19:20], v[5:6]
	ds_write_b64 v12, v[5:6]
	s_cbranch_scc1 .LBB96_18
; %bb.17:                               ;   in Loop: Header=BB96_14 Depth=1
	s_mov_b32 s5, s6
	s_branch .LBB96_14
.LBB96_18:
	s_cmp_ge_i32 s6, s23
	s_cbranch_scc1 .LBB96_23
; %bb.19:
	v_mov_b32_e32 v1, 0x1200
	s_lshl_b32 s4, s6, 3
	v_lshl_or_b32 v3, v0, 3, v1
	s_branch .LBB96_21
.LBB96_20:                              ;   in Loop: Header=BB96_21 Depth=1
	s_lshl_b32 s7, s6, 3
	s_add_i32 s5, s7, s5
	v_mov_b32_e32 v5, s5
	ds_read_b64 v[5:6], v5
	s_add_i32 s6, s6, 1
	s_add_i32 s4, s4, 8
	s_cmp_ge_i32 s6, s23
	s_waitcnt lgkmcnt(0)
	v_div_scale_f64 v[7:8], s[12:13], v[5:6], v[5:6], v[1:2]
	v_div_scale_f64 v[14:15], vcc, v[1:2], v[5:6], v[1:2]
	v_rcp_f64_e32 v[10:11], v[7:8]
	v_fma_f64 v[12:13], -v[7:8], v[10:11], 1.0
	v_fma_f64 v[10:11], v[10:11], v[12:13], v[10:11]
	v_fma_f64 v[12:13], -v[7:8], v[10:11], 1.0
	v_fma_f64 v[10:11], v[10:11], v[12:13], v[10:11]
	v_mul_f64 v[12:13], v[14:15], v[10:11]
	v_fma_f64 v[7:8], -v[7:8], v[12:13], v[14:15]
	v_div_fmas_f64 v[7:8], v[7:8], v[10:11], v[12:13]
	v_div_fixup_f64 v[1:2], v[7:8], v[5:6], v[1:2]
	ds_write_b64 v4, v[1:2]
	s_cbranch_scc1 .LBB96_23
.LBB96_21:                              ; =>This Loop Header: Depth=1
                                        ;     Child Loop BB96_22 Depth 2
	s_mul_i32 s5, s6, 0xc0
	v_add_u32_e32 v4, s5, v9
	ds_read_b64 v[1:2], v4
	s_cmp_eq_u32 s6, 0
	v_mov_b32_e32 v5, v3
	s_mov_b32 s7, s4
	s_mov_b32 s9, s6
	s_cbranch_scc1 .LBB96_20
.LBB96_22:                              ;   Parent Loop BB96_21 Depth=1
                                        ; =>  This Inner Loop Header: Depth=2
	v_mov_b32_e32 v8, s7
	ds_read_b64 v[6:7], v5
	ds_read_b64 v[10:11], v8
	s_add_i32 s9, s9, -1
	s_addk_i32 s7, 0xc0
	s_cmp_eq_u32 s9, 0
	v_add_u32_e32 v5, 0xc0, v5
	s_waitcnt lgkmcnt(0)
	v_fma_f64 v[1:2], -v[6:7], v[10:11], v[1:2]
	s_cbranch_scc0 .LBB96_22
	s_branch .LBB96_20
.LBB96_23:
	s_mov_b64 s[4:5], 0
.LBB96_24:
	s_and_b64 vcc, exec, s[4:5]
	s_cbranch_vccz .LBB96_44
; %bb.25:
	s_andn2_b64 vcc, exec, s[2:3]
	s_mov_b32 s6, s8
	s_cbranch_vccnz .LBB96_31
; %bb.26:
	s_mul_i32 s5, s23, 0xc0
	s_mul_i32 s4, s23, 0xc8
	v_lshl_add_u32 v1, v0, 3, s5
	s_addk_i32 s4, 0xff20
	v_add_u32_e32 v10, 0x1140, v1
	s_mov_b32 s5, s8
.LBB96_27:                              ; =>This Loop Header: Depth=1
                                        ;     Child Loop BB96_28 Depth 2
	s_mul_i32 s6, s5, 0xc0
	v_add_u32_e32 v11, s6, v9
	s_add_i32 s7, s6, 0xfffffdc0
	v_add_u32_e32 v13, 0xffffff40, v11
	v_add_u32_e32 v14, 0xfffffe80, v11
	;; [unrolled: 1-line block ×3, first 2 shown]
	ds_read_b64 v[7:8], v11
	ds_read_b64 v[5:6], v13
	;; [unrolled: 1-line block ×4, first 2 shown]
	s_cmp_le_i32 s8, s5
	v_mov_b32_e32 v15, v10
	s_mov_b32 s9, s4
	s_mov_b32 s11, s8
	s_cbranch_scc1 .LBB96_29
.LBB96_28:                              ;   Parent Loop BB96_27 Depth=1
                                        ; =>  This Inner Loop Header: Depth=2
	v_mov_b32_e32 v20, s9
	ds_read_b64 v[24:25], v15
	ds_read2_b64 v[16:19], v20 offset0:2 offset1:3
	ds_read2_b64 v[20:23], v20 offset1:1
	s_add_i32 s11, s11, -1
	s_addk_i32 s9, 0xff40
	s_cmp_le_i32 s11, s5
	s_waitcnt lgkmcnt(1)
	v_fma_f64 v[7:8], -v[24:25], v[18:19], v[7:8]
	v_fma_f64 v[5:6], -v[24:25], v[16:17], v[5:6]
	s_waitcnt lgkmcnt(0)
	v_fma_f64 v[3:4], -v[24:25], v[22:23], v[3:4]
	v_fma_f64 v[1:2], -v[24:25], v[20:21], v[1:2]
	v_add_u32_e32 v15, 0xffffff40, v15
	s_cbranch_scc0 .LBB96_28
.LBB96_29:                              ;   in Loop: Header=BB96_27 Depth=1
	s_lshl_b32 s11, s5, 3
	s_add_i32 s16, s11, s6
	s_add_i32 s12, s16, -8
	v_mov_b32_e32 v15, s12
	ds_read2_b64 v[15:18], v15 offset1:1
	s_add_i32 s12, s16, 0xffffff38
	v_mov_b32_e32 v19, s12
	ds_read_b64 v[19:20], v19
	s_add_i32 s9, s5, -3
	s_waitcnt lgkmcnt(1)
	v_div_scale_f64 v[21:22], s[12:13], v[17:18], v[17:18], v[7:8]
	s_lshl_b32 s9, s9, 3
	s_add_i32 s6, s6, s9
	s_add_i32 s9, s6, 0xffffff40
	s_addk_i32 s6, 0xfe80
	s_add_i32 s11, s11, s7
	s_sub_i32 s4, s4, 32
	v_rcp_f64_e32 v[23:24], v[21:22]
	v_fma_f64 v[25:26], -v[21:22], v[23:24], 1.0
	v_fma_f64 v[23:24], v[23:24], v[25:26], v[23:24]
	v_div_scale_f64 v[25:26], vcc, v[7:8], v[17:18], v[7:8]
	v_fma_f64 v[27:28], -v[21:22], v[23:24], 1.0
	v_fma_f64 v[23:24], v[23:24], v[27:28], v[23:24]
	v_mul_f64 v[27:28], v[25:26], v[23:24]
	v_fma_f64 v[21:22], -v[21:22], v[27:28], v[25:26]
	v_div_fmas_f64 v[21:22], v[21:22], v[23:24], v[27:28]
	v_div_fixup_f64 v[21:22], v[21:22], v[17:18], v[7:8]
	v_fma_f64 v[23:24], -v[21:22], v[15:16], v[5:6]
	s_waitcnt lgkmcnt(0)
	v_div_scale_f64 v[5:6], s[12:13], v[19:20], v[19:20], v[23:24]
	s_sub_i32 s12, s16, 24
	v_rcp_f64_e32 v[7:8], v[5:6]
	v_fma_f64 v[15:16], -v[5:6], v[7:8], 1.0
	v_fma_f64 v[7:8], v[7:8], v[15:16], v[7:8]
	v_div_scale_f64 v[15:16], vcc, v[23:24], v[19:20], v[23:24]
	v_fma_f64 v[17:18], -v[5:6], v[7:8], 1.0
	v_fma_f64 v[7:8], v[7:8], v[17:18], v[7:8]
	v_mul_f64 v[17:18], v[15:16], v[7:8]
	v_fma_f64 v[5:6], -v[5:6], v[17:18], v[15:16]
	v_mov_b32_e32 v15, s9
	v_div_fmas_f64 v[25:26], v[5:6], v[7:8], v[17:18]
	v_mov_b32_e32 v5, s12
	ds_read2_b64 v[5:8], v5 offset1:1
	ds_read2_b64 v[15:18], v15 offset1:1
	s_waitcnt lgkmcnt(1)
	v_fma_f64 v[3:4], -v[21:22], v[7:8], v[3:4]
	v_fma_f64 v[1:2], -v[21:22], v[5:6], v[1:2]
	v_div_fixup_f64 v[7:8], v[25:26], v[19:20], v[23:24]
	s_waitcnt lgkmcnt(0)
	v_fma_f64 v[3:4], -v[7:8], v[17:18], v[3:4]
	v_mov_b32_e32 v17, s6
	ds_read2_b64 v[17:20], v17 offset1:1
	s_sub_i32 s6, s11, 24
	v_mov_b32_e32 v23, s6
	ds_read_b64 v[23:24], v23
	v_fma_f64 v[1:2], -v[7:8], v[15:16], v[1:2]
	s_waitcnt lgkmcnt(1)
	v_div_scale_f64 v[25:26], s[6:7], v[19:20], v[19:20], v[3:4]
	v_rcp_f64_e32 v[27:28], v[25:26]
	v_fma_f64 v[29:30], -v[25:26], v[27:28], 1.0
	v_fma_f64 v[27:28], v[27:28], v[29:30], v[27:28]
	v_div_scale_f64 v[29:30], vcc, v[3:4], v[19:20], v[3:4]
	v_fma_f64 v[31:32], -v[25:26], v[27:28], 1.0
	v_fma_f64 v[27:28], v[27:28], v[31:32], v[27:28]
	v_mul_f64 v[31:32], v[29:30], v[27:28]
	v_fma_f64 v[25:26], -v[25:26], v[31:32], v[29:30]
	v_div_fmas_f64 v[25:26], v[25:26], v[27:28], v[31:32]
	v_div_fixup_f64 v[3:4], v[25:26], v[19:20], v[3:4]
	ds_write_b64 v11, v[21:22]
	ds_write_b64 v13, v[7:8]
	;; [unrolled: 1-line block ×3, first 2 shown]
	v_fma_f64 v[1:2], -v[3:4], v[17:18], v[1:2]
	s_waitcnt lgkmcnt(3)
	v_div_scale_f64 v[5:6], s[6:7], v[23:24], v[23:24], v[1:2]
	v_div_scale_f64 v[19:20], vcc, v[1:2], v[23:24], v[1:2]
	s_add_i32 s6, s5, -4
	s_cmp_lt_i32 s5, 7
	v_rcp_f64_e32 v[15:16], v[5:6]
	v_fma_f64 v[17:18], -v[5:6], v[15:16], 1.0
	v_fma_f64 v[15:16], v[15:16], v[17:18], v[15:16]
	v_fma_f64 v[17:18], -v[5:6], v[15:16], 1.0
	v_fma_f64 v[15:16], v[15:16], v[17:18], v[15:16]
	v_mul_f64 v[17:18], v[19:20], v[15:16]
	v_fma_f64 v[5:6], -v[5:6], v[17:18], v[19:20]
	v_div_fmas_f64 v[5:6], v[5:6], v[15:16], v[17:18]
	v_div_fixup_f64 v[1:2], v[5:6], v[23:24], v[1:2]
	ds_write_b64 v12, v[1:2]
	s_cbranch_scc1 .LBB96_31
; %bb.30:                               ;   in Loop: Header=BB96_27 Depth=1
	s_mov_b32 s5, s6
	s_branch .LBB96_27
.LBB96_31:
	s_cmp_lt_i32 s6, 0
	s_cbranch_scc1 .LBB96_44
; %bb.32:
	s_bitcmp1_b32 s6, 0
	s_cselect_b64 s[4:5], -1, 0
	s_and_b64 vcc, exec, s[4:5]
	s_mov_b32 s4, s6
	s_cbranch_vccnz .LBB96_37
; %bb.33:
	s_mul_i32 s4, s6, 0xc0
	v_add_u32_e32 v3, s4, v9
	ds_read_b64 v[1:2], v3
	s_cmp_le_i32 s8, s6
	s_cbranch_scc1 .LBB96_36
; %bb.34:
	s_mul_i32 s7, s23, 0xc0
	s_lshl_b32 s5, s6, 3
	s_add_i32 s5, s7, s5
	v_lshl_add_u32 v4, v0, 3, s7
	s_addk_i32 s5, 0xff40
	v_add_u32_e32 v4, 0x1140, v4
	s_mov_b32 s7, s8
.LBB96_35:                              ; =>This Inner Loop Header: Depth=1
	v_mov_b32_e32 v7, s5
	ds_read_b64 v[5:6], v4
	ds_read_b64 v[7:8], v7
	s_add_i32 s7, s7, -1
	s_addk_i32 s5, 0xff40
	s_cmp_gt_u32 s7, s6
	v_add_u32_e32 v4, 0xffffff40, v4
	s_waitcnt lgkmcnt(0)
	v_fma_f64 v[1:2], -v[5:6], v[7:8], v[1:2]
	s_cbranch_scc1 .LBB96_35
.LBB96_36:
	s_lshl_b32 s5, s6, 3
	s_add_i32 s4, s5, s4
	v_mov_b32_e32 v4, s4
	ds_read_b64 v[4:5], v4
	s_waitcnt lgkmcnt(0)
	v_div_scale_f64 v[6:7], s[4:5], v[4:5], v[4:5], v[1:2]
	s_add_i32 s4, s6, -1
	v_rcp_f64_e32 v[10:11], v[6:7]
	v_fma_f64 v[12:13], -v[6:7], v[10:11], 1.0
	v_fma_f64 v[10:11], v[10:11], v[12:13], v[10:11]
	v_div_scale_f64 v[12:13], vcc, v[1:2], v[4:5], v[1:2]
	v_fma_f64 v[14:15], -v[6:7], v[10:11], 1.0
	v_fma_f64 v[10:11], v[10:11], v[14:15], v[10:11]
	v_mul_f64 v[14:15], v[12:13], v[10:11]
	v_fma_f64 v[6:7], -v[6:7], v[14:15], v[12:13]
	v_div_fmas_f64 v[6:7], v[6:7], v[10:11], v[14:15]
	v_div_fixup_f64 v[1:2], v[6:7], v[4:5], v[1:2]
	ds_write_b64 v3, v[1:2]
.LBB96_37:
	s_cmp_eq_u32 s6, 0
	s_cbranch_scc1 .LBB96_44
; %bb.38:
	s_mul_i32 s6, s23, 0xc0
	s_lshl_b32 s5, s4, 3
	s_add_i32 s7, s6, s5
	v_lshl_add_u32 v1, v0, 3, s6
	s_add_i32 s5, s7, 0xffffff40
	v_add_u32_e32 v5, 0x1140, v1
	s_add_i32 s6, s7, 0xffffff38
	s_branch .LBB96_40
.LBB96_39:                              ;   in Loop: Header=BB96_40 Depth=1
	s_mul_i32 s11, s9, 0xc0
	s_add_i32 s7, s7, s11
	s_add_i32 s7, s7, -8
	v_mov_b32_e32 v3, s7
	ds_read_b64 v[3:4], v3
	s_add_i32 s4, s4, -2
	s_add_i32 s5, s5, -16
	s_add_i32 s6, s6, -16
	s_cmp_eq_u32 s9, 0
	s_waitcnt lgkmcnt(0)
	v_div_scale_f64 v[10:11], s[12:13], v[3:4], v[3:4], v[1:2]
	v_div_scale_f64 v[16:17], vcc, v[1:2], v[3:4], v[1:2]
	v_rcp_f64_e32 v[12:13], v[10:11]
	v_fma_f64 v[14:15], -v[10:11], v[12:13], 1.0
	v_fma_f64 v[12:13], v[12:13], v[14:15], v[12:13]
	v_fma_f64 v[14:15], -v[10:11], v[12:13], 1.0
	v_fma_f64 v[12:13], v[12:13], v[14:15], v[12:13]
	v_mul_f64 v[14:15], v[16:17], v[12:13]
	v_fma_f64 v[10:11], -v[10:11], v[14:15], v[16:17]
	v_div_fmas_f64 v[10:11], v[10:11], v[12:13], v[14:15]
	v_div_fixup_f64 v[1:2], v[10:11], v[3:4], v[1:2]
	ds_write_b64 v7, v[1:2]
	s_cbranch_scc1 .LBB96_44
.LBB96_40:                              ; =>This Loop Header: Depth=1
                                        ;     Child Loop BB96_41 Depth 2
                                        ;     Child Loop BB96_43 Depth 2
	s_mul_i32 s9, s4, 0xc0
	v_add_u32_e32 v6, s9, v9
	ds_read_b64 v[3:4], v6
	s_cmp_le_i32 s8, s4
	v_mov_b32_e32 v1, v5
	s_mov_b32 s7, s5
	s_mov_b32 s11, s8
	s_cbranch_scc1 .LBB96_42
.LBB96_41:                              ;   Parent Loop BB96_40 Depth=1
                                        ; =>  This Inner Loop Header: Depth=2
	v_mov_b32_e32 v2, s7
	ds_read_b64 v[7:8], v1
	ds_read_b64 v[10:11], v2
	s_add_i32 s11, s11, -1
	s_addk_i32 s7, 0xff40
	s_cmp_le_u32 s11, s4
	v_add_u32_e32 v1, 0xffffff40, v1
	s_waitcnt lgkmcnt(0)
	v_fma_f64 v[3:4], -v[7:8], v[10:11], v[3:4]
	s_cbranch_scc0 .LBB96_41
.LBB96_42:                              ;   in Loop: Header=BB96_40 Depth=1
	s_lshl_b32 s7, s4, 3
	s_add_i32 s11, s7, s9
	v_mov_b32_e32 v1, s11
	ds_read_b64 v[10:11], v1
	s_addk_i32 s9, 0xff40
	v_add_u32_e32 v7, s9, v9
	ds_read_b64 v[1:2], v7
	s_add_i32 s9, s4, -1
	s_waitcnt lgkmcnt(1)
	v_div_scale_f64 v[12:13], s[12:13], v[10:11], v[10:11], v[3:4]
	s_mov_b32 s11, s6
	s_cmp_le_i32 s23, s4
	s_mov_b32 s12, s8
	v_rcp_f64_e32 v[14:15], v[12:13]
	v_fma_f64 v[16:17], -v[12:13], v[14:15], 1.0
	v_fma_f64 v[14:15], v[14:15], v[16:17], v[14:15]
	v_div_scale_f64 v[16:17], vcc, v[3:4], v[10:11], v[3:4]
	v_fma_f64 v[18:19], -v[12:13], v[14:15], 1.0
	v_fma_f64 v[14:15], v[14:15], v[18:19], v[14:15]
	v_mul_f64 v[18:19], v[16:17], v[14:15]
	v_fma_f64 v[12:13], -v[12:13], v[18:19], v[16:17]
	v_div_fmas_f64 v[12:13], v[12:13], v[14:15], v[18:19]
	v_div_fixup_f64 v[10:11], v[12:13], v[10:11], v[3:4]
	v_mov_b32_e32 v3, v5
	ds_write_b64 v6, v[10:11]
	s_cbranch_scc1 .LBB96_39
.LBB96_43:                              ;   Parent Loop BB96_40 Depth=1
                                        ; =>  This Inner Loop Header: Depth=2
	v_mov_b32_e32 v4, s11
	ds_read_b64 v[10:11], v3
	ds_read_b64 v[12:13], v4
	s_add_i32 s12, s12, -1
	s_addk_i32 s11, 0xff40
	s_cmp_gt_u32 s12, s9
	v_add_u32_e32 v3, 0xffffff40, v3
	s_waitcnt lgkmcnt(0)
	v_fma_f64 v[1:2], -v[10:11], v[12:13], v[1:2]
	s_cbranch_scc1 .LBB96_43
	s_branch .LBB96_39
.LBB96_44:
	s_mov_b64 s[6:7], 0
.LBB96_45:
	s_andn2_b64 vcc, exec, s[6:7]
	s_cbranch_vccnz .LBB96_65
; %bb.46:
	s_andn2_b64 vcc, exec, s[2:3]
	s_mov_b32 s4, s8
	s_cbranch_vccnz .LBB96_52
; %bb.47:
	s_mul_i32 s2, s23, 0xc0
	v_lshl_add_u32 v1, v0, 3, s2
	s_mul_i32 s2, s23, 0xc8
	v_add_u32_e32 v10, 0x1140, v1
	s_addk_i32 s2, 0xfcf8
	s_mov_b32 s3, s8
.LBB96_48:                              ; =>This Loop Header: Depth=1
                                        ;     Child Loop BB96_49 Depth 2
	s_mul_i32 s4, s3, 24
	v_lshl_add_u32 v12, s4, 3, v9
	v_add_u32_e32 v13, 0xffffff40, v12
	v_add_u32_e32 v14, 0xfffffe80, v12
	;; [unrolled: 1-line block ×3, first 2 shown]
	ds_read_b64 v[7:8], v12
	ds_read_b64 v[5:6], v13
	;; [unrolled: 1-line block ×4, first 2 shown]
	s_cmp_le_i32 s8, s3
	s_mov_b32 s5, s2
	v_mov_b32_e32 v15, v10
	s_mov_b32 s6, s8
	s_cbranch_scc1 .LBB96_50
.LBB96_49:                              ;   Parent Loop BB96_48 Depth=1
                                        ; =>  This Inner Loop Header: Depth=2
	v_mov_b32_e32 v20, s5
	ds_read_b64 v[24:25], v15
	ds_read2_b64 v[16:19], v20 offset0:48 offset1:72
	ds_read2_b64 v[20:23], v20 offset1:24
	s_add_i32 s6, s6, -1
	s_add_i32 s5, s5, -8
	s_cmp_le_i32 s6, s3
	s_waitcnt lgkmcnt(1)
	v_fma_f64 v[7:8], -v[24:25], v[18:19], v[7:8]
	v_fma_f64 v[5:6], -v[24:25], v[16:17], v[5:6]
	s_waitcnt lgkmcnt(0)
	v_fma_f64 v[3:4], -v[24:25], v[22:23], v[3:4]
	v_fma_f64 v[1:2], -v[24:25], v[20:21], v[1:2]
	v_add_u32_e32 v15, 0xffffff40, v15
	s_cbranch_scc0 .LBB96_49
.LBB96_50:                              ;   in Loop: Header=BB96_48 Depth=1
	s_mul_i32 s5, s3, 0xc8
	v_mov_b32_e32 v15, s5
	ds_read_b64 v[19:20], v15
	s_lshl_b32 s4, s4, 3
	s_lshl_b32 s5, s3, 3
	s_add_i32 s6, s4, s5
	s_add_i32 s4, s6, 0xffffff38
	v_mov_b32_e32 v15, s4
	s_waitcnt lgkmcnt(0)
	v_div_scale_f64 v[21:22], s[4:5], v[19:20], v[19:20], v[7:8]
	ds_read2_b64 v[15:18], v15 offset1:1
	s_addk_i32 s2, 0xfd00
	v_rcp_f64_e32 v[23:24], v[21:22]
	v_fma_f64 v[25:26], -v[21:22], v[23:24], 1.0
	v_fma_f64 v[23:24], v[23:24], v[25:26], v[23:24]
	v_div_scale_f64 v[25:26], vcc, v[7:8], v[19:20], v[7:8]
	v_fma_f64 v[27:28], -v[21:22], v[23:24], 1.0
	v_fma_f64 v[23:24], v[23:24], v[27:28], v[23:24]
	v_mul_f64 v[27:28], v[25:26], v[23:24]
	v_fma_f64 v[21:22], -v[21:22], v[27:28], v[25:26]
	v_div_fmas_f64 v[21:22], v[21:22], v[23:24], v[27:28]
	v_div_fixup_f64 v[23:24], v[21:22], v[19:20], v[7:8]
	s_waitcnt lgkmcnt(0)
	v_fma_f64 v[17:18], -v[23:24], v[17:18], v[5:6]
	v_div_scale_f64 v[5:6], s[4:5], v[15:16], v[15:16], v[17:18]
	s_add_i32 s4, s6, 0xfffffe80
	v_rcp_f64_e32 v[7:8], v[5:6]
	v_fma_f64 v[19:20], -v[5:6], v[7:8], 1.0
	v_fma_f64 v[7:8], v[7:8], v[19:20], v[7:8]
	v_div_scale_f64 v[19:20], vcc, v[17:18], v[15:16], v[17:18]
	v_fma_f64 v[21:22], -v[5:6], v[7:8], 1.0
	v_fma_f64 v[7:8], v[7:8], v[21:22], v[7:8]
	v_mul_f64 v[21:22], v[19:20], v[7:8]
	v_fma_f64 v[5:6], -v[5:6], v[21:22], v[19:20]
	v_div_fmas_f64 v[19:20], v[5:6], v[7:8], v[21:22]
	v_mov_b32_e32 v5, s4
	ds_read_b64 v[21:22], v5
	s_add_i32 s4, s6, 0xfffffe70
	v_mov_b32_e32 v5, s4
	ds_read2_b64 v[5:8], v5 offset1:1
	s_waitcnt lgkmcnt(1)
	v_fma_f64 v[3:4], -v[23:24], v[21:22], v[3:4]
	v_div_fixup_f64 v[25:26], v[19:20], v[15:16], v[17:18]
	s_waitcnt lgkmcnt(0)
	v_fma_f64 v[3:4], -v[25:26], v[7:8], v[3:4]
	v_div_scale_f64 v[7:8], s[4:5], v[5:6], v[5:6], v[3:4]
	s_add_i32 s4, s6, 0xfffffdb8
	v_rcp_f64_e32 v[15:16], v[7:8]
	v_fma_f64 v[17:18], -v[7:8], v[15:16], 1.0
	v_fma_f64 v[15:16], v[15:16], v[17:18], v[15:16]
	v_div_scale_f64 v[17:18], vcc, v[3:4], v[5:6], v[3:4]
	v_fma_f64 v[19:20], -v[7:8], v[15:16], 1.0
	v_fma_f64 v[15:16], v[15:16], v[19:20], v[15:16]
	v_mul_f64 v[19:20], v[17:18], v[15:16]
	v_fma_f64 v[7:8], -v[7:8], v[19:20], v[17:18]
	v_div_fmas_f64 v[7:8], v[7:8], v[15:16], v[19:20]
	v_mov_b32_e32 v15, s4
	ds_read2_b64 v[15:18], v15 offset1:1
	s_add_i32 s4, s6, 0xfffffda8
	v_mov_b32_e32 v19, s4
	ds_read2_b64 v[19:22], v19 offset1:1
	s_waitcnt lgkmcnt(1)
	v_fma_f64 v[1:2], -v[23:24], v[17:18], v[1:2]
	v_fma_f64 v[1:2], -v[25:26], v[15:16], v[1:2]
	v_div_fixup_f64 v[3:4], v[7:8], v[5:6], v[3:4]
	ds_write_b64 v12, v[23:24]
	ds_write_b64 v13, v[25:26]
	;; [unrolled: 1-line block ×3, first 2 shown]
	s_waitcnt lgkmcnt(3)
	v_fma_f64 v[1:2], -v[3:4], v[21:22], v[1:2]
	v_div_scale_f64 v[5:6], s[4:5], v[19:20], v[19:20], v[1:2]
	v_div_scale_f64 v[17:18], vcc, v[1:2], v[19:20], v[1:2]
	s_add_i32 s4, s3, -4
	s_cmp_lt_i32 s3, 7
	v_rcp_f64_e32 v[7:8], v[5:6]
	v_fma_f64 v[15:16], -v[5:6], v[7:8], 1.0
	v_fma_f64 v[7:8], v[7:8], v[15:16], v[7:8]
	v_fma_f64 v[15:16], -v[5:6], v[7:8], 1.0
	v_fma_f64 v[7:8], v[7:8], v[15:16], v[7:8]
	v_mul_f64 v[15:16], v[17:18], v[7:8]
	v_fma_f64 v[5:6], -v[5:6], v[15:16], v[17:18]
	v_div_fmas_f64 v[5:6], v[5:6], v[7:8], v[15:16]
	v_div_fixup_f64 v[1:2], v[5:6], v[19:20], v[1:2]
	ds_write_b64 v11, v[1:2]
	s_cbranch_scc1 .LBB96_52
; %bb.51:                               ;   in Loop: Header=BB96_48 Depth=1
	s_mov_b32 s3, s4
	s_branch .LBB96_48
.LBB96_52:
	s_cmp_lt_i32 s4, 0
	s_cbranch_scc1 .LBB96_65
; %bb.53:
	s_bitcmp1_b32 s4, 0
	s_cselect_b64 s[2:3], -1, 0
	s_and_b64 vcc, exec, s[2:3]
	s_mov_b32 s2, s4
	s_cbranch_vccnz .LBB96_58
; %bb.54:
	s_mul_i32 s2, s4, 0xc0
	v_add_u32_e32 v3, s2, v9
	ds_read_b64 v[1:2], v3
	s_cmp_le_i32 s8, s4
	s_cbranch_scc1 .LBB96_57
; %bb.55:
	s_lshl_b32 s3, s23, 3
	s_add_i32 s2, s2, s3
	s_mul_i32 s3, s23, 0xc0
	v_lshl_add_u32 v4, v0, 3, s3
	s_add_i32 s2, s2, -8
	v_add_u32_e32 v4, 0x1140, v4
	s_mov_b32 s3, s8
.LBB96_56:                              ; =>This Inner Loop Header: Depth=1
	v_mov_b32_e32 v7, s2
	ds_read_b64 v[5:6], v4
	ds_read_b64 v[7:8], v7
	s_add_i32 s3, s3, -1
	s_add_i32 s2, s2, -8
	s_cmp_gt_u32 s3, s4
	v_add_u32_e32 v4, 0xffffff40, v4
	s_waitcnt lgkmcnt(0)
	v_fma_f64 v[1:2], -v[5:6], v[7:8], v[1:2]
	s_cbranch_scc1 .LBB96_56
.LBB96_57:
	s_mul_i32 s2, s4, 0xc8
	v_mov_b32_e32 v4, s2
	ds_read_b64 v[4:5], v4
	s_waitcnt lgkmcnt(0)
	v_div_scale_f64 v[6:7], s[2:3], v[4:5], v[4:5], v[1:2]
	s_add_i32 s2, s4, -1
	v_rcp_f64_e32 v[10:11], v[6:7]
	v_fma_f64 v[12:13], -v[6:7], v[10:11], 1.0
	v_fma_f64 v[10:11], v[10:11], v[12:13], v[10:11]
	v_div_scale_f64 v[12:13], vcc, v[1:2], v[4:5], v[1:2]
	v_fma_f64 v[14:15], -v[6:7], v[10:11], 1.0
	v_fma_f64 v[10:11], v[10:11], v[14:15], v[10:11]
	v_mul_f64 v[14:15], v[12:13], v[10:11]
	v_fma_f64 v[6:7], -v[6:7], v[14:15], v[12:13]
	v_div_fmas_f64 v[6:7], v[6:7], v[10:11], v[14:15]
	v_div_fixup_f64 v[1:2], v[6:7], v[4:5], v[1:2]
	ds_write_b64 v3, v[1:2]
.LBB96_58:
	s_cmp_eq_u32 s4, 0
	s_cbranch_scc1 .LBB96_65
; %bb.59:
	s_mul_i32 s3, s23, 0xc0
	v_lshl_add_u32 v1, v0, 3, s3
	s_mul_i32 s3, s2, 0xc0
	s_lshl_b32 s4, s23, 3
	s_add_i32 s4, s3, s4
	v_add_u32_e32 v5, 0x1140, v1
	s_add_i32 s3, s4, -8
	s_addk_i32 s4, 0xff38
	s_branch .LBB96_61
.LBB96_60:                              ;   in Loop: Header=BB96_61 Depth=1
	s_addk_i32 s5, 0xff38
	v_mov_b32_e32 v3, s5
	ds_read_b64 v[3:4], v3
	s_add_i32 s2, s2, -2
	s_addk_i32 s3, 0xfe80
	s_addk_i32 s4, 0xfe80
	s_cmp_eq_u32 s6, 0
	s_waitcnt lgkmcnt(0)
	v_div_scale_f64 v[10:11], s[12:13], v[3:4], v[3:4], v[1:2]
	v_div_scale_f64 v[16:17], vcc, v[1:2], v[3:4], v[1:2]
	v_rcp_f64_e32 v[12:13], v[10:11]
	v_fma_f64 v[14:15], -v[10:11], v[12:13], 1.0
	v_fma_f64 v[12:13], v[12:13], v[14:15], v[12:13]
	v_fma_f64 v[14:15], -v[10:11], v[12:13], 1.0
	v_fma_f64 v[12:13], v[12:13], v[14:15], v[12:13]
	v_mul_f64 v[14:15], v[16:17], v[12:13]
	v_fma_f64 v[10:11], -v[10:11], v[14:15], v[16:17]
	v_div_fmas_f64 v[10:11], v[10:11], v[12:13], v[14:15]
	v_div_fixup_f64 v[1:2], v[10:11], v[3:4], v[1:2]
	ds_write_b64 v7, v[1:2]
	s_cbranch_scc1 .LBB96_65
.LBB96_61:                              ; =>This Loop Header: Depth=1
                                        ;     Child Loop BB96_62 Depth 2
                                        ;     Child Loop BB96_64 Depth 2
	s_mul_i32 s5, s2, 0xc0
	v_add_u32_e32 v6, s5, v9
	ds_read_b64 v[3:4], v6
	s_cmp_le_i32 s8, s2
	s_mov_b32 s5, s3
	v_mov_b32_e32 v1, v5
	s_mov_b32 s6, s8
	s_cbranch_scc1 .LBB96_63
.LBB96_62:                              ;   Parent Loop BB96_61 Depth=1
                                        ; =>  This Inner Loop Header: Depth=2
	v_mov_b32_e32 v2, s5
	ds_read_b64 v[7:8], v1
	ds_read_b64 v[10:11], v2
	s_add_i32 s6, s6, -1
	s_add_i32 s5, s5, -8
	s_cmp_le_u32 s6, s2
	v_add_u32_e32 v1, 0xffffff40, v1
	s_waitcnt lgkmcnt(0)
	v_fma_f64 v[3:4], -v[7:8], v[10:11], v[3:4]
	s_cbranch_scc0 .LBB96_62
.LBB96_63:                              ;   in Loop: Header=BB96_61 Depth=1
	s_mul_i32 s5, s2, 0xc8
	v_mov_b32_e32 v1, s5
	ds_read_b64 v[10:11], v1
	v_add_u32_e32 v7, 0xffffff40, v6
	ds_read_b64 v[1:2], v7
	s_mov_b32 s9, s8
	s_waitcnt lgkmcnt(1)
	v_div_scale_f64 v[12:13], s[6:7], v[10:11], v[10:11], v[3:4]
	s_add_i32 s6, s2, -1
	s_mov_b32 s7, s4
	s_cmp_le_i32 s23, s2
	v_rcp_f64_e32 v[14:15], v[12:13]
	v_fma_f64 v[16:17], -v[12:13], v[14:15], 1.0
	v_fma_f64 v[14:15], v[14:15], v[16:17], v[14:15]
	v_div_scale_f64 v[16:17], vcc, v[3:4], v[10:11], v[3:4]
	v_fma_f64 v[18:19], -v[12:13], v[14:15], 1.0
	v_fma_f64 v[14:15], v[14:15], v[18:19], v[14:15]
	v_mul_f64 v[18:19], v[16:17], v[14:15]
	v_fma_f64 v[12:13], -v[12:13], v[18:19], v[16:17]
	v_div_fmas_f64 v[12:13], v[12:13], v[14:15], v[18:19]
	v_div_fixup_f64 v[10:11], v[12:13], v[10:11], v[3:4]
	v_mov_b32_e32 v3, v5
	ds_write_b64 v6, v[10:11]
	s_cbranch_scc1 .LBB96_60
.LBB96_64:                              ;   Parent Loop BB96_61 Depth=1
                                        ; =>  This Inner Loop Header: Depth=2
	v_mov_b32_e32 v4, s7
	ds_read_b64 v[10:11], v3
	ds_read_b64 v[12:13], v4
	s_add_i32 s9, s9, -1
	s_add_i32 s7, s7, -8
	s_cmp_gt_u32 s9, s6
	v_add_u32_e32 v3, 0xffffff40, v3
	s_waitcnt lgkmcnt(0)
	v_fma_f64 v[1:2], -v[10:11], v[12:13], v[1:2]
	s_cbranch_scc1 .LBB96_64
	s_branch .LBB96_60
.LBB96_65:
	s_mov_b64 s[6:7], 0
.LBB96_66:
	s_andn2_b64 vcc, exec, s[6:7]
	s_cbranch_vccnz .LBB96_78
; %bb.67:
	v_mov_b32_e32 v1, 0x1200
	v_lshl_or_b32 v9, v0, 3, v1
	s_cmp_lt_i32 s22, 4
	s_mov_b32 s4, 0
	s_cbranch_scc1 .LBB96_73
; %bb.68:
	s_mov_b32 s2, 0
	s_mov_b32 s3, 0
.LBB96_69:                              ; =>This Loop Header: Depth=1
                                        ;     Child Loop BB96_70 Depth 2
	s_mul_i32 s4, s3, 24
	v_lshl_add_u32 v10, s4, 3, v9
	ds_read2_b64 v[5:8], v10 offset1:24
	ds_read2_b64 v[1:4], v10 offset0:48 offset1:72
	s_cmp_eq_u32 s3, 0
	s_mov_b32 s5, s2
	v_mov_b32_e32 v11, v9
	s_mov_b32 s6, s3
	s_cbranch_scc1 .LBB96_71
.LBB96_70:                              ;   Parent Loop BB96_69 Depth=1
                                        ; =>  This Inner Loop Header: Depth=2
	v_mov_b32_e32 v16, s5
	ds_read_b64 v[20:21], v11
	ds_read2_b64 v[12:15], v16 offset1:24
	ds_read2_b64 v[16:19], v16 offset0:48 offset1:72
	s_add_i32 s6, s6, -1
	s_add_i32 s5, s5, 8
	s_cmp_eq_u32 s6, 0
	s_waitcnt lgkmcnt(1)
	v_fma_f64 v[5:6], -v[20:21], v[12:13], v[5:6]
	v_fma_f64 v[7:8], -v[20:21], v[14:15], v[7:8]
	s_waitcnt lgkmcnt(0)
	v_fma_f64 v[1:2], -v[20:21], v[16:17], v[1:2]
	v_fma_f64 v[3:4], -v[20:21], v[18:19], v[3:4]
	v_add_u32_e32 v11, 0xc0, v11
	s_cbranch_scc0 .LBB96_70
.LBB96_71:                              ;   in Loop: Header=BB96_69 Depth=1
	s_mul_i32 s5, s3, 0xc8
	v_mov_b32_e32 v11, s5
	ds_read_b64 v[15:16], v11
	s_lshl_b32 s4, s4, 3
	s_lshl_b32 s5, s3, 3
	s_add_i32 s4, s4, s5
	v_mov_b32_e32 v25, s4
	s_waitcnt lgkmcnt(0)
	v_div_scale_f64 v[17:18], s[4:5], v[15:16], v[15:16], v[5:6]
	ds_read_b128 v[11:14], v25 offset:192
	s_addk_i32 s2, 0x300
	v_rcp_f64_e32 v[19:20], v[17:18]
	v_fma_f64 v[21:22], -v[17:18], v[19:20], 1.0
	v_fma_f64 v[19:20], v[19:20], v[21:22], v[19:20]
	v_div_scale_f64 v[21:22], vcc, v[5:6], v[15:16], v[5:6]
	v_fma_f64 v[23:24], -v[17:18], v[19:20], 1.0
	v_fma_f64 v[19:20], v[19:20], v[23:24], v[19:20]
	v_mul_f64 v[23:24], v[21:22], v[19:20]
	v_fma_f64 v[17:18], -v[17:18], v[23:24], v[21:22]
	v_div_fmas_f64 v[17:18], v[17:18], v[19:20], v[23:24]
	v_div_fixup_f64 v[15:16], v[17:18], v[15:16], v[5:6]
	s_waitcnt lgkmcnt(0)
	v_fma_f64 v[11:12], -v[15:16], v[11:12], v[7:8]
	v_div_scale_f64 v[5:6], s[4:5], v[13:14], v[13:14], v[11:12]
	v_rcp_f64_e32 v[7:8], v[5:6]
	v_fma_f64 v[17:18], -v[5:6], v[7:8], 1.0
	v_fma_f64 v[7:8], v[7:8], v[17:18], v[7:8]
	v_div_scale_f64 v[17:18], vcc, v[11:12], v[13:14], v[11:12]
	v_fma_f64 v[19:20], -v[5:6], v[7:8], 1.0
	v_fma_f64 v[7:8], v[7:8], v[19:20], v[7:8]
	v_mul_f64 v[19:20], v[17:18], v[7:8]
	v_fma_f64 v[5:6], -v[5:6], v[19:20], v[17:18]
	v_div_fmas_f64 v[17:18], v[5:6], v[7:8], v[19:20]
	ds_read_b128 v[5:8], v25 offset:384
	ds_read_b64 v[19:20], v25 offset:400
	s_waitcnt lgkmcnt(1)
	v_fma_f64 v[1:2], -v[15:16], v[5:6], v[1:2]
	v_div_fixup_f64 v[17:18], v[17:18], v[13:14], v[11:12]
	v_fma_f64 v[1:2], -v[17:18], v[7:8], v[1:2]
	s_waitcnt lgkmcnt(0)
	v_div_scale_f64 v[5:6], s[4:5], v[19:20], v[19:20], v[1:2]
	v_rcp_f64_e32 v[7:8], v[5:6]
	v_fma_f64 v[11:12], -v[5:6], v[7:8], 1.0
	v_fma_f64 v[7:8], v[7:8], v[11:12], v[7:8]
	v_div_scale_f64 v[11:12], vcc, v[1:2], v[19:20], v[1:2]
	v_fma_f64 v[13:14], -v[5:6], v[7:8], 1.0
	v_fma_f64 v[7:8], v[7:8], v[13:14], v[7:8]
	v_mul_f64 v[13:14], v[11:12], v[7:8]
	v_fma_f64 v[5:6], -v[5:6], v[13:14], v[11:12]
	v_div_fmas_f64 v[21:22], v[5:6], v[7:8], v[13:14]
	ds_read_b128 v[5:8], v25 offset:576
	ds_read_b128 v[11:14], v25 offset:592
	ds_write2_b64 v10, v[15:16], v[17:18] offset1:24
	s_waitcnt lgkmcnt(2)
	v_fma_f64 v[3:4], -v[15:16], v[5:6], v[3:4]
	v_fma_f64 v[3:4], -v[17:18], v[7:8], v[3:4]
	v_div_fixup_f64 v[1:2], v[21:22], v[19:20], v[1:2]
	s_waitcnt lgkmcnt(1)
	v_fma_f64 v[3:4], -v[1:2], v[11:12], v[3:4]
	v_div_scale_f64 v[5:6], s[4:5], v[13:14], v[13:14], v[3:4]
	v_div_scale_f64 v[19:20], vcc, v[3:4], v[13:14], v[3:4]
	s_add_i32 s4, s3, 4
	s_add_i32 s3, s3, 7
	s_cmp_ge_i32 s3, s23
	v_rcp_f64_e32 v[7:8], v[5:6]
	v_fma_f64 v[11:12], -v[5:6], v[7:8], 1.0
	v_fma_f64 v[7:8], v[7:8], v[11:12], v[7:8]
	v_fma_f64 v[11:12], -v[5:6], v[7:8], 1.0
	v_fma_f64 v[7:8], v[7:8], v[11:12], v[7:8]
	v_mul_f64 v[11:12], v[19:20], v[7:8]
	v_fma_f64 v[5:6], -v[5:6], v[11:12], v[19:20]
	v_div_fmas_f64 v[5:6], v[5:6], v[7:8], v[11:12]
	v_div_fixup_f64 v[3:4], v[5:6], v[13:14], v[3:4]
	ds_write2_b64 v10, v[1:2], v[3:4] offset0:48 offset1:72
	s_cbranch_scc1 .LBB96_73
; %bb.72:                               ;   in Loop: Header=BB96_69 Depth=1
	s_mov_b32 s3, s4
	s_branch .LBB96_69
.LBB96_73:
	s_cmp_ge_i32 s4, s23
	s_cbranch_scc1 .LBB96_78
; %bb.74:
	v_mov_b32_e32 v1, 0x1200
	v_lshl_or_b32 v3, v0, 3, v1
	s_mul_i32 s2, s4, 0xc0
	s_branch .LBB96_76
.LBB96_75:                              ;   in Loop: Header=BB96_76 Depth=1
	s_mul_i32 s3, s4, 0xc8
	v_mov_b32_e32 v5, s3
	ds_read_b64 v[5:6], v5
	s_add_i32 s4, s4, 1
	s_addk_i32 s2, 0xc0
	s_cmp_ge_i32 s4, s23
	s_waitcnt lgkmcnt(0)
	v_div_scale_f64 v[7:8], s[6:7], v[5:6], v[5:6], v[1:2]
	v_div_scale_f64 v[14:15], vcc, v[1:2], v[5:6], v[1:2]
	v_rcp_f64_e32 v[10:11], v[7:8]
	v_fma_f64 v[12:13], -v[7:8], v[10:11], 1.0
	v_fma_f64 v[10:11], v[10:11], v[12:13], v[10:11]
	v_fma_f64 v[12:13], -v[7:8], v[10:11], 1.0
	v_fma_f64 v[10:11], v[10:11], v[12:13], v[10:11]
	v_mul_f64 v[12:13], v[14:15], v[10:11]
	v_fma_f64 v[7:8], -v[7:8], v[12:13], v[14:15]
	v_div_fmas_f64 v[7:8], v[7:8], v[10:11], v[12:13]
	v_div_fixup_f64 v[1:2], v[7:8], v[5:6], v[1:2]
	ds_write_b64 v4, v[1:2]
	s_cbranch_scc1 .LBB96_78
.LBB96_76:                              ; =>This Loop Header: Depth=1
                                        ;     Child Loop BB96_77 Depth 2
	s_mul_i32 s3, s4, 0xc0
	v_add_u32_e32 v4, s3, v9
	ds_read_b64 v[1:2], v4
	s_cmp_eq_u32 s4, 0
	s_mov_b32 s3, s2
	v_mov_b32_e32 v5, v3
	s_mov_b32 s5, s4
	s_cbranch_scc1 .LBB96_75
.LBB96_77:                              ;   Parent Loop BB96_76 Depth=1
                                        ; =>  This Inner Loop Header: Depth=2
	v_mov_b32_e32 v8, s3
	ds_read_b64 v[6:7], v5
	ds_read_b64 v[10:11], v8
	s_add_i32 s5, s5, -1
	s_add_i32 s3, s3, 8
	s_cmp_eq_u32 s5, 0
	v_add_u32_e32 v5, 0xc0, v5
	s_waitcnt lgkmcnt(0)
	v_fma_f64 v[1:2], -v[6:7], v[10:11], v[1:2]
	s_cbranch_scc0 .LBB96_77
	s_branch .LBB96_75
.LBB96_78:
	s_and_saveexec_b64 s[2:3], s[0:1]
	s_cbranch_execz .LBB96_82
; %bb.79:
	s_cmp_lt_i32 s22, 1
	s_cbranch_scc1 .LBB96_82
; %bb.80:
	s_ashr_i32 s11, s10, 31
	v_lshlrev_b32_e32 v2, 3, v0
	v_mov_b32_e32 v1, s15
	v_add_co_u32_e32 v0, vcc, s14, v2
	s_lshl_b64 s[0:1], s[10:11], 3
	v_addc_co_u32_e32 v1, vcc, 0, v1, vcc
	v_or_b32_e32 v2, 0x1200, v2
	v_mov_b32_e32 v3, s1
.LBB96_81:                              ; =>This Inner Loop Header: Depth=1
	ds_read_b64 v[4:5], v2
	s_add_i32 s22, s22, -1
	v_add_u32_e32 v2, 0xc0, v2
	s_cmp_lg_u32 s22, 0
	s_waitcnt lgkmcnt(0)
	global_store_dwordx2 v[0:1], v[4:5], off
	v_add_co_u32_e32 v0, vcc, s0, v0
	v_addc_co_u32_e32 v1, vcc, v1, v3, vcc
	s_cbranch_scc1 .LBB96_81
.LBB96_82:
	s_endpgm
	.section	.rodata,"a",@progbits
	.p2align	6, 0x0
	.amdhsa_kernel _ZL31rocblas_trsm_small_right_deviceIddPKdPdLi24EEv13rocblas_fill_18rocblas_operation_17rocblas_diagonal_iiT0_T1_lilT2_lili
		.amdhsa_group_segment_fixed_size 9216
		.amdhsa_private_segment_fixed_size 0
		.amdhsa_kernarg_size 360
		.amdhsa_user_sgpr_count 6
		.amdhsa_user_sgpr_private_segment_buffer 1
		.amdhsa_user_sgpr_dispatch_ptr 0
		.amdhsa_user_sgpr_queue_ptr 0
		.amdhsa_user_sgpr_kernarg_segment_ptr 1
		.amdhsa_user_sgpr_dispatch_id 0
		.amdhsa_user_sgpr_flat_scratch_init 0
		.amdhsa_user_sgpr_private_segment_size 0
		.amdhsa_uses_dynamic_stack 0
		.amdhsa_system_sgpr_private_segment_wavefront_offset 0
		.amdhsa_system_sgpr_workgroup_id_x 1
		.amdhsa_system_sgpr_workgroup_id_y 0
		.amdhsa_system_sgpr_workgroup_id_z 1
		.amdhsa_system_sgpr_workgroup_info 0
		.amdhsa_system_vgpr_workitem_id 0
		.amdhsa_next_free_vgpr 85
		.amdhsa_next_free_sgpr 98
		.amdhsa_reserve_vcc 1
		.amdhsa_reserve_flat_scratch 0
		.amdhsa_float_round_mode_32 0
		.amdhsa_float_round_mode_16_64 0
		.amdhsa_float_denorm_mode_32 3
		.amdhsa_float_denorm_mode_16_64 3
		.amdhsa_dx10_clamp 1
		.amdhsa_ieee_mode 1
		.amdhsa_fp16_overflow 0
		.amdhsa_exception_fp_ieee_invalid_op 0
		.amdhsa_exception_fp_denorm_src 0
		.amdhsa_exception_fp_ieee_div_zero 0
		.amdhsa_exception_fp_ieee_overflow 0
		.amdhsa_exception_fp_ieee_underflow 0
		.amdhsa_exception_fp_ieee_inexact 0
		.amdhsa_exception_int_div_zero 0
	.end_amdhsa_kernel
	.section	.text._ZL31rocblas_trsm_small_right_deviceIddPKdPdLi24EEv13rocblas_fill_18rocblas_operation_17rocblas_diagonal_iiT0_T1_lilT2_lili,"axG",@progbits,_ZL31rocblas_trsm_small_right_deviceIddPKdPdLi24EEv13rocblas_fill_18rocblas_operation_17rocblas_diagonal_iiT0_T1_lilT2_lili,comdat
.Lfunc_end96:
	.size	_ZL31rocblas_trsm_small_right_deviceIddPKdPdLi24EEv13rocblas_fill_18rocblas_operation_17rocblas_diagonal_iiT0_T1_lilT2_lili, .Lfunc_end96-_ZL31rocblas_trsm_small_right_deviceIddPKdPdLi24EEv13rocblas_fill_18rocblas_operation_17rocblas_diagonal_iiT0_T1_lilT2_lili
                                        ; -- End function
	.set _ZL31rocblas_trsm_small_right_deviceIddPKdPdLi24EEv13rocblas_fill_18rocblas_operation_17rocblas_diagonal_iiT0_T1_lilT2_lili.num_vgpr, 34
	.set _ZL31rocblas_trsm_small_right_deviceIddPKdPdLi24EEv13rocblas_fill_18rocblas_operation_17rocblas_diagonal_iiT0_T1_lilT2_lili.num_agpr, 0
	.set _ZL31rocblas_trsm_small_right_deviceIddPKdPdLi24EEv13rocblas_fill_18rocblas_operation_17rocblas_diagonal_iiT0_T1_lilT2_lili.numbered_sgpr, 26
	.set _ZL31rocblas_trsm_small_right_deviceIddPKdPdLi24EEv13rocblas_fill_18rocblas_operation_17rocblas_diagonal_iiT0_T1_lilT2_lili.num_named_barrier, 0
	.set _ZL31rocblas_trsm_small_right_deviceIddPKdPdLi24EEv13rocblas_fill_18rocblas_operation_17rocblas_diagonal_iiT0_T1_lilT2_lili.private_seg_size, 0
	.set _ZL31rocblas_trsm_small_right_deviceIddPKdPdLi24EEv13rocblas_fill_18rocblas_operation_17rocblas_diagonal_iiT0_T1_lilT2_lili.uses_vcc, 1
	.set _ZL31rocblas_trsm_small_right_deviceIddPKdPdLi24EEv13rocblas_fill_18rocblas_operation_17rocblas_diagonal_iiT0_T1_lilT2_lili.uses_flat_scratch, 0
	.set _ZL31rocblas_trsm_small_right_deviceIddPKdPdLi24EEv13rocblas_fill_18rocblas_operation_17rocblas_diagonal_iiT0_T1_lilT2_lili.has_dyn_sized_stack, 0
	.set _ZL31rocblas_trsm_small_right_deviceIddPKdPdLi24EEv13rocblas_fill_18rocblas_operation_17rocblas_diagonal_iiT0_T1_lilT2_lili.has_recursion, 0
	.set _ZL31rocblas_trsm_small_right_deviceIddPKdPdLi24EEv13rocblas_fill_18rocblas_operation_17rocblas_diagonal_iiT0_T1_lilT2_lili.has_indirect_call, 0
	.section	.AMDGPU.csdata,"",@progbits
; Kernel info:
; codeLenInByte = 5924
; TotalNumSgprs: 30
; NumVgprs: 34
; ScratchSize: 0
; MemoryBound: 0
; FloatMode: 240
; IeeeMode: 1
; LDSByteSize: 9216 bytes/workgroup (compile time only)
; SGPRBlocks: 12
; VGPRBlocks: 21
; NumSGPRsForWavesPerEU: 102
; NumVGPRsForWavesPerEU: 85
; Occupancy: 2
; WaveLimiterHint : 0
; COMPUTE_PGM_RSRC2:SCRATCH_EN: 0
; COMPUTE_PGM_RSRC2:USER_SGPR: 6
; COMPUTE_PGM_RSRC2:TRAP_HANDLER: 0
; COMPUTE_PGM_RSRC2:TGID_X_EN: 1
; COMPUTE_PGM_RSRC2:TGID_Y_EN: 0
; COMPUTE_PGM_RSRC2:TGID_Z_EN: 1
; COMPUTE_PGM_RSRC2:TIDIG_COMP_CNT: 0
	.section	.text._ZL38rocblas_trsm_small_left_device_sharedBILi28ELi28ELb0EddPKdPdEv13rocblas_fill_18rocblas_operation_17rocblas_diagonal_iiT3_T4_lilT5_lili,"axG",@progbits,_ZL38rocblas_trsm_small_left_device_sharedBILi28ELi28ELb0EddPKdPdEv13rocblas_fill_18rocblas_operation_17rocblas_diagonal_iiT3_T4_lilT5_lili,comdat
	.globl	_ZL38rocblas_trsm_small_left_device_sharedBILi28ELi28ELb0EddPKdPdEv13rocblas_fill_18rocblas_operation_17rocblas_diagonal_iiT3_T4_lilT5_lili ; -- Begin function _ZL38rocblas_trsm_small_left_device_sharedBILi28ELi28ELb0EddPKdPdEv13rocblas_fill_18rocblas_operation_17rocblas_diagonal_iiT3_T4_lilT5_lili
	.p2align	8
	.type	_ZL38rocblas_trsm_small_left_device_sharedBILi28ELi28ELb0EddPKdPdEv13rocblas_fill_18rocblas_operation_17rocblas_diagonal_iiT3_T4_lilT5_lili,@function
_ZL38rocblas_trsm_small_left_device_sharedBILi28ELi28ELb0EddPKdPdEv13rocblas_fill_18rocblas_operation_17rocblas_diagonal_iiT3_T4_lilT5_lili: ; @_ZL38rocblas_trsm_small_left_device_sharedBILi28ELi28ELb0EddPKdPdEv13rocblas_fill_18rocblas_operation_17rocblas_diagonal_iiT3_T4_lilT5_lili
; %bb.0:
	s_load_dwordx4 s[8:11], s[4:5], 0x4
	s_load_dwordx4 s[12:15], s[4:5], 0x18
	s_load_dwordx2 s[20:21], s[4:5], 0x28
	s_load_dwordx4 s[0:3], s[4:5], 0x38
	s_load_dwordx2 s[16:17], s[4:5], 0x48
	s_waitcnt lgkmcnt(0)
	s_min_i32 s22, s10, 28
	v_cmp_gt_i32_e32 vcc, s22, v0
	s_and_saveexec_b64 s[18:19], vcc
	s_cbranch_execz .LBB97_6
; %bb.1:
	s_load_dword s24, s[4:5], 0x30
	s_mul_i32 s1, s1, s7
	s_mul_hi_u32 s23, s0, s7
	s_mul_i32 s0, s0, s7
	s_add_i32 s1, s23, s1
	s_waitcnt lgkmcnt(0)
	s_ashr_i32 s25, s24, 31
	s_lshl_b64 s[0:1], s[0:1], 3
	s_add_u32 s14, s14, s0
	s_addc_u32 s15, s15, s1
	s_lshl_b64 s[0:1], s[20:21], 3
	s_add_u32 s0, s14, s0
	s_addc_u32 s1, s15, s1
	v_lshlrev_b32_e32 v3, 3, v0
	v_mov_b32_e32 v2, s1
	v_add_co_u32_e32 v1, vcc, s0, v3
	s_lshl_b64 s[0:1], s[24:25], 3
	v_addc_co_u32_e32 v2, vcc, 0, v2, vcc
	v_mov_b32_e32 v4, s1
	v_mov_b32_e32 v5, v3
	s_mov_b32 s1, s22
.LBB97_2:                               ; =>This Inner Loop Header: Depth=1
	global_load_dwordx2 v[6:7], v[1:2], off
	v_add_co_u32_e32 v1, vcc, s0, v1
	s_add_i32 s1, s1, -1
	v_addc_co_u32_e32 v2, vcc, v2, v4, vcc
	s_cmp_eq_u32 s1, 0
	s_waitcnt vmcnt(0)
	ds_write_b64 v5, v[6:7]
	v_add_u32_e32 v5, 0xe0, v5
	s_cbranch_scc0 .LBB97_2
; %bb.3:
	v_mul_u32_u24_e32 v4, 0xe0, v0
	v_mov_b32_e32 v1, 0
	s_cmpk_lg_i32 s9, 0x84
	v_mov_b32_e32 v2, 0x3ff00000
	v_add_u32_e32 v3, v3, v4
	s_cbranch_scc0 .LBB97_5
; %bb.4:
	ds_read_b64 v[1:2], v3
	s_waitcnt lgkmcnt(0)
	v_div_scale_f64 v[4:5], s[0:1], v[1:2], v[1:2], 1.0
	v_div_scale_f64 v[10:11], vcc, 1.0, v[1:2], 1.0
	v_rcp_f64_e32 v[6:7], v[4:5]
	v_fma_f64 v[8:9], -v[4:5], v[6:7], 1.0
	v_fma_f64 v[6:7], v[6:7], v[8:9], v[6:7]
	v_fma_f64 v[8:9], -v[4:5], v[6:7], 1.0
	v_fma_f64 v[6:7], v[6:7], v[8:9], v[6:7]
	v_mul_f64 v[8:9], v[10:11], v[6:7]
	v_fma_f64 v[4:5], -v[4:5], v[8:9], v[10:11]
	v_div_fmas_f64 v[4:5], v[4:5], v[6:7], v[8:9]
	v_div_fixup_f64 v[1:2], v[4:5], v[1:2], 1.0
.LBB97_5:
	ds_write_b64 v3, v[1:2]
.LBB97_6:
	s_or_b64 exec, exec, s[18:19]
	s_load_dword s0, s[4:5], 0x68
	s_load_dwordx2 s[14:15], s[4:5], 0x58
	s_load_dword s9, s[4:5], 0x50
	s_waitcnt lgkmcnt(0)
	s_mul_i32 s1, s15, s7
	s_mul_hi_u32 s5, s14, s7
	s_mul_i32 s4, s14, s7
	s_add_i32 s5, s5, s1
	s_lshl_b64 s[4:5], s[4:5], 3
	s_add_u32 s1, s2, s4
	s_addc_u32 s4, s3, s5
	s_lshl_b64 s[2:3], s[16:17], 3
	s_add_u32 s2, s1, s2
	s_mul_i32 s1, s6, 0xffffffe4
	s_addc_u32 s3, s4, s3
	s_add_i32 s0, s0, -1
	s_add_i32 s1, s11, s1
	s_cmp_ge_u32 s6, s0
	s_mul_i32 s6, s6, 28
	s_cselect_b32 s4, s1, 28
	s_mul_hi_i32 s1, s9, s6
	s_mul_i32 s0, s9, s6
	s_lshl_b64 s[0:1], s[0:1], 3
	s_add_u32 s6, s2, s0
	s_addc_u32 s7, s3, s1
	s_cmp_gt_i32 s10, 0
	v_cmp_gt_i32_e64 s[0:1], s4, v0
	s_cselect_b64 s[2:3], -1, 0
	s_and_b64 s[14:15], s[0:1], s[2:3]
	s_and_saveexec_b64 s[4:5], s[14:15]
	s_cbranch_execz .LBB97_9
; %bb.7:
	v_mad_i64_i32 v[1:2], s[14:15], s9, v0, 0
	v_mov_b32_e32 v3, s7
	s_mov_b32 s11, s22
	v_lshlrev_b64 v[1:2], 3, v[1:2]
	v_add_co_u32_e32 v1, vcc, s6, v1
	v_addc_co_u32_e32 v2, vcc, v3, v2, vcc
	v_mov_b32_e32 v3, 0x1880
	v_lshl_add_u32 v3, v0, 3, v3
.LBB97_8:                               ; =>This Inner Loop Header: Depth=1
	global_load_dwordx2 v[4:5], v[1:2], off
	s_add_i32 s11, s11, -1
	v_add_co_u32_e32 v1, vcc, 8, v1
	v_addc_co_u32_e32 v2, vcc, 0, v2, vcc
	s_cmp_lg_u32 s11, 0
	s_waitcnt vmcnt(0)
	v_mul_f64 v[4:5], s[12:13], v[4:5]
	ds_write_b64 v3, v[4:5]
	v_add_u32_e32 v3, 0xe0, v3
	s_cbranch_scc1 .LBB97_8
.LBB97_9:
	s_or_b64 exec, exec, s[4:5]
	v_mov_b32_e32 v1, 0x1880
	s_cmpk_eq_i32 s8, 0x6f
	v_lshl_add_u32 v57, v0, 3, v1
	s_mov_b64 s[4:5], -1
	s_waitcnt lgkmcnt(0)
	; wave barrier
	s_cbranch_scc1 .LBB97_24
; %bb.10:
	s_cmp_gt_i32 s10, 27
	s_cselect_b64 s[4:5], -1, 0
	s_mov_b32 s8, 0
	s_and_b64 vcc, exec, s[4:5]
	s_cbranch_vccz .LBB97_12
; %bb.11:
	v_mov_b32_e32 v42, 0
	ds_read2_b64 v[1:4], v57 offset1:28
	ds_read2_b64 v[7:10], v42 offset1:58
	ds_read_b128 v[11:14], v42 offset:224
	ds_read_b128 v[15:18], v42 offset:448
	ds_read2_b64 v[19:22], v57 offset0:56 offset1:84
	ds_read2_b64 v[23:26], v57 offset0:112 offset1:140
	;; [unrolled: 1-line block ×4, first 2 shown]
	v_add_u32_e32 v41, 0x800, v57
	s_movk_i32 s8, 0x400
	s_waitcnt lgkmcnt(6)
	v_mul_f64 v[5:6], v[7:8], v[1:2]
	v_add_u32_e64 v122, s8, 0
	s_movk_i32 s8, 0x800
	s_waitcnt lgkmcnt(5)
	v_fma_f64 v[1:2], -v[5:6], v[11:12], v[3:4]
	s_waitcnt lgkmcnt(3)
	v_fma_f64 v[15:16], -v[5:6], v[15:16], v[19:20]
	v_mul_f64 v[7:8], v[13:14], v[1:2]
	ds_read2_b64 v[35:38], v41 offset0:24 offset1:52
	ds_read_b128 v[11:14], v42 offset:672
	ds_read2_b64 v[43:46], v41 offset0:80 offset1:108
	ds_read2_b64 v[47:50], v41 offset0:136 offset1:164
	;; [unrolled: 1-line block ×3, first 2 shown]
	ds_read_b128 v[51:54], v42 offset:688
	s_waitcnt lgkmcnt(4)
	v_fma_f64 v[11:12], -v[5:6], v[11:12], v[21:22]
	v_fma_f64 v[39:40], -v[7:8], v[17:18], v[15:16]
	ds_read_b128 v[15:18], v42 offset:896
	ds_read_b128 v[19:22], v42 offset:912
	ds_read2_b64 v[58:61], v42 offset0:116 offset1:174
	ds_read_b128 v[62:65], v42 offset:1120
	ds_read_b128 v[66:69], v42 offset:1136
	s_waitcnt lgkmcnt(4)
	v_fma_f64 v[15:16], -v[5:6], v[15:16], v[23:24]
	v_fma_f64 v[23:24], -v[7:8], v[13:14], v[11:12]
	ds_read_b128 v[70:73], v42 offset:1152
	ds_read_b128 v[11:14], v42 offset:1344
	;; [unrolled: 1-line block ×6, first 2 shown]
	s_waitcnt lgkmcnt(4)
	v_fma_f64 v[27:28], -v[5:6], v[11:12], v[27:28]
	v_mul_f64 v[9:10], v[9:10], v[39:40]
	v_fma_f64 v[39:40], -v[5:6], v[62:63], v[25:26]
	v_fma_f64 v[55:56], -v[7:8], v[17:18], v[15:16]
	;; [unrolled: 1-line block ×6, first 2 shown]
	s_waitcnt lgkmcnt(1)
	v_fma_f64 v[55:56], -v[5:6], v[82:83], v[29:30]
	ds_read_b128 v[23:26], v42 offset:1600
	ds_read_b128 v[90:93], v42 offset:1616
	;; [unrolled: 1-line block ×4, first 2 shown]
	v_fma_f64 v[74:75], -v[9:10], v[74:75], v[13:14]
	s_waitcnt lgkmcnt(1)
	v_fma_f64 v[15:16], -v[5:6], v[15:16], v[31:32]
	v_mul_f64 v[11:12], v[53:54], v[51:52]
	v_fma_f64 v[39:40], -v[9:10], v[66:67], v[39:40]
	v_fma_f64 v[55:56], -v[7:8], v[84:85], v[55:56]
	ds_read_b128 v[51:54], v42 offset:1824
	ds_read_b128 v[62:65], v42 offset:1840
	;; [unrolled: 1-line block ×4, first 2 shown]
	v_fma_f64 v[15:16], -v[7:8], v[17:18], v[15:16]
	v_fma_f64 v[66:67], -v[11:12], v[21:22], v[19:20]
	;; [unrolled: 1-line block ×5, first 2 shown]
	ds_read_b128 v[19:22], v42 offset:2048
	ds_read_b128 v[27:30], v42 offset:2064
	;; [unrolled: 1-line block ×4, first 2 shown]
	s_waitcnt lgkmcnt(8)
	v_fma_f64 v[94:95], -v[9:10], v[94:95], v[15:16]
	v_mul_f64 v[13:14], v[58:59], v[66:67]
	s_waitcnt lgkmcnt(5)
	v_fma_f64 v[58:59], -v[5:6], v[98:99], v[33:34]
	s_waitcnt lgkmcnt(0)
	v_fma_f64 v[98:99], -v[5:6], v[110:111], v[35:36]
	v_fma_f64 v[17:18], -v[11:12], v[88:89], v[17:18]
	ds_read_b128 v[66:69], v42 offset:2256
	ds_read_b128 v[82:85], v42 offset:2272
	;; [unrolled: 1-line block ×6, first 2 shown]
	v_fma_f64 v[94:95], -v[11:12], v[96:97], v[94:95]
	v_fma_f64 v[39:40], -v[13:14], v[70:71], v[39:40]
	;; [unrolled: 1-line block ×6, first 2 shown]
	v_mul_f64 v[15:16], v[72:73], v[39:40]
	s_waitcnt lgkmcnt(1)
	v_fma_f64 v[39:40], -v[5:6], v[74:75], v[37:38]
	v_fma_f64 v[74:75], -v[7:8], v[112:113], v[98:99]
	;; [unrolled: 1-line block ×3, first 2 shown]
	ds_read_b128 v[70:73], v42 offset:2496
	ds_read_b128 v[86:89], v42 offset:2512
	;; [unrolled: 1-line block ×3, first 2 shown]
	v_fma_f64 v[23:24], -v[15:16], v[80:81], v[55:56]
	ds_read_b128 v[78:81], v42 offset:2704
	s_waitcnt lgkmcnt(1)
	v_fma_f64 v[35:36], -v[5:6], v[35:36], v[43:44]
	v_fma_f64 v[39:40], -v[7:8], v[76:77], v[39:40]
	v_fma_f64 v[43:44], -v[9:10], v[66:67], v[74:75]
	v_fma_f64 v[55:56], -v[11:12], v[104:105], v[58:59]
	v_fma_f64 v[66:67], -v[15:16], v[25:26], v[17:18]
	v_fma_f64 v[51:52], -v[15:16], v[53:54], v[51:52]
	v_mul_f64 v[17:18], v[60:61], v[23:24]
	ds_read_b128 v[58:61], v42 offset:2528
	ds_read_b128 v[74:77], v42 offset:2544
	;; [unrolled: 1-line block ×3, first 2 shown]
	v_fma_f64 v[94:95], -v[7:8], v[37:38], v[35:36]
	v_fma_f64 v[39:40], -v[9:10], v[118:119], v[39:40]
	;; [unrolled: 1-line block ×4, first 2 shown]
	s_waitcnt lgkmcnt(0)
	v_fma_f64 v[55:56], -v[5:6], v[23:24], v[45:46]
	ds_read_b128 v[35:38], v42 offset:2928
	v_fma_f64 v[53:54], -v[17:18], v[90:91], v[66:67]
	v_fma_f64 v[62:63], -v[17:18], v[62:63], v[51:52]
	;; [unrolled: 1-line block ×7, first 2 shown]
	v_mul_f64 v[19:20], v[92:93], v[53:54]
	ds_read_b128 v[21:24], v42 offset:2720
	ds_read_b128 v[43:46], v42 offset:2736
	;; [unrolled: 1-line block ×3, first 2 shown]
	v_fma_f64 v[66:67], -v[11:12], v[80:81], v[66:67]
	v_fma_f64 v[39:40], -v[13:14], v[70:71], v[39:40]
	v_fma_f64 v[68:69], -v[15:16], v[84:85], v[68:69]
	v_fma_f64 v[70:71], -v[17:18], v[27:28], v[78:79]
	s_waitcnt lgkmcnt(0)
	v_fma_f64 v[47:48], -v[5:6], v[51:52], v[47:48]
	ds_read2_b64 v[25:28], v122 offset0:104 offset1:162
	v_fma_f64 v[62:63], -v[19:20], v[64:65], v[62:63]
	v_fma_f64 v[35:36], -v[9:10], v[35:36], v[55:56]
	;; [unrolled: 1-line block ×6, first 2 shown]
	s_waitcnt lgkmcnt(0)
	v_mul_f64 v[21:22], v[25:26], v[62:63]
	v_fma_f64 v[25:26], -v[7:8], v[53:54], v[47:48]
	ds_read_b128 v[29:32], v42 offset:2944
	ds_read_b128 v[62:65], v42 offset:3152
	v_fma_f64 v[47:48], -v[11:12], v[37:38], v[35:36]
	v_fma_f64 v[23:24], -v[15:16], v[23:24], v[51:52]
	;; [unrolled: 1-line block ×4, first 2 shown]
	ds_read_b128 v[33:36], v42 offset:2960
	ds_read_b128 v[37:40], v42 offset:3168
	v_fma_f64 v[55:56], -v[21:22], v[106:107], v[66:67]
	s_waitcnt lgkmcnt(2)
	v_fma_f64 v[25:26], -v[9:10], v[62:63], v[25:26]
	v_fma_f64 v[29:30], -v[13:14], v[29:30], v[47:48]
	;; [unrolled: 1-line block ×5, first 2 shown]
	ds_read_b128 v[51:54], v42 offset:2752
	ds_read_b128 v[66:69], v42 offset:2768
	v_mul_f64 v[23:24], v[108:109], v[55:56]
	v_fma_f64 v[25:26], -v[11:12], v[64:65], v[25:26]
	ds_read_b128 v[62:65], v42 offset:2976
	ds_read_b128 v[70:73], v42 offset:3360
	v_fma_f64 v[55:56], -v[15:16], v[31:32], v[29:30]
	v_fma_f64 v[80:81], -v[19:20], v[45:46], v[43:44]
	;; [unrolled: 1-line block ×3, first 2 shown]
	ds_read_b128 v[43:46], v42 offset:3584
	s_waitcnt lgkmcnt(1)
	v_fma_f64 v[70:71], -v[5:6], v[70:71], v[49:50]
	v_fma_f64 v[58:59], -v[23:24], v[116:117], v[78:79]
	;; [unrolled: 1-line block ×3, first 2 shown]
	ds_read_b128 v[29:32], v42 offset:3376
	v_fma_f64 v[33:34], -v[17:18], v[33:34], v[55:56]
	v_fma_f64 v[51:52], -v[21:22], v[51:52], v[80:81]
	;; [unrolled: 1-line block ×3, first 2 shown]
	ds_read_b128 v[47:50], v42 offset:3184
	s_waitcnt lgkmcnt(2)
	v_fma_f64 v[1:2], -v[5:6], v[43:44], v[1:2]
	v_mul_f64 v[25:26], v[27:28], v[58:59]
	v_fma_f64 v[27:28], -v[15:16], v[39:40], v[37:38]
	v_fma_f64 v[43:44], -v[7:8], v[72:73], v[70:71]
	;; [unrolled: 1-line block ×4, first 2 shown]
	ds_read_b128 v[51:54], v42 offset:2992
	ds_read_b128 v[33:36], v42 offset:3200
	v_fma_f64 v[45:46], -v[7:8], v[45:46], v[1:2]
	v_fma_f64 v[55:56], -v[25:26], v[74:75], v[55:56]
	s_waitcnt lgkmcnt(2)
	v_fma_f64 v[27:28], -v[17:18], v[47:48], v[27:28]
	v_fma_f64 v[43:44], -v[9:10], v[29:30], v[43:44]
	;; [unrolled: 1-line block ×3, first 2 shown]
	ds_read_b128 v[37:40], v42 offset:3600
	v_add_u32_e64 v62, s8, 0
	v_fma_f64 v[58:59], -v[25:26], v[66:67], v[60:61]
	s_movk_i32 s8, 0xc00
	v_mul_f64 v[1:2], v[76:77], v[55:56]
	v_fma_f64 v[49:50], -v[19:20], v[49:50], v[27:28]
	ds_read_b128 v[27:30], v42 offset:3392
	v_fma_f64 v[55:56], -v[11:12], v[31:32], v[43:44]
	v_fma_f64 v[60:61], -v[23:24], v[64:65], v[47:48]
	s_waitcnt lgkmcnt(1)
	v_fma_f64 v[37:38], -v[9:10], v[37:38], v[45:46]
	ds_read2_b64 v[43:46], v62 offset0:92 offset1:150
	v_fma_f64 v[66:67], -v[1:2], v[68:69], v[58:59]
	v_fma_f64 v[62:63], -v[21:22], v[33:34], v[49:50]
	ds_read_b128 v[31:34], v42 offset:3408
	ds_read_b128 v[47:50], v42 offset:3808
	s_waitcnt lgkmcnt(3)
	v_fma_f64 v[27:28], -v[13:14], v[27:28], v[55:56]
	v_fma_f64 v[51:52], -v[25:26], v[51:52], v[60:61]
	v_fma_f64 v[55:56], -v[11:12], v[39:40], v[37:38]
	ds_read_b128 v[58:61], v42 offset:3616
	s_waitcnt lgkmcnt(1)
	v_fma_f64 v[47:48], -v[5:6], v[47:48], v[3:4]
	v_mul_f64 v[3:4], v[43:44], v[66:67]
	v_fma_f64 v[35:36], -v[23:24], v[35:36], v[62:63]
	ds_read_b128 v[62:65], v42 offset:3216
	v_fma_f64 v[68:69], -v[15:16], v[29:30], v[27:28]
	v_fma_f64 v[66:67], -v[1:2], v[53:54], v[51:52]
	ds_read_b128 v[51:54], v42 offset:3008
	ds_read_b128 v[37:40], v42 offset:3824
	;; [unrolled: 1-line block ×3, first 2 shown]
	v_add_u32_e32 v43, 0xc00, v57
	s_waitcnt lgkmcnt(3)
	v_fma_f64 v[62:63], -v[25:26], v[62:63], v[35:36]
	v_add_u32_e32 v44, 0x1000, v57
	v_fma_f64 v[31:32], -v[17:18], v[31:32], v[68:69]
	s_waitcnt lgkmcnt(2)
	v_fma_f64 v[51:52], -v[3:4], v[51:52], v[66:67]
	v_fma_f64 v[70:71], -v[1:2], v[64:65], v[62:63]
	ds_read_b128 v[62:65], v42 offset:3440
	v_fma_f64 v[55:56], -v[13:14], v[58:59], v[55:56]
	v_fma_f64 v[58:59], -v[7:8], v[49:50], v[47:48]
	;; [unrolled: 1-line block ×3, first 2 shown]
	ds_read_b128 v[31:34], v42 offset:4032
	ds_read_b128 v[47:50], v42 offset:3232
	v_fma_f64 v[55:56], -v[15:16], v[60:61], v[55:56]
	s_waitcnt lgkmcnt(4)
	v_fma_f64 v[68:69], -v[9:10], v[37:38], v[58:59]
	ds_read2_b64 v[35:38], v43 offset0:120 offset1:148
	ds_read_b128 v[58:61], v42 offset:3424
	s_waitcnt lgkmcnt(2)
	v_fma_f64 v[47:48], -v[3:4], v[47:48], v[70:71]
	s_waitcnt lgkmcnt(1)
	v_fma_f64 v[35:36], -v[5:6], v[31:32], v[35:36]
	v_fma_f64 v[55:56], -v[17:18], v[27:28], v[55:56]
	;; [unrolled: 1-line block ×3, first 2 shown]
	ds_read_b128 v[66:69], v42 offset:3840
	s_waitcnt lgkmcnt(1)
	v_fma_f64 v[58:59], -v[21:22], v[58:59], v[72:73]
	v_mul_f64 v[27:28], v[53:54], v[51:52]
	ds_read_b128 v[51:54], v42 offset:3648
	v_fma_f64 v[72:73], -v[7:8], v[33:34], v[35:36]
	v_fma_f64 v[55:56], -v[19:20], v[29:30], v[55:56]
	s_waitcnt lgkmcnt(1)
	v_fma_f64 v[39:40], -v[13:14], v[66:67], v[39:40]
	ds_read_b128 v[29:32], v42 offset:3856
	v_fma_f64 v[74:75], -v[23:24], v[60:61], v[58:59]
	ds_read_b128 v[33:36], v42 offset:4048
	ds_read_b128 v[58:61], v42 offset:3664
	s_waitcnt lgkmcnt(3)
	v_fma_f64 v[51:52], -v[21:22], v[51:52], v[55:56]
	v_fma_f64 v[39:40], -v[15:16], v[68:69], v[39:40]
	s_waitcnt lgkmcnt(1)
	v_fma_f64 v[33:34], -v[9:10], v[33:34], v[72:73]
	v_fma_f64 v[55:56], -v[27:28], v[49:50], v[47:48]
	ds_read_b128 v[47:50], v42 offset:4256
	v_fma_f64 v[62:63], -v[25:26], v[62:63], v[74:75]
	ds_read_b128 v[66:69], v42 offset:4064
	ds_read_b128 v[70:73], v42 offset:3936
	v_fma_f64 v[74:75], -v[23:24], v[53:54], v[51:52]
	v_fma_f64 v[39:40], -v[17:18], v[29:30], v[39:40]
	;; [unrolled: 1-line block ×3, first 2 shown]
	v_mul_f64 v[29:30], v[45:46], v[55:56]
	ds_read_b128 v[51:54], v42 offset:4272
	s_waitcnt lgkmcnt(3)
	v_fma_f64 v[55:56], -v[5:6], v[47:48], v[37:38]
	v_fma_f64 v[78:79], -v[1:2], v[64:65], v[62:63]
	ds_read2_b64 v[33:36], v44 offset0:48 offset1:76
	v_fma_f64 v[58:59], -v[25:26], v[58:59], v[74:75]
	v_fma_f64 v[31:32], -v[19:20], v[31:32], v[39:40]
	s_waitcnt lgkmcnt(3)
	v_fma_f64 v[66:67], -v[13:14], v[66:67], v[76:77]
	ds_read_b128 v[37:40], v42 offset:3872
	ds_read_b128 v[45:48], v42 offset:3456
	;; [unrolled: 1-line block ×4, first 2 shown]
	v_fma_f64 v[49:50], -v[7:8], v[49:50], v[55:56]
	s_waitcnt lgkmcnt(2)
	v_fma_f64 v[45:46], -v[3:4], v[45:46], v[78:79]
	v_fma_f64 v[82:83], -v[1:2], v[60:61], v[58:59]
	;; [unrolled: 1-line block ×4, first 2 shown]
	ds_read_b128 v[58:61], v42 offset:3680
	ds_read_b128 v[66:69], v42 offset:4080
	;; [unrolled: 1-line block ×3, first 2 shown]
	v_fma_f64 v[84:85], -v[9:10], v[51:52], v[49:50]
	ds_read_b128 v[49:52], v42 offset:4480
	s_waitcnt lgkmcnt(3)
	v_fma_f64 v[58:59], -v[3:4], v[58:59], v[82:83]
	v_fma_f64 v[86:87], -v[23:24], v[39:40], v[31:32]
	s_waitcnt lgkmcnt(2)
	v_fma_f64 v[55:56], -v[17:18], v[66:67], v[55:56]
	s_waitcnt lgkmcnt(0)
	v_fma_f64 v[49:50], -v[5:6], v[49:50], v[33:34]
	v_fma_f64 v[66:67], -v[27:28], v[47:48], v[45:46]
	;; [unrolled: 1-line block ×3, first 2 shown]
	ds_read_b128 v[31:34], v42 offset:4288
	ds_read_b128 v[37:40], v42 offset:4096
	;; [unrolled: 1-line block ×3, first 2 shown]
	v_fma_f64 v[74:75], -v[25:26], v[74:75], v[86:87]
	v_fma_f64 v[68:69], -v[19:20], v[68:69], v[55:56]
	;; [unrolled: 1-line block ×3, first 2 shown]
	ds_read_b128 v[49:52], v42 offset:4304
	s_waitcnt lgkmcnt(3)
	v_fma_f64 v[31:32], -v[13:14], v[31:32], v[53:54]
	v_fma_f64 v[62:63], -v[29:30], v[62:63], v[66:67]
	;; [unrolled: 1-line block ×3, first 2 shown]
	ds_read_b128 v[53:56], v42 offset:3904
	v_fma_f64 v[74:75], -v[1:2], v[76:77], v[74:75]
	ds_read2_b64 v[58:61], v44 offset0:104 offset1:132
	v_fma_f64 v[76:77], -v[9:10], v[78:79], v[82:83]
	v_fma_f64 v[33:34], -v[15:16], v[33:34], v[31:32]
	v_mul_f64 v[31:32], v[64:65], v[62:63]
	ds_read_b128 v[62:65], v42 offset:3920
	s_waitcnt lgkmcnt(5)
	v_fma_f64 v[37:38], -v[21:22], v[37:38], v[68:69]
	s_waitcnt lgkmcnt(4)
	v_fma_f64 v[45:46], -v[29:30], v[45:46], v[66:67]
	;; [unrolled: 2-line block ×3, first 2 shown]
	v_fma_f64 v[86:87], -v[11:12], v[80:81], v[76:77]
	v_fma_f64 v[33:34], -v[17:18], v[49:50], v[33:34]
	;; [unrolled: 1-line block ×3, first 2 shown]
	ds_read_b128 v[37:40], v42 offset:4512
	ds_read_b128 v[66:69], v42 offset:4112
	ds_read_b128 v[74:77], v42 offset:4128
	ds_read_b128 v[78:81], v42 offset:4704
	ds_read_b128 v[82:85], v42 offset:4528
	s_waitcnt lgkmcnt(4)
	v_fma_f64 v[37:38], -v[13:14], v[37:38], v[86:87]
	v_fma_f64 v[51:52], -v[19:20], v[51:52], v[33:34]
	s_waitcnt lgkmcnt(3)
	v_fma_f64 v[49:50], -v[25:26], v[66:67], v[88:89]
	s_waitcnt lgkmcnt(1)
	v_fma_f64 v[66:67], -v[5:6], v[78:79], v[35:36]
	v_fma_f64 v[78:79], -v[31:32], v[47:48], v[45:46]
	;; [unrolled: 1-line block ×4, first 2 shown]
	ds_read_b128 v[33:36], v42 offset:4320
	ds_read_b128 v[37:40], v42 offset:4336
	;; [unrolled: 1-line block ×3, first 2 shown]
	v_fma_f64 v[49:50], -v[1:2], v[68:69], v[49:50]
	v_fma_f64 v[55:56], -v[7:8], v[80:81], v[66:67]
	s_waitcnt lgkmcnt(2)
	v_fma_f64 v[33:34], -v[21:22], v[33:34], v[51:52]
	v_fma_f64 v[62:63], -v[29:30], v[62:63], v[45:46]
	;; [unrolled: 1-line block ×3, first 2 shown]
	v_add_u32_e64 v47, s8, 0
	ds_read2_b64 v[45:48], v47 offset0:80 offset1:138
	s_movk_i32 s8, 0x1000
	v_fma_f64 v[66:67], -v[3:4], v[74:75], v[49:50]
	ds_read_b128 v[49:52], v42 offset:4928
	s_waitcnt lgkmcnt(2)
	v_fma_f64 v[68:69], -v[9:10], v[86:87], v[55:56]
	v_fma_f64 v[35:36], -v[23:24], v[35:36], v[33:34]
	s_waitcnt lgkmcnt(1)
	v_mul_f64 v[33:34], v[45:46], v[78:79]
	v_fma_f64 v[45:46], -v[31:32], v[64:65], v[62:63]
	s_waitcnt lgkmcnt(0)
	v_fma_f64 v[49:50], -v[5:6], v[49:50], v[58:59]
	v_fma_f64 v[58:59], -v[19:20], v[84:85], v[53:54]
	ds_read_b128 v[53:56], v42 offset:4544
	v_fma_f64 v[86:87], -v[27:28], v[76:77], v[66:67]
	v_fma_f64 v[74:75], -v[11:12], v[88:89], v[68:69]
	;; [unrolled: 1-line block ×3, first 2 shown]
	ds_read_b128 v[35:38], v42 offset:4560
	ds_read_b128 v[62:65], v42 offset:4736
	v_fma_f64 v[45:46], -v[33:34], v[70:71], v[45:46]
	v_fma_f64 v[90:91], -v[7:8], v[51:52], v[49:50]
	s_waitcnt lgkmcnt(2)
	v_fma_f64 v[53:54], -v[21:22], v[53:54], v[58:59]
	ds_read_b128 v[49:52], v42 offset:4752
	ds_read_b128 v[66:69], v42 offset:4944
	v_add_u32_e64 v102, s8, 0
	s_waitcnt lgkmcnt(2)
	v_fma_f64 v[58:59], -v[13:14], v[62:63], v[74:75]
	v_fma_f64 v[39:40], -v[1:2], v[39:40], v[88:89]
	ds_read_b128 v[74:77], v42 offset:4144
	ds_read_b128 v[78:81], v42 offset:4160
	;; [unrolled: 1-line block ×3, first 2 shown]
	s_mov_b32 s8, 28
	s_waitcnt lgkmcnt(3)
	v_fma_f64 v[66:67], -v[9:10], v[66:67], v[90:91]
	v_fma_f64 v[90:91], -v[23:24], v[55:56], v[53:54]
	ds_read_b128 v[53:56], v42 offset:4352
	s_waitcnt lgkmcnt(3)
	v_fma_f64 v[74:75], -v[29:30], v[74:75], v[86:87]
	v_fma_f64 v[58:59], -v[15:16], v[64:65], v[58:59]
	ds_read_b128 v[62:65], v42 offset:4368
	s_waitcnt lgkmcnt(1)
	v_fma_f64 v[39:40], -v[3:4], v[53:54], v[39:40]
	v_fma_f64 v[66:67], -v[11:12], v[68:69], v[66:67]
	;; [unrolled: 1-line block ×3, first 2 shown]
	v_mul_f64 v[35:36], v[72:73], v[45:46]
	v_fma_f64 v[53:54], -v[31:32], v[76:77], v[74:75]
	v_fma_f64 v[49:50], -v[17:18], v[49:50], v[58:59]
	;; [unrolled: 1-line block ×5, first 2 shown]
	ds_read_b128 v[37:40], v42 offset:4576
	v_fma_f64 v[74:75], -v[19:20], v[51:52], v[49:50]
	v_fma_f64 v[78:79], -v[33:34], v[78:79], v[53:54]
	ds_read_b128 v[49:52], v42 offset:4592
	ds_read_b128 v[53:56], v42 offset:4768
	v_fma_f64 v[45:46], -v[15:16], v[84:85], v[45:46]
	s_waitcnt lgkmcnt(2)
	v_fma_f64 v[37:38], -v[3:4], v[37:38], v[58:59]
	v_fma_f64 v[58:59], -v[29:30], v[62:63], v[66:67]
	ds_read_b128 v[66:69], v42 offset:4976
	ds_read_b128 v[70:73], v42 offset:4784
	s_waitcnt lgkmcnt(2)
	v_fma_f64 v[53:54], -v[21:22], v[53:54], v[74:75]
	ds_read_b128 v[74:77], v42 offset:4992
	v_fma_f64 v[78:79], -v[35:36], v[80:81], v[78:79]
	s_waitcnt lgkmcnt(2)
	v_fma_f64 v[45:46], -v[17:18], v[66:67], v[45:46]
	v_fma_f64 v[62:63], -v[27:28], v[39:40], v[37:38]
	;; [unrolled: 1-line block ×4, first 2 shown]
	ds_read_b128 v[37:40], v42 offset:4384
	ds_read_b128 v[53:56], v42 offset:4400
	v_fma_f64 v[45:46], -v[19:20], v[68:69], v[45:46]
	v_fma_f64 v[49:50], -v[29:30], v[49:50], v[62:63]
	ds_read_b128 v[62:65], v42 offset:5152
	s_waitcnt lgkmcnt(2)
	v_fma_f64 v[58:59], -v[33:34], v[37:38], v[58:59]
	v_fma_f64 v[70:71], -v[25:26], v[70:71], v[66:67]
	v_mul_f64 v[37:38], v[47:48], v[78:79]
	ds_read_b128 v[66:69], v42 offset:5168
	s_waitcnt lgkmcnt(1)
	v_fma_f64 v[60:61], -v[5:6], v[62:63], v[60:61]
	v_fma_f64 v[62:63], -v[21:22], v[74:75], v[45:46]
	;; [unrolled: 1-line block ×3, first 2 shown]
	ds_read_b128 v[45:48], v42 offset:4608
	v_fma_f64 v[39:40], -v[35:36], v[39:40], v[58:59]
	v_fma_f64 v[78:79], -v[1:2], v[72:73], v[70:71]
	ds_read_b128 v[49:52], v42 offset:4800
	v_fma_f64 v[80:81], -v[7:8], v[64:65], v[60:61]
	v_fma_f64 v[82:83], -v[23:24], v[76:77], v[62:63]
	ds_read_b128 v[58:61], v42 offset:4624
	s_waitcnt lgkmcnt(2)
	v_fma_f64 v[45:46], -v[33:34], v[45:46], v[74:75]
	ds_read_b128 v[62:65], v42 offset:5008
	ds_read_b128 v[70:73], v42 offset:4816
	s_waitcnt lgkmcnt(3)
	v_fma_f64 v[49:50], -v[3:4], v[49:50], v[78:79]
	ds_read_b128 v[74:77], v42 offset:5024
	v_fma_f64 v[39:40], -v[37:38], v[53:54], v[39:40]
	v_fma_f64 v[66:67], -v[9:10], v[66:67], v[80:81]
	s_waitcnt lgkmcnt(2)
	v_fma_f64 v[62:63], -v[25:26], v[62:63], v[82:83]
	ds_read_b128 v[78:81], v42 offset:4864
	ds_read2_b64 v[82:85], v44 offset0:160 offset1:188
	v_fma_f64 v[53:54], -v[35:36], v[47:48], v[45:46]
	ds_read_b128 v[45:48], v42 offset:5376
	v_fma_f64 v[86:87], -v[27:28], v[51:52], v[49:50]
	v_mul_f64 v[39:40], v[55:56], v[39:40]
	v_fma_f64 v[66:67], -v[11:12], v[68:69], v[66:67]
	s_waitcnt lgkmcnt(0)
	v_fma_f64 v[45:46], -v[5:6], v[45:46], v[82:83]
	v_fma_f64 v[68:69], -v[1:2], v[64:65], v[62:63]
	ds_read_b128 v[49:52], v42 offset:5184
	ds_read_b128 v[62:65], v42 offset:5392
	v_fma_f64 v[58:59], -v[37:38], v[58:59], v[53:54]
	ds_read_b128 v[53:56], v42 offset:5200
	s_waitcnt lgkmcnt(2)
	v_fma_f64 v[49:50], -v[13:14], v[49:50], v[66:67]
	v_fma_f64 v[66:67], -v[29:30], v[70:71], v[86:87]
	;; [unrolled: 1-line block ×4, first 2 shown]
	ds_read2_b64 v[45:48], v44 offset0:216 offset1:244
	v_fma_f64 v[98:99], -v[39:40], v[60:61], v[58:59]
	v_fma_f64 v[74:75], -v[15:16], v[51:52], v[49:50]
	ds_read2_b64 v[49:52], v102 offset0:68 offset1:126
	s_waitcnt lgkmcnt(3)
	v_fma_f64 v[62:63], -v[9:10], v[62:63], v[70:71]
	v_fma_f64 v[82:83], -v[27:28], v[76:77], v[68:69]
	;; [unrolled: 1-line block ×3, first 2 shown]
	ds_read_b128 v[58:61], v42 offset:5040
	ds_read_b128 v[66:69], v42 offset:4832
	;; [unrolled: 1-line block ×3, first 2 shown]
	s_waitcnt lgkmcnt(5)
	v_fma_f64 v[53:54], -v[17:18], v[53:54], v[74:75]
	ds_read_b128 v[74:77], v42 offset:5600
	ds_read_b128 v[86:89], v42 offset:5056
	v_fma_f64 v[94:95], -v[11:12], v[64:65], v[62:63]
	s_waitcnt lgkmcnt(4)
	v_fma_f64 v[58:59], -v[29:30], v[58:59], v[82:83]
	ds_read_b128 v[62:65], v42 offset:5616
	s_waitcnt lgkmcnt(2)
	v_fma_f64 v[74:75], -v[5:6], v[74:75], v[84:85]
	ds_read_b128 v[82:85], v42 offset:5408
	v_fma_f64 v[66:67], -v[33:34], v[66:67], v[90:91]
	v_fma_f64 v[100:101], -v[19:20], v[55:56], v[53:54]
	ds_read_b128 v[53:56], v42 offset:5216
	ds_read_b128 v[90:93], v42 offset:5424
	s_waitcnt lgkmcnt(2)
	v_fma_f64 v[82:83], -v[13:14], v[82:83], v[94:95]
	ds_read_b128 v[94:97], v42 offset:5824
	v_fma_f64 v[74:75], -v[7:8], v[76:77], v[74:75]
	v_fma_f64 v[76:77], -v[31:32], v[60:61], v[58:59]
	ds_read_b128 v[58:61], v42 offset:5232
	s_waitcnt lgkmcnt(3)
	v_fma_f64 v[53:54], -v[21:22], v[53:54], v[100:101]
	s_waitcnt lgkmcnt(1)
	v_fma_f64 v[45:46], -v[5:6], v[94:95], v[45:46]
	v_mul_f64 v[94:95], v[49:50], v[98:99]
	v_fma_f64 v[49:50], -v[35:36], v[68:69], v[66:67]
	ds_read_b128 v[66:69], v42 offset:6048
	v_fma_f64 v[62:63], -v[9:10], v[62:63], v[74:75]
	v_fma_f64 v[82:83], -v[15:16], v[84:85], v[82:83]
	;; [unrolled: 1-line block ×5, first 2 shown]
	s_waitcnt lgkmcnt(0)
	v_fma_f64 v[66:67], -v[5:6], v[66:67], v[47:48]
	ds_read_b128 v[53:56], v42 offset:6064
	ds_read_b128 v[45:48], v42 offset:5840
	v_fma_f64 v[98:99], -v[11:12], v[64:65], v[62:63]
	v_fma_f64 v[82:83], -v[17:18], v[90:91], v[82:83]
	ds_read_b128 v[62:65], v42 offset:5632
	ds_read_b128 v[74:77], v42 offset:5856
	v_fma_f64 v[58:59], -v[25:26], v[58:59], v[86:87]
	s_waitcnt lgkmcnt(2)
	v_fma_f64 v[45:46], -v[9:10], v[45:46], v[96:97]
	v_fma_f64 v[86:87], -v[7:8], v[68:69], v[66:67]
	;; [unrolled: 1-line block ×3, first 2 shown]
	ds_read_b128 v[66:69], v42 offset:5648
	s_waitcnt lgkmcnt(2)
	v_fma_f64 v[62:63], -v[13:14], v[62:63], v[98:99]
	v_fma_f64 v[70:71], -v[19:20], v[92:93], v[82:83]
	;; [unrolled: 1-line block ×5, first 2 shown]
	ds_read_b128 v[45:48], v42 offset:5440
	v_fma_f64 v[86:87], -v[1:2], v[60:61], v[58:59]
	v_fma_f64 v[88:89], -v[15:16], v[64:65], v[62:63]
	ds_read_b128 v[58:61], v42 offset:5248
	ds_read_b128 v[62:65], v42 offset:5456
	v_fma_f64 v[49:50], -v[39:40], v[72:73], v[49:50]
	s_waitcnt lgkmcnt(2)
	v_fma_f64 v[45:46], -v[21:22], v[45:46], v[70:71]
	v_fma_f64 v[70:71], -v[13:14], v[74:75], v[82:83]
	;; [unrolled: 1-line block ×3, first 2 shown]
	ds_read_b128 v[82:85], v42 offset:5264
	s_waitcnt lgkmcnt(2)
	v_fma_f64 v[58:59], -v[3:4], v[58:59], v[86:87]
	v_fma_f64 v[66:67], -v[17:18], v[66:67], v[88:89]
	ds_read_b128 v[53:56], v42 offset:6080
	ds_read_b128 v[86:89], v42 offset:5072
	v_fma_f64 v[49:50], -v[94:95], v[78:79], v[49:50]
	v_fma_f64 v[92:93], -v[23:24], v[47:48], v[45:46]
	;; [unrolled: 1-line block ×3, first 2 shown]
	s_waitcnt lgkmcnt(1)
	v_fma_f64 v[53:54], -v[13:14], v[53:54], v[74:75]
	ds_read_b128 v[45:48], v42 offset:6096
	ds_read_b128 v[74:77], v42 offset:5872
	v_fma_f64 v[96:97], -v[19:20], v[68:69], v[66:67]
	v_fma_f64 v[98:99], -v[27:28], v[60:61], v[58:59]
	ds_read_b128 v[58:61], v42 offset:5664
	ds_read_b128 v[66:69], v42 offset:5888
	v_fma_f64 v[62:63], -v[25:26], v[62:63], v[92:93]
	s_waitcnt lgkmcnt(2)
	v_fma_f64 v[74:75], -v[17:18], v[74:75], v[70:71]
	v_fma_f64 v[92:93], -v[15:16], v[55:56], v[53:54]
	ds_read_b128 v[53:56], v42 offset:5680
	ds_read_b128 v[70:73], v42 offset:5088
	s_waitcnt lgkmcnt(3)
	v_fma_f64 v[58:59], -v[21:22], v[58:59], v[96:97]
	v_fma_f64 v[82:83], -v[29:30], v[82:83], v[98:99]
	;; [unrolled: 1-line block ×8, first 2 shown]
	ds_read_b128 v[58:61], v42 offset:5472
	ds_read_b128 v[62:65], v42 offset:5280
	v_fma_f64 v[78:79], -v[39:40], v[88:89], v[86:87]
	s_waitcnt lgkmcnt(4)
	v_fma_f64 v[66:67], -v[21:22], v[66:67], v[74:75]
	v_fma_f64 v[98:99], -v[19:20], v[47:48], v[45:46]
	ds_read_b128 v[74:77], v42 offset:5488
	ds_read_b128 v[45:48], v42 offset:6112
	ds_read_b128 v[82:85], v42 offset:5296
	s_waitcnt lgkmcnt(6)
	v_fma_f64 v[53:54], -v[25:26], v[53:54], v[92:93]
	s_waitcnt lgkmcnt(4)
	v_fma_f64 v[58:59], -v[3:4], v[58:59], v[90:91]
	;; [unrolled: 2-line block ×3, first 2 shown]
	ds_read_b128 v[90:93], v42 offset:5904
	v_fma_f64 v[96:97], -v[23:24], v[68:69], v[66:67]
	s_waitcnt lgkmcnt(2)
	v_fma_f64 v[45:46], -v[21:22], v[45:46], v[98:99]
	ds_read_b128 v[66:69], v42 offset:6128
	v_mul_f64 v[88:89], v[80:81], v[49:50]
	v_fma_f64 v[98:99], -v[1:2], v[55:56], v[53:54]
	v_fma_f64 v[100:101], -v[27:28], v[60:61], v[58:59]
	ds_read_b128 v[53:56], v42 offset:5696
	ds_read_b128 v[58:61], v42 offset:5920
	v_fma_f64 v[62:63], -v[35:36], v[64:65], v[62:63]
	s_waitcnt lgkmcnt(3)
	v_fma_f64 v[90:91], -v[25:26], v[90:91], v[96:97]
	v_fma_f64 v[64:65], -v[23:24], v[47:48], v[45:46]
	ds_read_b128 v[45:48], v42 offset:5712
	v_fma_f64 v[49:50], -v[94:95], v[70:71], v[78:79]
	s_waitcnt lgkmcnt(2)
	v_fma_f64 v[53:54], -v[3:4], v[53:54], v[98:99]
	v_fma_f64 v[74:75], -v[29:30], v[74:75], v[100:101]
	;; [unrolled: 1-line block ×8, first 2 shown]
	ds_read_b128 v[53:56], v42 offset:5504
	s_waitcnt lgkmcnt(2)
	v_fma_f64 v[58:59], -v[3:4], v[58:59], v[86:87]
	v_fma_f64 v[74:75], -v[1:2], v[68:69], v[64:65]
	;; [unrolled: 1-line block ×3, first 2 shown]
	s_waitcnt lgkmcnt(1)
	v_fma_f64 v[45:46], -v[29:30], v[45:46], v[66:67]
	ds_read_b128 v[62:65], v42 offset:6144
	ds_read_b128 v[66:69], v42 offset:5520
	s_waitcnt lgkmcnt(2)
	v_fma_f64 v[53:54], -v[33:34], v[53:54], v[70:71]
	v_fma_f64 v[70:71], -v[27:28], v[60:61], v[58:59]
	s_waitcnt lgkmcnt(1)
	v_fma_f64 v[62:63], -v[3:4], v[62:63], v[74:75]
	ds_read_b128 v[58:61], v42 offset:6160
	ds_read_b128 v[74:77], v42 offset:5936
	v_fma_f64 v[90:91], -v[31:32], v[47:48], v[45:46]
	ds_read_b128 v[45:48], v42 offset:5312
	ds_read_b128 v[78:81], v42 offset:5728
	;; [unrolled: 1-line block ×3, first 2 shown]
	s_waitcnt lgkmcnt(3)
	v_fma_f64 v[70:71], -v[29:30], v[74:75], v[70:71]
	v_fma_f64 v[92:93], -v[27:28], v[64:65], v[62:63]
	v_fma_f64 v[74:75], -v[35:36], v[55:56], v[53:54]
	s_waitcnt lgkmcnt(2)
	v_fma_f64 v[45:46], -v[94:95], v[45:46], v[86:87]
	s_waitcnt lgkmcnt(1)
	v_fma_f64 v[78:79], -v[33:34], v[78:79], v[90:91]
	ds_read_b128 v[53:56], v42 offset:5744
	ds_read_b128 v[62:65], v42 offset:5328
	v_fma_f64 v[70:71], -v[31:32], v[76:77], v[70:71]
	v_fma_f64 v[58:59], -v[29:30], v[58:59], v[92:93]
	;; [unrolled: 1-line block ×4, first 2 shown]
	v_mul_f64 v[78:79], v[51:52], v[49:50]
	v_fma_f64 v[80:81], -v[88:89], v[47:48], v[45:46]
	s_waitcnt lgkmcnt(2)
	v_fma_f64 v[70:71], -v[33:34], v[82:83], v[70:71]
	v_fma_f64 v[74:75], -v[31:32], v[60:61], v[58:59]
	;; [unrolled: 1-line block ×3, first 2 shown]
	ds_read_b128 v[45:48], v42 offset:6176
	ds_read_b128 v[49:52], v42 offset:5536
	;; [unrolled: 1-line block ×3, first 2 shown]
	s_waitcnt lgkmcnt(4)
	v_fma_f64 v[53:54], -v[37:38], v[53:54], v[72:73]
	ds_read_b128 v[66:69], v42 offset:6192
	s_waitcnt lgkmcnt(4)
	v_fma_f64 v[62:63], -v[78:79], v[62:63], v[80:81]
	v_fma_f64 v[82:83], -v[35:36], v[84:85], v[70:71]
	s_waitcnt lgkmcnt(3)
	v_fma_f64 v[45:46], -v[33:34], v[45:46], v[74:75]
	ds_read_b128 v[70:73], v42 offset:5968
	s_waitcnt lgkmcnt(3)
	v_fma_f64 v[49:50], -v[94:95], v[49:50], v[76:77]
	v_fma_f64 v[84:85], -v[39:40], v[55:56], v[53:54]
	ds_read_b128 v[53:56], v42 offset:5984
	ds_read_b128 v[74:77], v42 offset:5760
	s_waitcnt lgkmcnt(2)
	v_fma_f64 v[70:71], -v[37:38], v[70:71], v[82:83]
	v_fma_f64 v[82:83], -v[35:36], v[47:48], v[45:46]
	ds_read_b128 v[45:48], v42 offset:5776
	v_fma_f64 v[49:50], -v[88:89], v[51:52], v[49:50]
	s_waitcnt lgkmcnt(1)
	v_fma_f64 v[51:52], -v[94:95], v[74:75], v[84:85]
	v_fma_f64 v[70:71], -v[39:40], v[72:73], v[70:71]
	;; [unrolled: 1-line block ×3, first 2 shown]
	v_mul_f64 v[72:73], v[64:65], v[62:63]
	v_fma_f64 v[49:50], -v[78:79], v[58:59], v[49:50]
	v_fma_f64 v[58:59], -v[88:89], v[76:77], v[51:52]
	;; [unrolled: 1-line block ×5, first 2 shown]
	ds_read_b128 v[49:52], v42 offset:6208
	s_waitcnt lgkmcnt(1)
	v_fma_f64 v[45:46], -v[78:79], v[45:46], v[58:59]
	ds_read2_b64 v[58:61], v102 offset0:184 offset1:242
	v_fma_f64 v[68:69], -v[88:89], v[55:56], v[53:54]
	s_waitcnt lgkmcnt(1)
	v_fma_f64 v[49:50], -v[94:95], v[49:50], v[62:63]
	ds_read_b128 v[53:56], v42 offset:6224
	ds_read_b128 v[62:65], v42 offset:6000
	s_waitcnt lgkmcnt(2)
	v_mul_f64 v[58:59], v[58:59], v[66:67]
	v_fma_f64 v[70:71], -v[72:73], v[47:48], v[45:46]
	ds_read_b128 v[45:48], v42 offset:6016
	s_waitcnt lgkmcnt(1)
	v_fma_f64 v[62:63], -v[78:79], v[62:63], v[68:69]
	v_fma_f64 v[49:50], -v[88:89], v[51:52], v[49:50]
	ds_read_b128 v[66:69], v42 offset:5792
	s_waitcnt lgkmcnt(0)
	v_fma_f64 v[51:52], -v[58:59], v[66:67], v[70:71]
	v_fma_f64 v[62:63], -v[72:73], v[64:65], v[62:63]
	;; [unrolled: 1-line block ×3, first 2 shown]
	v_mul_f64 v[53:54], v[68:69], v[51:52]
	v_fma_f64 v[45:46], -v[58:59], v[45:46], v[62:63]
	v_fma_f64 v[55:56], -v[72:73], v[55:56], v[49:50]
	ds_read_b128 v[49:52], v42 offset:6240
	v_fma_f64 v[62:63], -v[53:54], v[47:48], v[45:46]
	ds_read_b128 v[45:48], v42 offset:6256
	s_waitcnt lgkmcnt(1)
	v_fma_f64 v[49:50], -v[58:59], v[49:50], v[55:56]
	ds_write2_b64 v57, v[5:6], v[7:8] offset1:28
	ds_write2_b64 v57, v[9:10], v[11:12] offset0:56 offset1:84
	ds_write2_b64 v57, v[13:14], v[15:16] offset0:112 offset1:140
	;; [unrolled: 1-line block ×5, first 2 shown]
	v_mul_f64 v[55:56], v[60:61], v[62:63]
	v_fma_f64 v[49:50], -v[53:54], v[51:52], v[49:50]
	s_waitcnt lgkmcnt(6)
	v_fma_f64 v[45:46], -v[55:56], v[45:46], v[49:50]
	v_mul_f64 v[1:2], v[47:48], v[45:46]
	ds_write2_b64 v41, v[3:4], v[27:28] offset0:80 offset1:108
	ds_write2_b64 v41, v[29:30], v[31:32] offset0:136 offset1:164
	ds_write2_b64 v41, v[33:34], v[35:36] offset0:192 offset1:220
	ds_write2_b64 v43, v[37:38], v[39:40] offset0:120 offset1:148
	ds_write2_b64 v44, v[94:95], v[88:89] offset0:48 offset1:76
	ds_write2_b64 v44, v[78:79], v[72:73] offset0:104 offset1:132
	ds_write2_b64 v44, v[58:59], v[53:54] offset0:160 offset1:188
	ds_write2_b64 v44, v[55:56], v[1:2] offset0:216 offset1:244
.LBB97_12:
	s_cmp_lt_i32 s8, s22
	s_cbranch_scc0 .LBB97_23
; %bb.13:
	s_add_i32 s11, s8, 23
	s_cmp_ge_u32 s11, s22
	s_cbranch_scc1 .LBB97_18
; %bb.14:
	s_mul_i32 s11, s8, 0xe0
	v_add_u32_e32 v49, s11, v57
	ds_read2_b64 v[45:48], v49 offset1:28
	ds_read2_b64 v[41:44], v49 offset0:56 offset1:84
	ds_read2_b64 v[37:40], v49 offset0:112 offset1:140
	;; [unrolled: 1-line block ×4, first 2 shown]
	v_add_u32_e32 v1, 0x800, v49
	ds_read2_b64 v[25:28], v1 offset0:24 offset1:52
	ds_read2_b64 v[21:24], v1 offset0:80 offset1:108
	;; [unrolled: 1-line block ×4, first 2 shown]
	v_add_u32_e32 v1, 0xc00, v49
	ds_read2_b64 v[9:12], v1 offset0:120 offset1:148
	v_add_u32_e32 v1, 0x1000, v49
	ds_read2_b64 v[5:8], v1 offset0:48 offset1:76
	ds_read2_b64 v[1:4], v1 offset0:104 offset1:132
	s_andn2_b64 vcc, exec, s[4:5]
	s_cbranch_vccnz .LBB97_17
; %bb.15:
	v_mov_b32_e32 v50, 0x1880
	v_lshl_add_u32 v50, v0, 3, v50
	s_mov_b32 s4, s11
	s_mov_b32 s5, s8
.LBB97_16:                              ; =>This Inner Loop Header: Depth=1
	v_mov_b32_e32 v74, s4
	v_add_u32_e32 v86, 0x800, v74
	v_add_u32_e32 v90, 0xc00, v74
	;; [unrolled: 1-line block ×3, first 2 shown]
	ds_read_b64 v[55:56], v50
	ds_read2_b64 v[51:54], v74 offset1:28
	ds_read2_b64 v[58:61], v74 offset0:56 offset1:84
	ds_read2_b64 v[62:65], v74 offset0:112 offset1:140
	ds_read2_b64 v[66:69], v74 offset0:168 offset1:196
	ds_read2_b64 v[70:73], v74 offset0:224 offset1:252
	ds_read2_b64 v[74:77], v86 offset0:24 offset1:52
	ds_read2_b64 v[78:81], v86 offset0:80 offset1:108
	ds_read2_b64 v[82:85], v86 offset0:136 offset1:164
	ds_read2_b64 v[86:89], v86 offset0:192 offset1:220
	ds_read2_b64 v[90:93], v90 offset0:120 offset1:148
	ds_read2_b64 v[94:97], v98 offset0:48 offset1:76
	ds_read2_b64 v[98:101], v98 offset0:104 offset1:132
	s_add_i32 s5, s5, -1
	s_add_i32 s4, s4, 8
	s_waitcnt lgkmcnt(11)
	v_fma_f64 v[45:46], -v[55:56], v[51:52], v[45:46]
	v_fma_f64 v[47:48], -v[55:56], v[53:54], v[47:48]
	s_waitcnt lgkmcnt(10)
	v_fma_f64 v[41:42], -v[55:56], v[58:59], v[41:42]
	v_fma_f64 v[43:44], -v[55:56], v[60:61], v[43:44]
	;; [unrolled: 3-line block ×12, first 2 shown]
	s_cmp_lg_u32 s5, 0
	v_add_u32_e32 v50, 0xe0, v50
	s_cbranch_scc1 .LBB97_16
.LBB97_17:
	s_lshl_b32 s19, s8, 3
	s_add_i32 s4, s19, s11
	v_mov_b32_e32 v50, s4
	ds_read2_b64 v[51:54], v50 offset1:58
	s_add_i32 s12, s11, 0xe0
	s_add_i32 s14, s19, s12
	;; [unrolled: 1-line block ×4, first 2 shown]
	s_waitcnt lgkmcnt(0)
	v_mul_f64 v[45:46], v[51:52], v[45:46]
	v_mov_b32_e32 v51, s14
	ds_read_b128 v[58:61], v51
	v_mov_b32_e32 v55, s23
	s_add_i32 s4, s11, 0x1c0
	ds_read_b128 v[70:73], v55 offset:16
	s_add_i32 s15, s19, s4
	v_mov_b32_e32 v51, s15
	s_waitcnt lgkmcnt(1)
	v_fma_f64 v[47:48], -v[45:46], v[58:59], v[47:48]
	ds_read_b128 v[62:65], v51
	s_add_i32 s5, s11, 0x2a0
	s_add_i32 s21, s19, s5
	;; [unrolled: 1-line block ×4, first 2 shown]
	s_waitcnt lgkmcnt(0)
	v_fma_f64 v[51:52], -v[45:46], v[62:63], v[41:42]
	v_mov_b32_e32 v74, s23
	v_mul_f64 v[41:42], v[60:61], v[47:48]
	v_mov_b32_e32 v47, s21
	ds_read_b128 v[58:61], v47
	ds_read_b128 v[66:69], v47 offset:16
	s_add_i32 s15, s11, 0x540
	s_add_i32 s24, s19, s15
	v_mov_b32_e32 v86, s24
	s_waitcnt lgkmcnt(1)
	v_fma_f64 v[43:44], -v[45:46], v[58:59], v[43:44]
	v_fma_f64 v[47:48], -v[41:42], v[64:65], v[51:52]
	ds_read_b128 v[62:65], v55
	s_add_i32 s16, s11, 0x620
	s_add_i32 s23, s19, s16
	v_mov_b32_e32 v90, s23
	s_add_i32 s17, s11, 0x700
	s_waitcnt lgkmcnt(0)
	v_fma_f64 v[55:56], -v[45:46], v[62:63], v[37:38]
	v_fma_f64 v[43:44], -v[41:42], v[60:61], v[43:44]
	v_mul_f64 v[37:38], v[53:54], v[47:48]
	ds_read_b128 v[51:54], v74
	ds_read_b128 v[58:61], v74 offset:16
	ds_read_b128 v[74:77], v74 offset:32
	ds_read_b128 v[78:81], v86
	s_add_i32 s24, s19, s17
	v_mov_b32_e32 v91, s24
	s_add_i32 s18, s11, 0x7e0
	s_waitcnt lgkmcnt(3)
	v_fma_f64 v[39:40], -v[45:46], v[51:52], v[39:40]
	v_fma_f64 v[47:48], -v[41:42], v[64:65], v[55:56]
	;; [unrolled: 1-line block ×3, first 2 shown]
	s_waitcnt lgkmcnt(0)
	v_fma_f64 v[55:56], -v[45:46], v[78:79], v[33:34]
	ds_read_b128 v[62:65], v90
	s_add_i32 s23, s19, s18
	v_mov_b32_e32 v92, s23
	s_add_i32 s20, s11, 0x8c0
	v_fma_f64 v[39:40], -v[41:42], v[53:54], v[39:40]
	v_fma_f64 v[47:48], -v[37:38], v[70:71], v[47:48]
	v_mul_f64 v[33:34], v[68:69], v[43:44]
	s_waitcnt lgkmcnt(0)
	v_fma_f64 v[35:36], -v[45:46], v[62:63], v[35:36]
	v_fma_f64 v[43:44], -v[41:42], v[80:81], v[55:56]
	ds_read2_b64 v[51:54], v50 offset0:116 offset1:174
	ds_read_b128 v[66:69], v90 offset:16
	ds_read_b128 v[82:85], v91
	s_add_i32 s24, s19, s20
	v_mov_b32_e32 v93, s24
	v_fma_f64 v[39:40], -v[37:38], v[58:59], v[39:40]
	s_add_i32 s21, s11, 0x9a0
	v_fma_f64 v[47:48], -v[33:34], v[72:73], v[47:48]
	ds_read_b128 v[70:73], v86 offset:16
	ds_read_b128 v[78:81], v86 offset:32
	;; [unrolled: 1-line block ×3, first 2 shown]
	s_waitcnt lgkmcnt(3)
	v_fma_f64 v[55:56], -v[45:46], v[82:83], v[29:30]
	v_fma_f64 v[35:36], -v[41:42], v[64:65], v[35:36]
	s_waitcnt lgkmcnt(2)
	v_fma_f64 v[43:44], -v[37:38], v[70:71], v[43:44]
	ds_read_b128 v[62:65], v92 offset:16
	v_fma_f64 v[39:40], -v[33:34], v[60:61], v[39:40]
	ds_read_b128 v[58:61], v92
	v_mul_f64 v[29:30], v[51:52], v[47:48]
	s_add_i32 s23, s19, s21
	v_fma_f64 v[47:48], -v[41:42], v[84:85], v[55:56]
	v_fma_f64 v[35:36], -v[37:38], v[66:67], v[35:36]
	;; [unrolled: 1-line block ×3, first 2 shown]
	s_waitcnt lgkmcnt(0)
	v_fma_f64 v[51:52], -v[45:46], v[58:59], v[31:32]
	v_mov_b32_e32 v94, s23
	s_add_i32 s23, s11, 0xa80
	v_fma_f64 v[39:40], -v[29:30], v[74:75], v[39:40]
	s_add_i32 s24, s19, s23
	v_fma_f64 v[47:48], -v[37:38], v[86:87], v[47:48]
	v_fma_f64 v[35:36], -v[33:34], v[68:69], v[35:36]
	;; [unrolled: 1-line block ×3, first 2 shown]
	ds_read_b128 v[66:69], v90 offset:32
	ds_read_b128 v[70:73], v90 offset:48
	v_mov_b32_e32 v95, s24
	s_add_i32 s24, s11, 0xb60
	v_mul_f64 v[31:32], v[76:77], v[39:40]
	v_fma_f64 v[39:40], -v[41:42], v[60:61], v[51:52]
	ds_read_b128 v[58:61], v93
	v_fma_f64 v[47:48], -v[33:34], v[88:89], v[47:48]
	s_waitcnt lgkmcnt(2)
	v_fma_f64 v[35:36], -v[29:30], v[66:67], v[35:36]
	s_add_i32 s25, s19, s24
	v_mov_b32_e32 v96, s25
	s_waitcnt lgkmcnt(0)
	v_fma_f64 v[55:56], -v[45:46], v[58:59], v[25:26]
	v_fma_f64 v[43:44], -v[31:32], v[80:81], v[43:44]
	;; [unrolled: 1-line block ×3, first 2 shown]
	ds_read_b128 v[74:77], v91 offset:32
	ds_read_b128 v[78:81], v91 offset:48
	;; [unrolled: 1-line block ×3, first 2 shown]
	s_add_i32 s25, s11, 0xc40
	v_fma_f64 v[35:36], -v[31:32], v[68:69], v[35:36]
	s_waitcnt lgkmcnt(2)
	v_fma_f64 v[47:48], -v[29:30], v[74:75], v[47:48]
	s_add_i32 s26, s19, s25
	v_mov_b32_e32 v97, s26
	v_mul_f64 v[25:26], v[53:54], v[43:44]
	ds_read_b128 v[51:54], v94
	ds_read_b128 v[66:69], v93 offset:16
	ds_read_b128 v[86:89], v94 offset:16
	v_fma_f64 v[39:40], -v[33:34], v[64:65], v[39:40]
	v_fma_f64 v[43:44], -v[41:42], v[60:61], v[55:56]
	s_waitcnt lgkmcnt(2)
	v_fma_f64 v[27:28], -v[45:46], v[51:52], v[27:28]
	v_fma_f64 v[47:48], -v[31:32], v[76:77], v[47:48]
	ds_read_b128 v[58:61], v92 offset:48
	ds_read_b128 v[62:65], v93 offset:32
	s_add_i32 s26, s11, 0xd20
	v_fma_f64 v[35:36], -v[25:26], v[70:71], v[35:36]
	s_add_i32 s27, s19, s26
	v_fma_f64 v[39:40], -v[29:30], v[82:83], v[39:40]
	s_waitcnt lgkmcnt(3)
	v_fma_f64 v[43:44], -v[37:38], v[66:67], v[43:44]
	v_fma_f64 v[55:56], -v[41:42], v[53:54], v[27:28]
	ds_read_b128 v[51:54], v95
	v_fma_f64 v[47:48], -v[25:26], v[78:79], v[47:48]
	s_add_i32 s8, s8, 24
	v_mul_f64 v[27:28], v[72:73], v[35:36]
	v_fma_f64 v[35:36], -v[31:32], v[84:85], v[39:40]
	v_fma_f64 v[39:40], -v[33:34], v[68:69], v[43:44]
	ds_read_b128 v[66:69], v95 offset:16
	s_waitcnt lgkmcnt(1)
	v_fma_f64 v[21:22], -v[45:46], v[51:52], v[21:22]
	v_fma_f64 v[43:44], -v[37:38], v[86:87], v[55:56]
	v_add_u32_e32 v51, 0x400, v50
	v_fma_f64 v[47:48], -v[27:28], v[80:81], v[47:48]
	ds_read2_b64 v[70:73], v51 offset0:104 offset1:162
	v_fma_f64 v[35:36], -v[25:26], v[58:59], v[35:36]
	v_fma_f64 v[39:40], -v[29:30], v[62:63], v[39:40]
	;; [unrolled: 1-line block ×4, first 2 shown]
	ds_read_b128 v[51:54], v92 offset:64
	ds_read_b128 v[74:77], v94 offset:32
	s_waitcnt lgkmcnt(2)
	v_mul_f64 v[21:22], v[70:71], v[47:48]
	ds_read_b128 v[78:81], v93 offset:64
	v_fma_f64 v[35:36], -v[27:28], v[60:61], v[35:36]
	v_fma_f64 v[39:40], -v[31:32], v[64:65], v[39:40]
	ds_read_b128 v[62:65], v93 offset:48
	v_fma_f64 v[47:48], -v[37:38], v[66:67], v[55:56]
	s_waitcnt lgkmcnt(2)
	v_fma_f64 v[43:44], -v[29:30], v[74:75], v[43:44]
	ds_read_b128 v[58:61], v94 offset:48
	ds_read_b128 v[82:85], v96 offset:16
	v_fma_f64 v[35:36], -v[21:22], v[51:52], v[35:36]
	s_waitcnt lgkmcnt(2)
	v_fma_f64 v[39:40], -v[25:26], v[62:63], v[39:40]
	v_fma_f64 v[47:48], -v[33:34], v[68:69], v[47:48]
	ds_read_b128 v[66:69], v95 offset:32
	v_fma_f64 v[43:44], -v[31:32], v[76:77], v[43:44]
	ds_read_b128 v[74:77], v96
	v_fma_f64 v[39:40], -v[27:28], v[64:65], v[39:40]
	ds_read_b128 v[62:65], v95 offset:48
	s_waitcnt lgkmcnt(2)
	v_fma_f64 v[47:48], -v[29:30], v[66:67], v[47:48]
	s_waitcnt lgkmcnt(1)
	v_fma_f64 v[51:52], -v[45:46], v[74:75], v[23:24]
	v_mul_f64 v[23:24], v[53:54], v[35:36]
	v_fma_f64 v[39:40], -v[21:22], v[78:79], v[39:40]
	v_fma_f64 v[35:36], -v[31:32], v[68:69], v[47:48]
	ds_read_b128 v[66:69], v94 offset:80
	v_fma_f64 v[43:44], -v[25:26], v[58:59], v[43:44]
	v_fma_f64 v[47:48], -v[41:42], v[76:77], v[51:52]
	ds_read_b128 v[51:54], v97
	ds_read_b128 v[74:77], v97 offset:16
	v_fma_f64 v[39:40], -v[23:24], v[80:81], v[39:40]
	s_waitcnt lgkmcnt(1)
	v_fma_f64 v[17:18], -v[45:46], v[51:52], v[17:18]
	v_fma_f64 v[43:44], -v[27:28], v[60:61], v[43:44]
	ds_read_b128 v[58:61], v94 offset:64
	v_fma_f64 v[35:36], -v[25:26], v[62:63], v[35:36]
	v_mov_b32_e32 v94, s27
	s_add_i32 s27, s11, 0xe00
	s_add_i32 s28, s19, s27
	v_fma_f64 v[17:18], -v[41:42], v[53:54], v[17:18]
	s_waitcnt lgkmcnt(0)
	v_fma_f64 v[43:44], -v[21:22], v[58:59], v[43:44]
	v_fma_f64 v[35:36], -v[27:28], v[64:65], v[35:36]
	ds_read_b128 v[62:65], v95 offset:64
	v_fma_f64 v[47:48], -v[37:38], v[82:83], v[47:48]
	v_fma_f64 v[55:56], -v[37:38], v[74:75], v[17:18]
	v_mul_f64 v[17:18], v[72:73], v[39:40]
	v_fma_f64 v[39:40], -v[23:24], v[60:61], v[43:44]
	s_waitcnt lgkmcnt(0)
	v_fma_f64 v[35:36], -v[21:22], v[62:63], v[35:36]
	v_fma_f64 v[47:48], -v[33:34], v[84:85], v[47:48]
	ds_read_b128 v[51:54], v94
	ds_read_b128 v[78:81], v96 offset:32
	ds_read_b128 v[82:85], v96 offset:48
	;; [unrolled: 1-line block ×5, first 2 shown]
	s_waitcnt lgkmcnt(5)
	v_fma_f64 v[19:20], -v[45:46], v[51:52], v[19:20]
	v_fma_f64 v[43:44], -v[33:34], v[76:77], v[55:56]
	;; [unrolled: 1-line block ×4, first 2 shown]
	s_waitcnt lgkmcnt(4)
	v_fma_f64 v[47:48], -v[29:30], v[78:79], v[47:48]
	v_fma_f64 v[19:20], -v[41:42], v[53:54], v[19:20]
	s_waitcnt lgkmcnt(2)
	v_fma_f64 v[43:44], -v[29:30], v[86:87], v[43:44]
	s_waitcnt lgkmcnt(0)
	v_fma_f64 v[35:36], -v[17:18], v[58:59], v[35:36]
	v_fma_f64 v[47:48], -v[31:32], v[80:81], v[47:48]
	v_fma_f64 v[55:56], -v[37:38], v[90:91], v[19:20]
	v_mul_f64 v[19:20], v[68:69], v[39:40]
	v_fma_f64 v[39:40], -v[31:32], v[88:89], v[43:44]
	ds_read_b128 v[66:69], v94 offset:32
	v_mov_b32_e32 v90, s28
	ds_read_b128 v[51:54], v90
	ds_read_b128 v[62:65], v90 offset:16
	ds_read_b128 v[70:73], v97 offset:48
	;; [unrolled: 1-line block ×3, first 2 shown]
	v_fma_f64 v[43:44], -v[33:34], v[92:93], v[55:56]
	v_fma_f64 v[47:48], -v[25:26], v[82:83], v[47:48]
	s_waitcnt lgkmcnt(3)
	v_fma_f64 v[13:14], -v[45:46], v[51:52], v[13:14]
	s_waitcnt lgkmcnt(1)
	v_fma_f64 v[39:40], -v[25:26], v[70:71], v[39:40]
	ds_read_b128 v[78:81], v97 offset:64
	v_fma_f64 v[35:36], -v[19:20], v[60:61], v[35:36]
	s_add_i32 s28, s11, 0xee0
	s_add_i32 s29, s19, s28
	v_fma_f64 v[43:44], -v[29:30], v[66:67], v[43:44]
	v_fma_f64 v[47:48], -v[27:28], v[84:85], v[47:48]
	;; [unrolled: 1-line block ×3, first 2 shown]
	ds_read_b128 v[51:54], v96 offset:64
	ds_read_b128 v[82:85], v96 offset:96
	;; [unrolled: 1-line block ×3, first 2 shown]
	v_fma_f64 v[39:40], -v[27:28], v[72:73], v[39:40]
	ds_read_b128 v[70:73], v94 offset:64
	v_mov_b32_e32 v91, s29
	v_fma_f64 v[43:44], -v[31:32], v[68:69], v[43:44]
	ds_read_b128 v[66:69], v91
	v_fma_f64 v[13:14], -v[37:38], v[62:63], v[13:14]
	s_waitcnt lgkmcnt(4)
	v_fma_f64 v[47:48], -v[21:22], v[51:52], v[47:48]
	s_add_i32 s29, s11, 0xfc0
	v_fma_f64 v[39:40], -v[21:22], v[78:79], v[39:40]
	s_add_i32 s30, s19, s29
	v_mov_b32_e32 v92, s30
	v_fma_f64 v[43:44], -v[25:26], v[74:75], v[43:44]
	v_add_u32_e32 v74, 0x800, v50
	v_fma_f64 v[55:56], -v[33:34], v[64:65], v[13:14]
	v_fma_f64 v[47:48], -v[23:24], v[53:54], v[47:48]
	ds_read_b128 v[62:65], v91 offset:16
	v_fma_f64 v[39:40], -v[23:24], v[80:81], v[39:40]
	ds_read_b128 v[78:81], v97 offset:80
	s_add_i32 s30, s11, 0x10a0
	v_fma_f64 v[43:44], -v[27:28], v[76:77], v[43:44]
	s_add_i32 s31, s19, s30
	ds_read_b128 v[51:54], v90 offset:48
	s_waitcnt lgkmcnt(5)
	v_fma_f64 v[47:48], -v[17:18], v[58:59], v[47:48]
	s_waitcnt lgkmcnt(4)
	v_fma_f64 v[43:44], -v[21:22], v[70:71], v[43:44]
	v_fma_f64 v[43:44], -v[23:24], v[72:73], v[43:44]
	ds_read_b128 v[70:73], v90 offset:64
	s_waitcnt lgkmcnt(4)
	v_fma_f64 v[66:67], -v[45:46], v[66:67], v[15:16]
	ds_read_b128 v[13:16], v90 offset:32
	s_waitcnt lgkmcnt(0)
	v_fma_f64 v[13:14], -v[29:30], v[13:14], v[55:56]
	v_fma_f64 v[55:56], -v[41:42], v[68:69], v[66:67]
	ds_read2_b64 v[66:69], v74 offset0:92 offset1:150
	ds_read_b128 v[74:77], v94 offset:80
	v_fma_f64 v[15:16], -v[31:32], v[15:16], v[13:14]
	s_waitcnt lgkmcnt(1)
	v_mul_f64 v[13:14], v[66:67], v[35:36]
	v_fma_f64 v[35:36], -v[19:20], v[60:61], v[47:48]
	ds_read_b128 v[58:61], v97 offset:96
	v_fma_f64 v[39:40], -v[17:18], v[78:79], v[39:40]
	v_fma_f64 v[15:16], -v[25:26], v[51:52], v[15:16]
	;; [unrolled: 1-line block ×5, first 2 shown]
	ds_read_b128 v[51:54], v91 offset:48
	v_fma_f64 v[55:56], -v[37:38], v[62:63], v[55:56]
	v_fma_f64 v[47:48], -v[33:34], v[64:65], v[55:56]
	ds_read_b128 v[62:65], v91 offset:32
	ds_read_b128 v[78:81], v92
	ds_read_b128 v[86:89], v90 offset:80
	s_waitcnt lgkmcnt(5)
	v_fma_f64 v[43:44], -v[17:18], v[74:75], v[43:44]
	v_fma_f64 v[55:56], -v[21:22], v[70:71], v[15:16]
	v_mul_f64 v[15:16], v[84:85], v[35:36]
	s_waitcnt lgkmcnt(1)
	v_fma_f64 v[9:10], -v[45:46], v[78:79], v[9:10]
	v_fma_f64 v[35:36], -v[13:14], v[58:59], v[39:40]
	;; [unrolled: 1-line block ×8, first 2 shown]
	ds_read_b128 v[62:65], v94 offset:96
	ds_read_b128 v[58:61], v94 offset:112
	;; [unrolled: 1-line block ×4, first 2 shown]
	s_waitcnt lgkmcnt(4)
	v_fma_f64 v[43:44], -v[17:18], v[86:87], v[43:44]
	v_mov_b32_e32 v94, s31
	s_waitcnt lgkmcnt(3)
	v_fma_f64 v[39:40], -v[13:14], v[62:63], v[39:40]
	s_waitcnt lgkmcnt(1)
	v_fma_f64 v[55:56], -v[37:38], v[70:71], v[9:10]
	v_fma_f64 v[47:48], -v[25:26], v[51:52], v[47:48]
	v_mul_f64 v[9:10], v[68:69], v[35:36]
	s_add_i32 s31, s11, 0x1180
	s_add_i32 s33, s19, s31
	v_mov_b32_e32 v95, s33
	s_add_i32 s33, s11, 0x1260
	v_fma_f64 v[35:36], -v[15:16], v[64:65], v[39:40]
	v_fma_f64 v[39:40], -v[19:20], v[88:89], v[43:44]
	;; [unrolled: 1-line block ×3, first 2 shown]
	ds_read_b128 v[62:65], v91 offset:80
	ds_read_b128 v[51:54], v92 offset:32
	s_add_i32 s34, s19, s33
	v_mov_b32_e32 v96, s34
	s_add_i32 s34, s11, 0x1340
	v_fma_f64 v[35:36], -v[9:10], v[58:59], v[35:36]
	s_add_i32 s35, s19, s34
	s_waitcnt lgkmcnt(2)
	v_fma_f64 v[43:44], -v[21:22], v[74:75], v[47:48]
	v_fma_f64 v[47:48], -v[33:34], v[72:73], v[55:56]
	ds_read_b128 v[66:69], v90 offset:96
	ds_read_b128 v[70:73], v90 offset:112
	v_mov_b32_e32 v97, s35
	s_addk_i32 s11, 0x1420
	s_add_i32 s19, s19, s11
	s_waitcnt lgkmcnt(1)
	v_fma_f64 v[39:40], -v[13:14], v[66:67], v[39:40]
	v_mov_b32_e32 v98, s19
	v_fma_f64 v[43:44], -v[23:24], v[76:77], v[43:44]
	v_fma_f64 v[47:48], -v[29:30], v[51:52], v[47:48]
	ds_read_b128 v[74:77], v94
	v_fma_f64 v[39:40], -v[15:16], v[68:69], v[39:40]
	ds_read_b128 v[66:69], v92 offset:48
	v_fma_f64 v[43:44], -v[17:18], v[62:63], v[43:44]
	v_fma_f64 v[47:48], -v[31:32], v[53:54], v[47:48]
	ds_read_b128 v[51:54], v94 offset:16
	s_waitcnt lgkmcnt(2)
	v_fma_f64 v[55:56], -v[45:46], v[74:75], v[11:12]
	v_mul_f64 v[11:12], v[60:61], v[35:36]
	ds_read_b128 v[58:61], v92 offset:64
	v_fma_f64 v[35:36], -v[9:10], v[70:71], v[39:40]
	v_fma_f64 v[39:40], -v[19:20], v[64:65], v[43:44]
	s_waitcnt lgkmcnt(2)
	v_fma_f64 v[43:44], -v[25:26], v[66:67], v[47:48]
	v_fma_f64 v[47:48], -v[41:42], v[76:77], v[55:56]
	ds_read_b128 v[62:65], v91 offset:96
	ds_read_b128 v[74:77], v91 offset:112
	ds_read_b128 v[78:81], v95
	ds_read_b128 v[82:85], v91 offset:128
	v_add_u32_e32 v55, 0xc00, v50
	s_waitcnt lgkmcnt(3)
	v_fma_f64 v[39:40], -v[13:14], v[62:63], v[39:40]
	v_fma_f64 v[43:44], -v[27:28], v[68:69], v[43:44]
	s_waitcnt lgkmcnt(1)
	v_fma_f64 v[5:6], -v[45:46], v[78:79], v[5:6]
	v_fma_f64 v[47:48], -v[37:38], v[51:52], v[47:48]
	ds_read_b128 v[66:69], v95 offset:16
	v_fma_f64 v[35:36], -v[11:12], v[72:73], v[35:36]
	v_fma_f64 v[39:40], -v[15:16], v[64:65], v[39:40]
	;; [unrolled: 1-line block ×5, first 2 shown]
	ds_read_b128 v[51:54], v94 offset:32
	ds_read2_b64 v[62:65], v55 offset0:80 offset1:138
	v_fma_f64 v[39:40], -v[9:10], v[74:75], v[39:40]
	v_fma_f64 v[43:44], -v[23:24], v[60:61], v[43:44]
	s_waitcnt lgkmcnt(2)
	v_fma_f64 v[5:6], -v[37:38], v[66:67], v[5:6]
	s_waitcnt lgkmcnt(1)
	v_fma_f64 v[47:48], -v[29:30], v[51:52], v[47:48]
	ds_read_b128 v[58:61], v94 offset:48
	ds_read_b128 v[70:73], v92 offset:80
	;; [unrolled: 1-line block ×3, first 2 shown]
	ds_read_b128 v[86:89], v96
	s_waitcnt lgkmcnt(4)
	v_mul_f64 v[35:36], v[62:63], v[35:36]
	v_fma_f64 v[39:40], -v[11:12], v[76:77], v[39:40]
	s_waitcnt lgkmcnt(2)
	v_fma_f64 v[43:44], -v[17:18], v[70:71], v[43:44]
	v_fma_f64 v[55:56], -v[33:34], v[68:69], v[5:6]
	;; [unrolled: 1-line block ×3, first 2 shown]
	ds_read_b128 v[51:54], v96 offset:16
	s_waitcnt lgkmcnt(1)
	v_fma_f64 v[70:71], -v[45:46], v[86:87], v[7:8]
	ds_read_b128 v[5:8], v95 offset:32
	ds_read_b128 v[66:69], v95 offset:48
	v_fma_f64 v[39:40], -v[35:36], v[82:83], v[39:40]
	v_fma_f64 v[43:44], -v[19:20], v[72:73], v[43:44]
	s_waitcnt lgkmcnt(1)
	v_fma_f64 v[5:6], -v[29:30], v[5:6], v[55:56]
	v_fma_f64 v[47:48], -v[25:26], v[58:59], v[47:48]
	;; [unrolled: 1-line block ×3, first 2 shown]
	ds_read_b128 v[70:73], v97
	v_fma_f64 v[43:44], -v[13:14], v[78:79], v[43:44]
	s_waitcnt lgkmcnt(0)
	v_fma_f64 v[1:2], -v[45:46], v[70:71], v[1:2]
	v_fma_f64 v[47:48], -v[27:28], v[60:61], v[47:48]
	;; [unrolled: 1-line block ×4, first 2 shown]
	ds_read_b128 v[5:8], v98
	ds_read_b128 v[58:61], v94 offset:64
	ds_read_b128 v[74:77], v94 offset:80
	;; [unrolled: 1-line block ×3, first 2 shown]
	v_fma_f64 v[43:44], -v[15:16], v[80:81], v[43:44]
	s_waitcnt lgkmcnt(3)
	v_fma_f64 v[5:6], -v[45:46], v[5:6], v[3:4]
	v_fma_f64 v[55:56], -v[41:42], v[72:73], v[1:2]
	ds_read_b128 v[1:4], v97 offset:16
	s_waitcnt lgkmcnt(3)
	v_fma_f64 v[47:48], -v[21:22], v[58:59], v[47:48]
	v_fma_f64 v[58:59], -v[25:26], v[66:67], v[62:63]
	v_fma_f64 v[62:63], -v[33:34], v[53:54], v[51:52]
	ds_read_b128 v[51:54], v97 offset:32
	ds_read_b128 v[70:73], v98 offset:16
	s_waitcnt lgkmcnt(2)
	v_fma_f64 v[1:2], -v[37:38], v[1:2], v[55:56]
	v_fma_f64 v[55:56], -v[41:42], v[7:8], v[5:6]
	;; [unrolled: 1-line block ×4, first 2 shown]
	ds_read_b128 v[66:69], v95 offset:80
	ds_read_b128 v[58:61], v92 offset:112
	;; [unrolled: 1-line block ×3, first 2 shown]
	v_fma_f64 v[62:63], -v[29:30], v[86:87], v[62:63]
	v_fma_f64 v[80:81], -v[33:34], v[3:4], v[1:2]
	ds_read_b128 v[1:4], v95 offset:64
	v_fma_f64 v[47:48], -v[17:18], v[74:75], v[47:48]
	s_waitcnt lgkmcnt(0)
	v_fma_f64 v[1:2], -v[21:22], v[1:2], v[78:79]
	v_fma_f64 v[62:63], -v[31:32], v[88:89], v[62:63]
	;; [unrolled: 1-line block ×3, first 2 shown]
	ds_read_b128 v[78:81], v92 offset:128
	v_fma_f64 v[43:44], -v[9:10], v[58:59], v[43:44]
	v_fma_f64 v[47:48], -v[19:20], v[76:77], v[47:48]
	v_fma_f64 v[58:59], -v[23:24], v[3:4], v[1:2]
	ds_read_b128 v[1:4], v98 offset:48
	v_fma_f64 v[55:56], -v[37:38], v[70:71], v[55:56]
	v_fma_f64 v[5:6], -v[25:26], v[5:6], v[62:63]
	;; [unrolled: 1-line block ×6, first 2 shown]
	ds_read_b128 v[70:73], v98 offset:32
	ds_read_b128 v[51:54], v97 offset:48
	;; [unrolled: 1-line block ×4, first 2 shown]
	v_fma_f64 v[82:83], -v[27:28], v[7:8], v[5:6]
	ds_read_b128 v[90:93], v96 offset:64
	s_waitcnt lgkmcnt(3)
	v_fma_f64 v[51:52], -v[25:26], v[51:52], v[62:63]
	ds_read_b128 v[5:8], v97 offset:64
	s_waitcnt lgkmcnt(3)
	v_fma_f64 v[47:48], -v[13:14], v[74:75], v[47:48]
	v_fma_f64 v[55:56], -v[29:30], v[70:71], v[55:56]
	;; [unrolled: 1-line block ×4, first 2 shown]
	ds_read_b128 v[51:54], v95 offset:96
	v_fma_f64 v[47:48], -v[15:16], v[76:77], v[47:48]
	v_fma_f64 v[55:56], -v[31:32], v[72:73], v[55:56]
	ds_read_b128 v[70:73], v96 offset:80
	s_waitcnt lgkmcnt(3)
	v_fma_f64 v[62:63], -v[21:22], v[90:91], v[82:83]
	v_fma_f64 v[47:48], -v[9:10], v[86:87], v[47:48]
	;; [unrolled: 1-line block ×3, first 2 shown]
	v_mul_f64 v[55:56], v[84:85], v[39:40]
	v_fma_f64 v[39:40], -v[19:20], v[68:69], v[58:59]
	v_fma_f64 v[62:63], -v[23:24], v[92:93], v[62:63]
	ds_read_b128 v[58:61], v98 offset:64
	s_waitcnt lgkmcnt(3)
	v_fma_f64 v[5:6], -v[21:22], v[5:6], v[66:67]
	v_fma_f64 v[47:48], -v[11:12], v[88:89], v[47:48]
	;; [unrolled: 1-line block ×3, first 2 shown]
	ds_read_b128 v[1:4], v95 offset:112
	s_waitcnt lgkmcnt(3)
	v_fma_f64 v[39:40], -v[13:14], v[51:52], v[39:40]
	s_waitcnt lgkmcnt(2)
	v_fma_f64 v[51:52], -v[17:18], v[70:71], v[62:63]
	v_fma_f64 v[43:44], -v[55:56], v[80:81], v[43:44]
	;; [unrolled: 1-line block ×3, first 2 shown]
	ds_read_b128 v[5:8], v98 offset:80
	s_waitcnt lgkmcnt(2)
	v_fma_f64 v[58:59], -v[21:22], v[58:59], v[66:67]
	ds_read_b128 v[66:69], v97 offset:80
	v_fma_f64 v[39:40], -v[15:16], v[53:54], v[39:40]
	v_fma_f64 v[78:79], -v[19:20], v[72:73], v[51:52]
	ds_read_b128 v[70:73], v96 offset:96
	ds_read_b128 v[51:54], v97 offset:96
	s_waitcnt lgkmcnt(2)
	v_fma_f64 v[62:63], -v[17:18], v[66:67], v[62:63]
	v_fma_f64 v[80:81], -v[23:24], v[60:61], v[58:59]
	ds_read_b128 v[58:61], v94 offset:128
	ds_read_b128 v[74:77], v96 offset:112
	v_fma_f64 v[1:2], -v[9:10], v[1:2], v[39:40]
	s_waitcnt lgkmcnt(3)
	v_fma_f64 v[70:71], -v[13:14], v[70:71], v[78:79]
	v_mul_f64 v[78:79], v[64:65], v[43:44]
	s_waitcnt lgkmcnt(1)
	v_fma_f64 v[47:48], -v[35:36], v[58:59], v[47:48]
	v_fma_f64 v[39:40], -v[19:20], v[68:69], v[62:63]
	ds_read_b128 v[66:69], v94 offset:144
	v_fma_f64 v[5:6], -v[17:18], v[5:6], v[80:81]
	v_fma_f64 v[62:63], -v[11:12], v[3:4], v[1:2]
	;; [unrolled: 1-line block ×3, first 2 shown]
	ds_read_b128 v[1:4], v95 offset:128
	v_fma_f64 v[47:48], -v[55:56], v[60:61], v[47:48]
	v_fma_f64 v[39:40], -v[13:14], v[51:52], v[39:40]
	;; [unrolled: 1-line block ×3, first 2 shown]
	ds_read_b128 v[5:8], v95 offset:144
	ds_read_b128 v[58:61], v98 offset:96
	s_waitcnt lgkmcnt(2)
	v_fma_f64 v[1:2], -v[35:36], v[1:2], v[62:63]
	v_fma_f64 v[43:44], -v[9:10], v[74:75], v[43:44]
	ds_read_b128 v[70:73], v97 offset:128
	v_fma_f64 v[47:48], -v[78:79], v[66:67], v[47:48]
	v_fma_f64 v[39:40], -v[15:16], v[53:54], v[39:40]
	ds_read_b128 v[51:54], v98 offset:112
	s_waitcnt lgkmcnt(2)
	v_fma_f64 v[58:59], -v[13:14], v[58:59], v[64:65]
	ds_read_b128 v[62:65], v97 offset:112
	v_fma_f64 v[66:67], -v[55:56], v[3:4], v[1:2]
	v_fma_f64 v[43:44], -v[11:12], v[76:77], v[43:44]
	ds_read_b128 v[74:77], v96 offset:128
	ds_read_b128 v[1:4], v96 offset:144
	s_waitcnt lgkmcnt(2)
	v_fma_f64 v[39:40], -v[9:10], v[62:63], v[39:40]
	ds_write_b64 v49, v[45:46]
	v_fma_f64 v[62:63], -v[15:16], v[60:61], v[58:59]
	ds_read_b128 v[58:61], v96 offset:160
	v_fma_f64 v[5:6], -v[78:79], v[5:6], v[66:67]
	s_waitcnt lgkmcnt(3)
	v_fma_f64 v[43:44], -v[35:36], v[74:75], v[43:44]
	v_add_u32_e32 v49, s12, v57
	ds_write_b64 v49, v[41:42]
	v_fma_f64 v[39:40], -v[11:12], v[64:65], v[39:40]
	v_mul_f64 v[64:65], v[68:69], v[47:48]
	v_fma_f64 v[47:48], -v[9:10], v[51:52], v[62:63]
	v_add_u32_e32 v62, s4, v57
	ds_write_b64 v62, v[37:38]
	v_fma_f64 v[43:44], -v[55:56], v[76:77], v[43:44]
	v_fma_f64 v[45:46], -v[35:36], v[70:71], v[39:40]
	;; [unrolled: 1-line block ×4, first 2 shown]
	ds_read_b128 v[5:8], v98 offset:128
	v_add_u32_e32 v39, 0x1000, v50
	s_waitcnt lgkmcnt(5)
	v_fma_f64 v[1:2], -v[78:79], v[1:2], v[43:44]
	ds_read2_b64 v[39:42], v39 offset0:68 offset1:126
	v_fma_f64 v[53:54], -v[55:56], v[72:73], v[45:46]
	ds_read_b128 v[43:46], v98 offset:144
	s_waitcnt lgkmcnt(2)
	v_fma_f64 v[5:6], -v[35:36], v[5:6], v[47:48]
	ds_read_b128 v[47:50], v97 offset:144
	s_waitcnt lgkmcnt(2)
	v_mul_f64 v[39:40], v[39:40], v[51:52]
	v_fma_f64 v[51:52], -v[64:65], v[3:4], v[1:2]
	ds_read_b128 v[1:4], v97 offset:160
	s_waitcnt lgkmcnt(1)
	v_fma_f64 v[47:48], -v[78:79], v[47:48], v[53:54]
	v_fma_f64 v[5:6], -v[55:56], v[7:8], v[5:6]
	v_add_u32_e32 v7, s5, v57
	ds_write_b64 v7, v[33:34]
	v_add_u32_e32 v7, s13, v57
	ds_write_b64 v7, v[29:30]
	v_fma_f64 v[7:8], -v[39:40], v[58:59], v[51:52]
	v_fma_f64 v[29:30], -v[64:65], v[49:50], v[47:48]
	v_add_u32_e32 v33, s14, v57
	v_fma_f64 v[5:6], -v[78:79], v[43:44], v[5:6]
	ds_write_b64 v33, v[31:32]
	v_add_u32_e32 v31, s15, v57
	ds_write_b64 v31, v[25:26]
	v_add_u32_e32 v31, s16, v57
	v_mul_f64 v[25:26], v[60:61], v[7:8]
	s_waitcnt lgkmcnt(4)
	v_fma_f64 v[1:2], -v[39:40], v[1:2], v[29:30]
	ds_write_b64 v31, v[27:28]
	v_fma_f64 v[27:28], -v[64:65], v[45:46], v[5:6]
	v_add_u32_e32 v5, s17, v57
	ds_write_b64 v5, v[21:22]
	ds_read_b128 v[5:8], v98 offset:160
	v_add_u32_e32 v21, s18, v57
	ds_write_b64 v21, v[23:24]
	v_fma_f64 v[21:22], -v[25:26], v[3:4], v[1:2]
	ds_read_b128 v[1:4], v98 offset:176
	s_waitcnt lgkmcnt(2)
	v_fma_f64 v[5:6], -v[39:40], v[5:6], v[27:28]
	v_add_u32_e32 v23, s20, v57
	ds_write_b64 v23, v[17:18]
	v_add_u32_e32 v17, s21, v57
	ds_write_b64 v17, v[19:20]
	;; [unrolled: 2-line block ×3, first 2 shown]
	v_mul_f64 v[13:14], v[41:42], v[21:22]
	v_fma_f64 v[5:6], -v[25:26], v[7:8], v[5:6]
	v_add_u32_e32 v7, s24, v57
	ds_write_b64 v7, v[15:16]
	v_add_u32_e32 v7, s25, v57
	ds_write_b64 v7, v[9:10]
	;; [unrolled: 2-line block ×3, first 2 shown]
	v_add_u32_e32 v7, s27, v57
	s_waitcnt lgkmcnt(6)
	v_fma_f64 v[1:2], -v[13:14], v[1:2], v[5:6]
	v_add_u32_e32 v5, s28, v57
	ds_write_b64 v7, v[35:36]
	ds_write_b64 v5, v[55:56]
	v_add_u32_e32 v5, s29, v57
	ds_write_b64 v5, v[78:79]
	v_add_u32_e32 v5, s30, v57
	ds_write_b64 v5, v[64:65]
	v_mul_f64 v[1:2], v[3:4], v[1:2]
	v_add_u32_e32 v3, s31, v57
	ds_write_b64 v3, v[39:40]
	v_add_u32_e32 v3, s33, v57
	ds_write_b64 v3, v[25:26]
	;; [unrolled: 2-line block ×4, first 2 shown]
.LBB97_18:
	s_cmp_ge_i32 s8, s22
	s_cbranch_scc1 .LBB97_23
; %bb.19:
	v_mov_b32_e32 v1, 0x1880
	s_mul_i32 s4, s8, 0xe0
	v_lshl_add_u32 v3, v0, 3, v1
	s_branch .LBB97_21
.LBB97_20:                              ;   in Loop: Header=BB97_21 Depth=1
	s_mul_i32 s5, s8, 0xe8
	v_mov_b32_e32 v5, s5
	ds_read_b64 v[5:6], v5
	s_add_i32 s8, s8, 1
	s_addk_i32 s4, 0xe0
	s_cmp_ge_i32 s8, s22
	s_waitcnt lgkmcnt(0)
	v_mul_f64 v[1:2], v[5:6], v[1:2]
	ds_write_b64 v4, v[1:2]
	s_cbranch_scc1 .LBB97_23
.LBB97_21:                              ; =>This Loop Header: Depth=1
                                        ;     Child Loop BB97_22 Depth 2
	s_mul_i32 s5, s8, 0xe0
	v_add_u32_e32 v4, s5, v57
	ds_read_b64 v[1:2], v4
	s_cmp_eq_u32 s8, 0
	v_mov_b32_e32 v5, v3
	s_mov_b32 s5, s8
	s_mov_b32 s11, s4
	s_cbranch_scc1 .LBB97_20
.LBB97_22:                              ;   Parent Loop BB97_21 Depth=1
                                        ; =>  This Inner Loop Header: Depth=2
	v_mov_b32_e32 v8, s11
	ds_read_b64 v[6:7], v5
	ds_read_b64 v[8:9], v8
	s_add_i32 s11, s11, 8
	s_add_i32 s5, s5, -1
	s_cmp_lg_u32 s5, 0
	v_add_u32_e32 v5, 0xe0, v5
	s_waitcnt lgkmcnt(0)
	v_fma_f64 v[1:2], -v[6:7], v[8:9], v[1:2]
	s_cbranch_scc1 .LBB97_22
	s_branch .LBB97_20
.LBB97_23:
	s_mov_b64 s[4:5], 0
.LBB97_24:
	s_and_b64 vcc, exec, s[4:5]
	s_cbranch_vccz .LBB97_46
; %bb.25:
	s_add_i32 s4, s22, -1
	s_cmp_gt_i32 s10, 27
	s_mov_b32 s5, s4
	s_cbranch_scc0 .LBB97_27
; %bb.26:
	v_add_u32_e32 v58, 0x1000, v57
	ds_read2_b64 v[1:4], v58 offset0:216 offset1:244
	v_mov_b32_e32 v59, 0
	ds_read_b128 v[5:8], v59 offset:6256
	ds_read_b128 v[35:38], v59 offset:6240
	s_movk_i32 s8, 0x1000
	v_add_u32_e64 v62, s8, 0
	ds_read2_b64 v[17:20], v62 offset0:184 offset1:242
	s_waitcnt lgkmcnt(2)
	v_mul_f64 v[51:52], v[7:8], v[3:4]
	v_add_u32_e32 v61, 0xc00, v57
	v_add_u32_e32 v60, 0x800, v57
	ds_read2_b64 v[23:26], v58 offset0:104 offset1:132
	s_movk_i32 s5, 0xc00
	v_add_u32_e64 v127, s5, 0
	s_movk_i32 s5, 0x800
	v_fma_f64 v[5:6], -v[51:52], v[5:6], v[1:2]
	ds_read2_b64 v[1:4], v58 offset0:160 offset1:188
	s_waitcnt lgkmcnt(0)
	v_fma_f64 v[3:4], -v[51:52], v[37:38], v[3:4]
	v_fma_f64 v[55:56], -v[51:52], v[35:36], v[1:2]
	v_mul_f64 v[53:54], v[19:20], v[5:6]
	ds_read2_b64 v[19:22], v58 offset0:48 offset1:76
	ds_read2_b64 v[13:16], v61 offset0:120 offset1:148
	ds_read_b128 v[27:30], v59 offset:6016
	ds_read2_b64 v[9:12], v60 offset0:192 offset1:220
	ds_read2_b64 v[5:8], v60 offset0:136 offset1:164
	ds_read_b128 v[31:34], v59 offset:6000
	s_waitcnt lgkmcnt(3)
	v_fma_f64 v[29:30], -v[53:54], v[29:30], v[3:4]
	ds_read_b128 v[39:42], v59 offset:6224
	ds_read2_b64 v[1:4], v60 offset0:80 offset1:108
	ds_read_b128 v[35:38], v59 offset:5792
	ds_read_b128 v[43:46], v59 offset:6208
	;; [unrolled: 1-line block ×3, first 2 shown]
	s_waitcnt lgkmcnt(4)
	v_fma_f64 v[41:42], -v[51:52], v[41:42], v[25:26]
	v_fma_f64 v[55:56], -v[53:54], v[27:28], v[55:56]
	v_fma_f64 v[23:24], -v[51:52], v[39:40], v[23:24]
	s_waitcnt lgkmcnt(1)
	v_fma_f64 v[45:46], -v[51:52], v[45:46], v[21:22]
	v_fma_f64 v[19:20], -v[51:52], v[43:44], v[19:20]
	v_mul_f64 v[25:26], v[37:38], v[29:30]
	ds_read_b128 v[27:30], v59 offset:5776
	ds_read_b128 v[63:66], v59 offset:5760
	;; [unrolled: 1-line block ×6, first 2 shown]
	v_fma_f64 v[41:42], -v[53:54], v[33:34], v[41:42]
	v_fma_f64 v[103:104], -v[53:54], v[31:32], v[23:24]
	;; [unrolled: 1-line block ×3, first 2 shown]
	ds_read_b128 v[33:36], v59 offset:5984
	ds_read_b128 v[37:40], v59 offset:5968
	ds_read_b128 v[83:86], v59 offset:5088
	ds_read_b128 v[87:90], v59 offset:5072
	s_waitcnt lgkmcnt(9)
	v_fma_f64 v[41:42], -v[25:26], v[29:30], v[41:42]
	s_waitcnt lgkmcnt(3)
	v_fma_f64 v[35:36], -v[53:54], v[35:36], v[45:46]
	v_fma_f64 v[27:28], -v[25:26], v[27:28], v[103:104]
	ds_read_b128 v[21:24], v59 offset:6192
	ds_read_b128 v[29:32], v59 offset:6176
	;; [unrolled: 1-line block ×5, first 2 shown]
	v_fma_f64 v[19:20], -v[53:54], v[33:34], v[19:20]
	s_waitcnt lgkmcnt(4)
	v_fma_f64 v[13:14], -v[51:52], v[21:22], v[13:14]
	v_mul_f64 v[17:18], v[17:18], v[55:56]
	v_fma_f64 v[55:56], -v[51:52], v[23:24], v[15:16]
	s_waitcnt lgkmcnt(3)
	v_fma_f64 v[11:12], -v[51:52], v[31:32], v[11:12]
	v_fma_f64 v[19:20], -v[25:26], v[63:64], v[19:20]
	;; [unrolled: 1-line block ×7, first 2 shown]
	ds_read_b128 v[41:44], v59 offset:5520
	ds_read_b128 v[103:106], v59 offset:5504
	ds_read_b128 v[107:110], v59 offset:5296
	ds_read_b128 v[111:114], v59 offset:5280
	ds_read_b128 v[33:36], v59 offset:4848
	ds_read_b128 v[65:68], v59 offset:4832
	ds_read_b128 v[21:24], v59 offset:4624
	ds_read_b128 v[115:118], v59 offset:4608
	v_fma_f64 v[19:20], -v[17:18], v[71:72], v[19:20]
	v_mul_f64 v[15:16], v[77:78], v[45:46]
	v_fma_f64 v[45:46], -v[17:18], v[73:74], v[69:70]
	s_waitcnt lgkmcnt(9)
	v_fma_f64 v[31:32], -v[25:26], v[95:96], v[31:32]
	v_fma_f64 v[55:56], -v[25:26], v[97:98], v[39:40]
	;; [unrolled: 1-line block ×3, first 2 shown]
	ds_read_b128 v[73:76], v59 offset:4400
	ds_read_b128 v[119:122], v59 offset:4384
	ds_read2_b64 v[123:126], v62 offset0:68 offset1:126
	v_fma_f64 v[45:46], -v[15:16], v[81:82], v[45:46]
	v_fma_f64 v[62:63], -v[53:54], v[93:94], v[11:12]
	s_waitcnt lgkmcnt(10)
	v_fma_f64 v[43:44], -v[17:18], v[43:44], v[55:56]
	v_fma_f64 v[19:20], -v[15:16], v[79:80], v[19:20]
	ds_read_b128 v[37:40], v59 offset:4160
	ds_read_b128 v[69:72], v59 offset:5936
	;; [unrolled: 1-line block ×3, first 2 shown]
	s_waitcnt lgkmcnt(3)
	v_mul_f64 v[13:14], v[125:126], v[27:28]
	v_fma_f64 v[55:56], -v[51:52], v[29:30], v[9:10]
	ds_read_b128 v[27:30], v59 offset:4864
	ds_read_b128 v[9:12], v59 offset:4928
	v_fma_f64 v[62:63], -v[25:26], v[101:102], v[62:63]
	v_fma_f64 v[77:78], -v[17:18], v[41:42], v[31:32]
	v_fma_f64 v[79:80], -v[15:16], v[109:110], v[43:44]
	s_waitcnt lgkmcnt(2)
	v_fma_f64 v[5:6], -v[51:52], v[93:94], v[5:6]
	v_fma_f64 v[45:46], -v[13:14], v[85:86], v[45:46]
	;; [unrolled: 1-line block ×4, first 2 shown]
	s_waitcnt lgkmcnt(1)
	v_mul_f64 v[19:20], v[29:30], v[45:46]
	v_fma_f64 v[45:46], -v[53:54], v[91:92], v[55:56]
	v_fma_f64 v[55:56], -v[51:52], v[95:96], v[7:8]
	;; [unrolled: 1-line block ×4, first 2 shown]
	ds_read_b128 v[29:32], v59 offset:3936
	ds_read_b128 v[41:44], v59 offset:6144
	v_fma_f64 v[27:28], -v[19:20], v[27:28], v[81:82]
	v_fma_f64 v[45:46], -v[25:26], v[99:100], v[45:46]
	;; [unrolled: 1-line block ×5, first 2 shown]
	ds_read_b128 v[77:80], v59 offset:5056
	ds_read_b128 v[81:84], v59 offset:5040
	;; [unrolled: 1-line block ×5, first 2 shown]
	s_waitcnt lgkmcnt(5)
	v_fma_f64 v[1:2], -v[51:52], v[41:42], v[1:2]
	v_mul_f64 v[7:8], v[123:124], v[27:28]
	v_fma_f64 v[27:28], -v[53:54], v[71:72], v[55:56]
	v_fma_f64 v[45:46], -v[17:18], v[103:104], v[45:46]
	s_waitcnt lgkmcnt(4)
	v_fma_f64 v[55:56], -v[13:14], v[79:80], v[99:100]
	v_fma_f64 v[62:63], -v[19:20], v[33:34], v[62:63]
	;; [unrolled: 1-line block ×5, first 2 shown]
	s_waitcnt lgkmcnt(1)
	v_fma_f64 v[27:28], -v[25:26], v[87:88], v[27:28]
	v_fma_f64 v[45:46], -v[15:16], v[111:112], v[45:46]
	ds_read_b128 v[33:36], v59 offset:5488
	ds_read_b128 v[99:102], v59 offset:5472
	v_fma_f64 v[55:56], -v[19:20], v[67:68], v[55:56]
	v_fma_f64 v[62:63], -v[7:8], v[21:22], v[62:63]
	;; [unrolled: 1-line block ×3, first 2 shown]
	v_mul_f64 v[5:6], v[75:76], v[23:24]
	s_waitcnt lgkmcnt(1)
	v_fma_f64 v[27:28], -v[17:18], v[35:36], v[27:28]
	v_fma_f64 v[35:36], -v[13:14], v[77:78], v[45:46]
	ds_read_b128 v[21:24], v59 offset:5264
	ds_read_b128 v[67:70], v59 offset:5248
	ds_read2_b64 v[75:78], v127 offset0:80 offset1:138
	v_fma_f64 v[55:56], -v[7:8], v[117:118], v[55:56]
	v_fma_f64 v[85:86], -v[17:18], v[33:34], v[71:72]
	;; [unrolled: 1-line block ×3, first 2 shown]
	s_waitcnt lgkmcnt(2)
	v_fma_f64 v[23:24], -v[15:16], v[23:24], v[27:28]
	v_fma_f64 v[27:28], -v[19:20], v[65:66], v[35:36]
	ds_read_b128 v[43:46], v59 offset:5920
	ds_read_b128 v[62:65], v59 offset:5904
	v_fma_f64 v[55:56], -v[5:6], v[121:122], v[55:56]
	ds_read_b128 v[33:36], v59 offset:4592
	v_fma_f64 v[21:22], -v[15:16], v[21:22], v[85:86]
	s_waitcnt lgkmcnt(2)
	v_fma_f64 v[45:46], -v[53:54], v[45:46], v[79:80]
	v_mul_f64 v[3:4], v[77:78], v[73:74]
	v_fma_f64 v[23:24], -v[13:14], v[83:84], v[23:24]
	v_fma_f64 v[27:28], -v[7:8], v[115:116], v[27:28]
	;; [unrolled: 1-line block ×3, first 2 shown]
	ds_read_b128 v[71:74], v59 offset:4144
	v_fma_f64 v[81:82], -v[13:14], v[81:82], v[21:22]
	v_fma_f64 v[77:78], -v[25:26], v[97:98], v[45:46]
	v_fma_f64 v[55:56], -v[3:4], v[39:40], v[55:56]
	v_fma_f64 v[23:24], -v[19:20], v[91:92], v[23:24]
	ds_read_b128 v[39:42], v59 offset:4800
	v_fma_f64 v[27:28], -v[5:6], v[119:120], v[27:28]
	v_fma_f64 v[85:86], -v[25:26], v[95:96], v[83:84]
	ds_read_b128 v[43:46], v59 offset:4032
	v_fma_f64 v[87:88], -v[19:20], v[89:90], v[81:82]
	ds_read_b128 v[81:84], v59 offset:5024
	v_mul_f64 v[1:2], v[31:32], v[55:56]
	v_fma_f64 v[31:32], -v[17:18], v[101:102], v[77:78]
	s_waitcnt lgkmcnt(4)
	v_fma_f64 v[55:56], -v[7:8], v[35:36], v[23:24]
	ds_read_b128 v[77:80], v59 offset:4576
	ds_read_b128 v[21:24], v59 offset:4368
	v_fma_f64 v[27:28], -v[3:4], v[37:38], v[27:28]
	v_fma_f64 v[33:34], -v[7:8], v[33:34], v[87:88]
	ds_read_b128 v[35:38], v59 offset:4352
	ds_read_b128 v[91:94], v59 offset:3696
	v_fma_f64 v[69:70], -v[15:16], v[69:70], v[31:32]
	s_waitcnt lgkmcnt(2)
	v_fma_f64 v[23:24], -v[5:6], v[23:24], v[55:56]
	v_fma_f64 v[55:56], -v[17:18], v[99:100], v[85:86]
	v_fma_f64 v[27:28], -v[1:2], v[29:30], v[27:28]
	ds_read_b128 v[29:32], v59 offset:5008
	v_fma_f64 v[33:34], -v[5:6], v[21:22], v[33:34]
	v_fma_f64 v[87:88], -v[13:14], v[83:84], v[69:70]
	;; [unrolled: 1-line block ×4, first 2 shown]
	ds_read2_b64 v[83:86], v60 offset0:24 offset1:52
	ds_read_b128 v[66:69], v59 offset:3920
	v_mul_f64 v[21:22], v[75:76], v[27:28]
	v_fma_f64 v[33:34], -v[3:4], v[71:72], v[33:34]
	ds_read_b128 v[73:76], v59 offset:3904
	v_fma_f64 v[27:28], -v[19:20], v[41:42], v[87:88]
	ds_read_b128 v[87:90], v59 offset:6128
	v_fma_f64 v[41:42], -v[13:14], v[81:82], v[55:56]
	s_waitcnt lgkmcnt(2)
	v_fma_f64 v[23:24], -v[1:2], v[68:69], v[23:24]
	ds_read_b128 v[68:71], v59 offset:6112
	s_waitcnt lgkmcnt(1)
	v_fma_f64 v[55:56], -v[51:52], v[89:90], v[85:86]
	v_fma_f64 v[33:34], -v[1:2], v[66:67], v[33:34]
	;; [unrolled: 1-line block ×3, first 2 shown]
	ds_read_b128 v[79:82], v59 offset:3680
	v_fma_f64 v[85:86], -v[19:20], v[39:40], v[41:42]
	v_fma_f64 v[23:24], -v[21:22], v[93:94], v[23:24]
	ds_read_b128 v[39:42], v59 offset:3472
	v_fma_f64 v[83:84], -v[51:52], v[87:88], v[83:84]
	v_fma_f64 v[55:56], -v[53:54], v[64:65], v[55:56]
	ds_read_b128 v[64:67], v59 offset:4128
	ds_read_b128 v[93:96], v59 offset:5680
	v_fma_f64 v[27:28], -v[5:6], v[37:38], v[27:28]
	ds_read_b128 v[101:104], v59 offset:5664
	ds_read_b128 v[109:112], v59 offset:5456
	v_fma_f64 v[37:38], -v[7:8], v[77:78], v[85:86]
	s_waitcnt lgkmcnt(4)
	v_mul_f64 v[23:24], v[41:42], v[23:24]
	ds_read_b128 v[97:100], v59 offset:3456
	ds_read_b128 v[105:108], v59 offset:4112
	s_waitcnt lgkmcnt(4)
	v_fma_f64 v[41:42], -v[25:26], v[95:96], v[55:56]
	v_fma_f64 v[27:28], -v[3:4], v[66:67], v[27:28]
	;; [unrolled: 1-line block ×5, first 2 shown]
	ds_read_b128 v[33:36], v59 offset:5440
	ds_read_b128 v[117:120], v59 offset:4336
	;; [unrolled: 1-line block ×3, first 2 shown]
	s_waitcnt lgkmcnt(5)
	v_fma_f64 v[41:42], -v[17:18], v[111:112], v[41:42]
	v_fma_f64 v[27:28], -v[1:2], v[75:76], v[27:28]
	ds_read_b128 v[75:78], v59 offset:5232
	v_fma_f64 v[55:56], -v[23:24], v[39:40], v[55:56]
	v_fma_f64 v[85:86], -v[3:4], v[64:65], v[37:38]
	v_add_u32_e64 v64, s5, 0
	ds_read2_b64 v[64:67], v64 offset0:92 offset1:150
	ds_read_b128 v[37:40], v59 offset:5216
	s_waitcnt lgkmcnt(2)
	v_fma_f64 v[41:42], -v[15:16], v[77:78], v[41:42]
	v_fma_f64 v[77:78], -v[21:22], v[81:82], v[27:28]
	ds_read_b128 v[81:84], v59 offset:4784
	s_waitcnt lgkmcnt(2)
	v_mul_f64 v[27:28], v[66:67], v[55:56]
	v_fma_f64 v[72:73], -v[1:2], v[73:74], v[85:86]
	v_fma_f64 v[62:63], -v[25:26], v[93:94], v[62:63]
	ds_read_b128 v[85:88], v59 offset:4768
	ds_read_b128 v[93:96], v59 offset:4560
	v_fma_f64 v[31:32], -v[13:14], v[31:32], v[41:42]
	v_fma_f64 v[41:42], -v[23:24], v[99:100], v[77:78]
	s_movk_i32 s5, 0x400
	ds_read_b128 v[113:116], v59 offset:3136
	v_fma_f64 v[55:56], -v[21:22], v[79:80], v[72:73]
	ds_read_b128 v[77:80], v59 offset:3232
	v_fma_f64 v[62:63], -v[17:18], v[109:110], v[62:63]
	ds_read_b128 v[109:112], v59 offset:4544
	s_waitcnt lgkmcnt(5)
	v_fma_f64 v[31:32], -v[19:20], v[83:84], v[31:32]
	s_waitcnt lgkmcnt(1)
	v_fma_f64 v[41:42], -v[27:28], v[79:80], v[41:42]
	v_fma_f64 v[55:56], -v[23:24], v[97:98], v[55:56]
	ds_read_b128 v[97:100], v59 offset:3008
	v_fma_f64 v[31:32], -v[7:8], v[95:96], v[31:32]
	s_waitcnt lgkmcnt(0)
	v_mul_f64 v[121:122], v[99:100], v[41:42]
	v_fma_f64 v[41:42], -v[27:28], v[77:78], v[55:56]
	ds_read2_b64 v[77:80], v57 offset0:224 offset1:252
	v_fma_f64 v[55:56], -v[15:16], v[75:76], v[62:63]
	ds_read_b128 v[72:75], v59 offset:4320
	v_fma_f64 v[62:63], -v[5:6], v[119:120], v[31:32]
	s_waitcnt lgkmcnt(1)
	v_fma_f64 v[70:71], -v[51:52], v[70:71], v[79:80]
	v_fma_f64 v[83:84], -v[51:52], v[68:69], v[77:78]
	ds_read_b128 v[66:69], v59 offset:5888
	ds_read_b128 v[76:79], v59 offset:5872
	v_fma_f64 v[41:42], -v[121:122], v[97:98], v[41:42]
	v_fma_f64 v[55:56], -v[13:14], v[29:30], v[55:56]
	;; [unrolled: 1-line block ×3, first 2 shown]
	ds_read2_b64 v[29:32], v57 offset0:168 offset1:196
	s_waitcnt lgkmcnt(2)
	v_fma_f64 v[70:71], -v[53:54], v[68:69], v[70:71]
	v_fma_f64 v[97:98], -v[53:54], v[66:67], v[83:84]
	ds_read_b128 v[66:69], v59 offset:3888
	v_mul_f64 v[123:124], v[64:65], v[41:42]
	v_fma_f64 v[41:42], -v[19:20], v[81:82], v[55:56]
	ds_read_b128 v[62:65], v59 offset:3872
	ds_read_b128 v[80:83], v59 offset:6096
	s_waitcnt lgkmcnt(2)
	v_fma_f64 v[55:56], -v[1:2], v[68:69], v[95:96]
	v_fma_f64 v[95:96], -v[25:26], v[103:104], v[70:71]
	;; [unrolled: 1-line block ×3, first 2 shown]
	ds_read_b128 v[68:71], v59 offset:6080
	s_waitcnt lgkmcnt(1)
	v_fma_f64 v[99:100], -v[51:52], v[82:83], v[31:32]
	v_fma_f64 v[101:102], -v[51:52], v[80:81], v[29:30]
	;; [unrolled: 1-line block ×3, first 2 shown]
	ds_read_b128 v[29:32], v59 offset:3664
	ds_read_b128 v[80:83], v59 offset:3648
	v_fma_f64 v[35:36], -v[17:18], v[35:36], v[95:96]
	v_fma_f64 v[93:94], -v[17:18], v[33:34], v[97:98]
	;; [unrolled: 1-line block ×5, first 2 shown]
	ds_read_b128 v[76:79], v59 offset:5648
	v_fma_f64 v[101:102], -v[15:16], v[39:40], v[35:36]
	ds_read_b128 v[39:42], v59 offset:4992
	v_fma_f64 v[103:104], -v[15:16], v[37:38], v[93:94]
	s_waitcnt lgkmcnt(3)
	v_fma_f64 v[55:56], -v[21:22], v[31:32], v[55:56]
	ds_read_b128 v[35:38], v59 offset:5632
	s_waitcnt lgkmcnt(2)
	v_fma_f64 v[107:108], -v[25:26], v[78:79], v[95:96]
	v_fma_f64 v[97:98], -v[25:26], v[76:77], v[97:98]
	ds_read_b128 v[31:34], v59 offset:3440
	s_waitcnt lgkmcnt(2)
	v_fma_f64 v[101:102], -v[13:14], v[41:42], v[101:102]
	ds_read_b128 v[76:79], v59 offset:5424
	ds_read_b128 v[93:96], v59 offset:4976
	v_fma_f64 v[103:104], -v[13:14], v[39:40], v[103:104]
	v_fma_f64 v[99:100], -v[3:4], v[105:106], v[99:100]
	s_waitcnt lgkmcnt(2)
	v_fma_f64 v[33:34], -v[23:24], v[33:34], v[55:56]
	s_waitcnt lgkmcnt(1)
	v_fma_f64 v[105:106], -v[17:18], v[78:79], v[107:108]
	v_fma_f64 v[107:108], -v[17:18], v[76:77], v[97:98]
	ds_read_b128 v[39:42], v59 offset:5408
	v_fma_f64 v[55:56], -v[19:20], v[87:88], v[101:102]
	ds_read_b128 v[76:79], v59 offset:3424
	;; [unrolled: 2-line block ×3, first 2 shown]
	v_fma_f64 v[66:67], -v[1:2], v[66:67], v[99:100]
	v_fma_f64 v[33:34], -v[27:28], v[91:92], v[33:34]
	ds_read_b128 v[97:100], v59 offset:5184
	v_fma_f64 v[55:56], -v[7:8], v[111:112], v[55:56]
	s_waitcnt lgkmcnt(1)
	v_fma_f64 v[91:92], -v[15:16], v[86:87], v[105:106]
	v_fma_f64 v[111:112], -v[15:16], v[84:85], v[107:108]
	ds_read_b128 v[84:87], v59 offset:2992
	v_fma_f64 v[109:110], -v[7:8], v[109:110], v[101:102]
	v_fma_f64 v[29:30], -v[21:22], v[29:30], v[66:67]
	ds_read_b128 v[101:104], v59 offset:2976
	ds_read_b128 v[105:108], v59 offset:4096
	s_waitcnt lgkmcnt(2)
	v_fma_f64 v[33:34], -v[121:122], v[86:87], v[33:34]
	v_fma_f64 v[66:67], -v[13:14], v[95:96], v[91:92]
	;; [unrolled: 1-line block ×5, first 2 shown]
	ds_read_b128 v[72:75], v59 offset:4752
	v_fma_f64 v[109:110], -v[23:24], v[31:32], v[29:30]
	ds_read_b128 v[91:94], v59 offset:4736
	ds_read_b128 v[29:32], v59 offset:4080
	s_waitcnt lgkmcnt(2)
	v_fma_f64 v[111:112], -v[19:20], v[74:75], v[66:67]
	v_fma_f64 v[86:87], -v[19:20], v[72:73], v[86:87]
	v_fma_f64 v[55:56], -v[3:4], v[107:108], v[55:56]
	v_fma_f64 v[95:96], -v[3:4], v[105:106], v[95:96]
	ds_read_b128 v[72:75], v59 offset:4528
	ds_read_b128 v[105:108], v59 offset:2768
	v_fma_f64 v[109:110], -v[27:28], v[89:90], v[109:110]
	v_add_u32_e64 v90, s5, 0
	s_mov_b32 s5, -1
	s_waitcnt lgkmcnt(1)
	v_fma_f64 v[111:112], -v[7:8], v[74:75], v[111:112]
	v_fma_f64 v[117:118], -v[7:8], v[72:73], v[86:87]
	;; [unrolled: 1-line block ×4, first 2 shown]
	ds_read_b128 v[64:67], v59 offset:4512
	ds_read_b128 v[72:75], v59 offset:4304
	;; [unrolled: 1-line block ×3, first 2 shown]
	s_waitcnt lgkmcnt(3)
	v_fma_f64 v[33:34], -v[123:124], v[107:108], v[33:34]
	v_fma_f64 v[84:85], -v[121:122], v[84:85], v[109:110]
	ds_read_b128 v[107:110], v59 offset:4288
	s_waitcnt lgkmcnt(2)
	v_fma_f64 v[95:96], -v[5:6], v[74:75], v[111:112]
	v_fma_f64 v[111:112], -v[5:6], v[72:73], v[117:118]
	ds_read_b128 v[72:75], v59 offset:2544
	v_fma_f64 v[55:56], -v[21:22], v[82:83], v[55:56]
	v_fma_f64 v[62:63], -v[21:22], v[80:81], v[62:63]
	ds_read_b128 v[80:83], v59 offset:2528
	ds_read2_b64 v[117:120], v57 offset0:112 offset1:140
	s_waitcnt lgkmcnt(2)
	v_mul_f64 v[125:126], v[74:75], v[33:34]
	v_fma_f64 v[33:34], -v[123:124], v[105:106], v[84:85]
	v_fma_f64 v[84:85], -v[3:4], v[31:32], v[95:96]
	v_fma_f64 v[95:96], -v[3:4], v[29:30], v[111:112]
	v_fma_f64 v[55:56], -v[23:24], v[78:79], v[55:56]
	ds_read_b128 v[29:32], v59 offset:3856
	v_fma_f64 v[62:63], -v[23:24], v[76:77], v[62:63]
	s_waitcnt lgkmcnt(1)
	v_fma_f64 v[111:112], -v[51:52], v[68:69], v[117:118]
	v_fma_f64 v[105:106], -v[125:126], v[72:73], v[33:34]
	ds_read_b128 v[72:75], v59 offset:3200
	ds_read_b128 v[76:79], v59 offset:3840
	s_waitcnt lgkmcnt(2)
	v_fma_f64 v[33:34], -v[1:2], v[31:32], v[84:85]
	v_fma_f64 v[84:85], -v[1:2], v[29:30], v[95:96]
	;; [unrolled: 1-line block ×3, first 2 shown]
	s_waitcnt lgkmcnt(1)
	v_fma_f64 v[55:56], -v[27:28], v[74:75], v[55:56]
	v_fma_f64 v[62:63], -v[27:28], v[72:73], v[62:63]
	ds_read_b128 v[72:75], v59 offset:3632
	ds_read_b128 v[29:32], v59 offset:3184
	;; [unrolled: 1-line block ×3, first 2 shown]
	s_waitcnt lgkmcnt(2)
	v_fma_f64 v[127:128], -v[21:22], v[74:75], v[33:34]
	v_fma_f64 v[84:85], -v[21:22], v[72:73], v[84:85]
	ds_read_b128 v[72:75], v59 offset:5856
	ds_read_b128 v[117:120], v59 offset:5840
	v_fma_f64 v[55:56], -v[121:122], v[103:104], v[55:56]
	v_fma_f64 v[62:63], -v[121:122], v[101:102], v[62:63]
	s_waitcnt lgkmcnt(1)
	v_fma_f64 v[33:34], -v[53:54], v[74:75], v[95:96]
	v_fma_f64 v[95:96], -v[53:54], v[72:73], v[111:112]
	ds_read_b128 v[72:75], v59 offset:3408
	v_fma_f64 v[55:56], -v[123:124], v[88:89], v[55:56]
	v_fma_f64 v[62:63], -v[123:124], v[86:87], v[62:63]
	s_waitcnt lgkmcnt(0)
	v_fma_f64 v[84:85], -v[23:24], v[72:73], v[84:85]
	v_fma_f64 v[37:38], -v[25:26], v[37:38], v[33:34]
	;; [unrolled: 1-line block ×4, first 2 shown]
	ds_read2_b64 v[72:75], v90 offset0:104 offset1:162
	ds_read_b128 v[33:36], v59 offset:3392
	v_fma_f64 v[62:63], -v[125:126], v[80:81], v[62:63]
	v_fma_f64 v[37:38], -v[17:18], v[41:42], v[37:38]
	;; [unrolled: 1-line block ×3, first 2 shown]
	s_waitcnt lgkmcnt(1)
	v_mul_f64 v[103:104], v[74:75], v[105:106]
	v_fma_f64 v[41:42], -v[125:126], v[82:83], v[55:56]
	v_fma_f64 v[55:56], -v[27:28], v[31:32], v[95:96]
	;; [unrolled: 1-line block ×3, first 2 shown]
	ds_read_b128 v[29:32], v59 offset:2960
	v_fma_f64 v[95:96], -v[15:16], v[99:100], v[37:38]
	v_fma_f64 v[97:98], -v[15:16], v[97:98], v[39:40]
	ds_read_b128 v[37:40], v59 offset:4960
	ds_read_b128 v[82:85], v59 offset:2944
	;; [unrolled: 1-line block ×3, first 2 shown]
	s_waitcnt lgkmcnt(3)
	v_fma_f64 v[55:56], -v[121:122], v[31:32], v[55:56]
	v_fma_f64 v[74:75], -v[121:122], v[29:30], v[74:75]
	ds_read_b128 v[29:32], v59 offset:4944
	s_waitcnt lgkmcnt(3)
	v_fma_f64 v[99:100], -v[13:14], v[39:40], v[95:96]
	v_fma_f64 v[101:102], -v[13:14], v[37:38], v[97:98]
	ds_read_b128 v[37:40], v59 offset:2304
	ds_read_b128 v[95:98], v59 offset:2720
	s_waitcnt lgkmcnt(3)
	v_fma_f64 v[55:56], -v[123:124], v[88:89], v[55:56]
	v_fma_f64 v[74:75], -v[123:124], v[86:87], v[74:75]
	ds_read_b128 v[86:89], v59 offset:2512
	v_fma_f64 v[80:81], -v[19:20], v[93:94], v[99:100]
	v_fma_f64 v[99:100], -v[19:20], v[91:92], v[101:102]
	ds_read_b128 v[90:93], v59 offset:2288
	s_waitcnt lgkmcnt(3)
	v_fma_f64 v[41:42], -v[103:104], v[39:40], v[41:42]
	v_fma_f64 v[101:102], -v[103:104], v[37:38], v[62:63]
	ds_read_b128 v[37:40], v59 offset:2496
	s_waitcnt lgkmcnt(2)
	v_fma_f64 v[55:56], -v[125:126], v[88:89], v[55:56]
	v_fma_f64 v[74:75], -v[125:126], v[86:87], v[74:75]
	ds_read_b128 v[86:89], v59 offset:2080
	v_fma_f64 v[66:67], -v[7:8], v[66:67], v[80:81]
	v_fma_f64 v[80:81], -v[7:8], v[64:65], v[99:100]
	ds_read_b128 v[62:65], v59 offset:2240
	s_waitcnt lgkmcnt(1)
	v_mul_f64 v[105:106], v[88:89], v[41:42]
	v_fma_f64 v[55:56], -v[103:104], v[92:93], v[55:56]
	v_fma_f64 v[41:42], -v[5:6], v[109:110], v[66:67]
	;; [unrolled: 1-line block ×4, first 2 shown]
	ds_read_b128 v[90:93], v59 offset:4048
	v_fma_f64 v[80:81], -v[105:106], v[86:87], v[101:102]
	ds_read_b128 v[86:89], v59 offset:4064
	ds_read_b128 v[99:102], v59 offset:2064
	s_waitcnt lgkmcnt(1)
	v_fma_f64 v[41:42], -v[3:4], v[88:89], v[41:42]
	v_fma_f64 v[66:67], -v[3:4], v[86:87], v[66:67]
	ds_read2_b64 v[86:89], v57 offset0:56 offset1:84
	v_mul_f64 v[109:110], v[72:73], v[80:81]
	ds_read_b128 v[72:75], v59 offset:2048
	s_waitcnt lgkmcnt(2)
	v_fma_f64 v[55:56], -v[105:106], v[101:102], v[55:56]
	v_fma_f64 v[80:81], -v[105:106], v[99:100], v[107:108]
	ds_read_b128 v[99:102], v59 offset:6064
	v_fma_f64 v[41:42], -v[1:2], v[78:79], v[41:42]
	v_fma_f64 v[66:67], -v[1:2], v[76:77], v[66:67]
	ds_read_b128 v[76:79], v59 offset:6048
	s_waitcnt lgkmcnt(1)
	v_fma_f64 v[107:108], -v[51:52], v[101:102], v[88:89]
	v_fma_f64 v[111:112], -v[51:52], v[99:100], v[86:87]
	ds_read_b128 v[86:89], v59 offset:1840
	ds_read_b128 v[99:102], v59 offset:1824
	v_fma_f64 v[41:42], -v[21:22], v[70:71], v[41:42]
	v_fma_f64 v[70:71], -v[21:22], v[68:69], v[66:67]
	s_waitcnt lgkmcnt(1)
	v_fma_f64 v[55:56], -v[109:110], v[88:89], v[55:56]
	ds_read_b128 v[66:69], v59 offset:1616
	v_fma_f64 v[80:81], -v[109:110], v[86:87], v[80:81]
	ds_read_b128 v[86:89], v59 offset:1600
	v_fma_f64 v[107:108], -v[53:54], v[119:120], v[107:108]
	v_fma_f64 v[111:112], -v[53:54], v[117:118], v[111:112]
	;; [unrolled: 1-line block ×4, first 2 shown]
	s_waitcnt lgkmcnt(1)
	v_mul_f64 v[55:56], v[68:69], v[55:56]
	ds_read_b128 v[33:36], v59 offset:5600
	v_fma_f64 v[117:118], -v[55:56], v[66:67], v[80:81]
	ds_read_b128 v[66:69], v59 offset:5616
	s_waitcnt lgkmcnt(0)
	v_fma_f64 v[80:81], -v[25:26], v[68:69], v[107:108]
	v_fma_f64 v[107:108], -v[25:26], v[66:67], v[111:112]
	ds_read2_b64 v[66:69], v57 offset1:28
	s_waitcnt lgkmcnt(0)
	v_fma_f64 v[111:112], -v[51:52], v[78:79], v[68:69]
	v_fma_f64 v[119:120], -v[51:52], v[76:77], v[66:67]
	ds_read_b128 v[66:69], v59 offset:5392
	ds_read_b128 v[76:79], v59 offset:5376
	s_waitcnt lgkmcnt(1)
	v_fma_f64 v[80:81], -v[17:18], v[68:69], v[80:81]
	v_fma_f64 v[107:108], -v[17:18], v[66:67], v[107:108]
	v_fma_f64 v[111:112], -v[53:54], v[49:50], v[111:112]
	v_fma_f64 v[119:120], -v[53:54], v[47:48], v[119:120]
	ds_read_b128 v[47:50], v59 offset:5168
	ds_read_b128 v[66:69], v59 offset:5152
	s_waitcnt lgkmcnt(1)
	v_fma_f64 v[80:81], -v[15:16], v[49:50], v[80:81]
	v_fma_f64 v[107:108], -v[15:16], v[47:48], v[107:108]
	;; [unrolled: 7-line block ×3, first 2 shown]
	v_fma_f64 v[78:79], -v[17:18], v[78:79], v[111:112]
	v_fma_f64 v[80:81], -v[13:14], v[29:30], v[107:108]
	ds_read_b128 v[29:32], v59 offset:4720
	v_fma_f64 v[76:77], -v[17:18], v[76:77], v[119:120]
	v_fma_f64 v[41:42], -v[27:28], v[35:36], v[41:42]
	ds_read_b128 v[33:36], v59 offset:4704
	v_fma_f64 v[82:83], -v[121:122], v[82:83], v[127:128]
	s_waitcnt lgkmcnt(1)
	v_fma_f64 v[70:71], -v[19:20], v[31:32], v[70:71]
	v_fma_f64 v[78:79], -v[15:16], v[68:69], v[78:79]
	;; [unrolled: 1-line block ×3, first 2 shown]
	ds_read_b128 v[29:32], v59 offset:4496
	v_fma_f64 v[76:77], -v[15:16], v[66:67], v[76:77]
	ds_read_b128 v[66:69], v59 offset:4480
	v_fma_f64 v[41:42], -v[121:122], v[84:85], v[41:42]
	v_fma_f64 v[82:83], -v[123:124], v[95:96], v[82:83]
	s_waitcnt lgkmcnt(1)
	v_fma_f64 v[70:71], -v[7:8], v[31:32], v[70:71]
	v_fma_f64 v[78:79], -v[13:14], v[11:12], v[78:79]
	;; [unrolled: 1-line block ×3, first 2 shown]
	ds_read_b128 v[29:32], v59 offset:4272
	v_fma_f64 v[76:77], -v[13:14], v[9:10], v[76:77]
	ds_read_b128 v[9:12], v59 offset:4256
	v_fma_f64 v[41:42], -v[123:124], v[97:98], v[41:42]
	v_fma_f64 v[37:38], -v[125:126], v[37:38], v[82:83]
	s_waitcnt lgkmcnt(1)
	v_fma_f64 v[31:32], -v[5:6], v[31:32], v[70:71]
	v_fma_f64 v[35:36], -v[19:20], v[35:36], v[78:79]
	;; [unrolled: 1-line block ×6, first 2 shown]
	ds_read_b128 v[29:32], v59 offset:3824
	v_fma_f64 v[84:85], -v[3:4], v[90:91], v[78:79]
	v_fma_f64 v[66:67], -v[7:8], v[66:67], v[76:77]
	ds_read_b128 v[33:36], v59 offset:3808
	ds_read_b128 v[76:79], v59 offset:3584
	s_waitcnt lgkmcnt(2)
	v_fma_f64 v[31:32], -v[1:2], v[31:32], v[70:71]
	v_fma_f64 v[11:12], -v[5:6], v[11:12], v[80:81]
	ds_read_b128 v[68:71], v59 offset:3600
	v_fma_f64 v[80:81], -v[1:2], v[29:30], v[84:85]
	v_fma_f64 v[84:85], -v[5:6], v[9:10], v[66:67]
	s_waitcnt lgkmcnt(0)
	v_fma_f64 v[70:71], -v[21:22], v[70:71], v[31:32]
	v_fma_f64 v[45:46], -v[3:4], v[45:46], v[11:12]
	ds_read_b128 v[29:32], v59 offset:3376
	v_fma_f64 v[80:81], -v[21:22], v[68:69], v[80:81]
	v_fma_f64 v[84:85], -v[3:4], v[43:44], v[84:85]
	ds_read_b128 v[9:12], v59 offset:3360
	ds_read2_b64 v[66:69], v59 offset0:116 offset1:174
	s_waitcnt lgkmcnt(2)
	v_fma_f64 v[31:32], -v[23:24], v[31:32], v[70:71]
	v_fma_f64 v[70:71], -v[125:126], v[39:40], v[41:42]
	;; [unrolled: 1-line block ×3, first 2 shown]
	ds_read_b128 v[39:42], v59 offset:2272
	v_fma_f64 v[84:85], -v[1:2], v[33:34], v[84:85]
	ds_read_b128 v[43:46], v59 offset:2256
	v_fma_f64 v[49:50], -v[27:28], v[49:50], v[31:32]
	v_fma_f64 v[90:91], -v[21:22], v[78:79], v[35:36]
	ds_read_b128 v[33:36], v59 offset:2912
	s_waitcnt lgkmcnt(2)
	v_fma_f64 v[41:42], -v[103:104], v[41:42], v[70:71]
	v_fma_f64 v[70:71], -v[23:24], v[29:30], v[80:81]
	ds_read_b128 v[29:32], v59 offset:2928
	v_fma_f64 v[82:83], -v[21:22], v[76:77], v[84:85]
	ds_read_b128 v[78:81], v59 offset:2704
	v_fma_f64 v[37:38], -v[103:104], v[39:40], v[37:38]
	v_fma_f64 v[11:12], -v[23:24], v[11:12], v[90:91]
	s_waitcnt lgkmcnt(1)
	v_fma_f64 v[31:32], -v[121:122], v[31:32], v[49:50]
	v_fma_f64 v[41:42], -v[105:106], v[74:75], v[41:42]
	;; [unrolled: 1-line block ×3, first 2 shown]
	ds_read_b128 v[47:50], v59 offset:2688
	v_fma_f64 v[39:40], -v[23:24], v[9:10], v[82:83]
	ds_read_b128 v[74:77], v59 offset:2480
	v_fma_f64 v[72:73], -v[105:106], v[72:73], v[37:38]
	s_waitcnt lgkmcnt(2)
	v_fma_f64 v[31:32], -v[123:124], v[80:81], v[31:32]
	v_fma_f64 v[41:42], -v[109:110], v[101:102], v[41:42]
	;; [unrolled: 1-line block ×4, first 2 shown]
	ds_read_b128 v[9:12], v59 offset:2464
	v_fma_f64 v[82:83], -v[27:28], v[113:114], v[39:40]
	v_mul_f64 v[80:81], v[68:69], v[117:118]
	v_fma_f64 v[72:73], -v[109:110], v[99:100], v[72:73]
	s_waitcnt lgkmcnt(1)
	v_fma_f64 v[76:77], -v[125:126], v[76:77], v[31:32]
	v_fma_f64 v[68:69], -v[55:56], v[88:89], v[41:42]
	;; [unrolled: 1-line block ×4, first 2 shown]
	ds_read_b128 v[29:32], v59 offset:1376
	ds_read_b128 v[35:38], v59 offset:2032
	;; [unrolled: 1-line block ×3, first 2 shown]
	v_fma_f64 v[45:46], -v[103:104], v[45:46], v[76:77]
	s_waitcnt lgkmcnt(2)
	v_fma_f64 v[76:77], -v[80:81], v[31:32], v[68:69]
	v_fma_f64 v[74:75], -v[125:126], v[74:75], v[78:79]
	;; [unrolled: 1-line block ×4, first 2 shown]
	ds_read_b128 v[68:71], v59 offset:1808
	v_fma_f64 v[82:83], -v[55:56], v[86:87], v[72:73]
	ds_read_b128 v[31:34], v59 offset:2016
	s_waitcnt lgkmcnt(3)
	v_fma_f64 v[37:38], -v[105:106], v[37:38], v[45:46]
	v_fma_f64 v[74:75], -v[103:104], v[43:44], v[74:75]
	;; [unrolled: 1-line block ×4, first 2 shown]
	ds_read_b128 v[47:50], v59 offset:1792
	ds_read_b128 v[43:46], v59 offset:1152
	v_fma_f64 v[29:30], -v[80:81], v[29:30], v[82:83]
	s_waitcnt lgkmcnt(3)
	v_fma_f64 v[84:85], -v[109:110], v[70:71], v[37:38]
	ds_read_b128 v[70:73], v59 offset:1584
	v_fma_f64 v[74:75], -v[105:106], v[35:36], v[74:75]
	v_fma_f64 v[64:65], -v[103:104], v[64:65], v[11:12]
	v_fma_f64 v[78:79], -v[125:126], v[9:10], v[78:79]
	ds_read_b128 v[35:38], v59 offset:1344
	s_waitcnt lgkmcnt(2)
	v_mul_f64 v[76:77], v[45:46], v[76:77]
	ds_read_b128 v[9:12], v59 offset:1568
	s_waitcnt lgkmcnt(2)
	v_fma_f64 v[45:46], -v[55:56], v[72:73], v[84:85]
	v_fma_f64 v[68:69], -v[109:110], v[68:69], v[74:75]
	;; [unrolled: 1-line block ×6, first 2 shown]
	ds_read_b128 v[41:44], v59 offset:1136
	v_fma_f64 v[64:65], -v[55:56], v[70:71], v[68:69]
	v_fma_f64 v[33:34], -v[109:110], v[49:50], v[33:34]
	;; [unrolled: 1-line block ×3, first 2 shown]
	v_mul_f64 v[62:63], v[66:67], v[29:30]
	ds_read_b128 v[29:32], v59 offset:1120
	s_waitcnt lgkmcnt(1)
	v_fma_f64 v[66:67], -v[76:77], v[43:44], v[45:46]
	v_fma_f64 v[39:40], -v[80:81], v[39:40], v[64:65]
	;; [unrolled: 1-line block ×4, first 2 shown]
	ds_read_b128 v[43:46], v59 offset:912
	ds_read_b128 v[47:50], v59 offset:896
	s_waitcnt lgkmcnt(1)
	v_fma_f64 v[45:46], -v[62:63], v[45:46], v[66:67]
	v_fma_f64 v[41:42], -v[76:77], v[41:42], v[39:40]
	v_fma_f64 v[64:65], -v[80:81], v[37:38], v[11:12]
	v_fma_f64 v[33:34], -v[55:56], v[9:10], v[33:34]
	ds_read_b128 v[9:12], v59 offset:688
	ds_read_b128 v[37:40], v59 offset:672
	s_waitcnt lgkmcnt(1)
	v_mul_f64 v[45:46], v[11:12], v[45:46]
	v_fma_f64 v[11:12], -v[62:63], v[43:44], v[41:42]
	v_fma_f64 v[31:32], -v[76:77], v[31:32], v[64:65]
	;; [unrolled: 1-line block ×6, first 2 shown]
	ds_read2_b64 v[9:12], v59 offset1:58
	s_waitcnt lgkmcnt(0)
	v_mul_f64 v[11:12], v[11:12], v[35:36]
	v_fma_f64 v[39:40], -v[45:46], v[39:40], v[31:32]
	v_fma_f64 v[41:42], -v[62:63], v[47:48], v[29:30]
	ds_read_b128 v[29:32], v59 offset:448
	ds_read_b128 v[33:36], v59 offset:224
	ds_write2_b64 v58, v[53:54], v[51:52] offset0:216 offset1:244
	ds_write2_b64 v58, v[17:18], v[25:26] offset0:160 offset1:188
	;; [unrolled: 1-line block ×6, first 2 shown]
	s_waitcnt lgkmcnt(7)
	v_fma_f64 v[31:32], -v[11:12], v[31:32], v[39:40]
	v_fma_f64 v[37:38], -v[45:46], v[37:38], v[41:42]
	s_waitcnt lgkmcnt(6)
	v_mul_f64 v[31:32], v[35:36], v[31:32]
	v_fma_f64 v[29:30], -v[11:12], v[29:30], v[37:38]
	v_fma_f64 v[29:30], -v[31:32], v[33:34], v[29:30]
	v_mul_f64 v[1:2], v[9:10], v[29:30]
	ds_write2_b64 v60, v[27:28], v[23:24] offset0:136 offset1:164
	ds_write2_b64 v60, v[123:124], v[121:122] offset0:80 offset1:108
	;; [unrolled: 1-line block ×7, first 2 shown]
	ds_write2_b64 v57, v[1:2], v[31:32] offset1:28
.LBB97_27:
	s_cmp_gt_i32 s5, -1
	s_cbranch_scc0 .LBB97_46
; %bb.28:
	s_cmp_lt_u32 s5, 23
	s_cbranch_scc1 .LBB97_33
; %bb.29:
	s_mul_i32 s8, s5, 0xe0
	v_add_u32_e32 v49, s8, v57
	v_add_u32_e32 v1, 0xffffff20, v49
	v_add_u32_e32 v2, 0xfffffe40, v49
	v_add_u32_e32 v3, 0xfffffd60, v49
	ds_read_b64 v[7:8], v49
	ds_read_b64 v[47:48], v1
	ds_read_b64 v[9:10], v2
	ds_read_b64 v[11:12], v3
	v_add_u32_e32 v1, 0xfffffc80, v49
	v_add_u32_e32 v2, 0xfffffba0, v49
	v_add_u32_e32 v3, 0xfffffac0, v49
	v_add_u32_e32 v4, 0xfffff9e0, v49
	ds_read_b64 v[45:46], v1
	ds_read_b64 v[13:14], v2
	ds_read_b64 v[15:16], v3
	ds_read_b64 v[19:20], v4
	;; [unrolled: 8-line block ×6, first 2 shown]
	s_cmp_le_i32 s4, s5
	s_cbranch_scc1 .LBB97_32
; %bb.30:
	s_mul_i32 s10, s22, 0xe0
	s_lshl_b32 s11, s5, 3
	v_lshl_add_u32 v50, v0, 3, s10
	s_add_i32 s10, s10, s11
	v_add_u32_e32 v50, 0x17a0, v50
	s_addk_i32 s10, 0xfe68
	s_mov_b32 s11, s4
.LBB97_31:                              ; =>This Inner Loop Header: Depth=1
	v_mov_b32_e32 v98, s10
	ds_read_b64 v[55:56], v50
	ds_read2_b64 v[51:54], v98 offset0:22 offset1:23
	ds_read2_b64 v[58:61], v98 offset0:20 offset1:21
	;; [unrolled: 1-line block ×11, first 2 shown]
	ds_read2_b64 v[98:101], v98 offset1:1
	s_add_i32 s11, s11, -1
	s_addk_i32 s10, 0xff20
	s_cmp_gt_i32 s11, s5
	s_waitcnt lgkmcnt(11)
	v_fma_f64 v[7:8], -v[55:56], v[53:54], v[7:8]
	v_fma_f64 v[47:48], -v[55:56], v[51:52], v[47:48]
	s_waitcnt lgkmcnt(10)
	v_fma_f64 v[9:10], -v[55:56], v[60:61], v[9:10]
	v_fma_f64 v[11:12], -v[55:56], v[58:59], v[11:12]
	;; [unrolled: 3-line block ×12, first 2 shown]
	v_add_u32_e32 v50, 0xffffff20, v50
	s_cbranch_scc1 .LBB97_31
.LBB97_32:
	s_lshl_b32 s12, s5, 3
	s_add_i32 s10, s12, -8
	s_add_i32 s10, s10, s8
	v_mov_b32_e32 v50, s10
	ds_read2_b64 v[50:53], v50 offset1:1
	s_addk_i32 s10, 0xff20
	v_mov_b32_e32 v54, s10
	ds_read_b64 v[54:55], v54
	s_sub_i32 s15, s12, 24
	s_waitcnt lgkmcnt(1)
	v_mul_f64 v[7:8], v[52:53], v[7:8]
	s_add_i32 s18, s15, s8
	s_add_i32 s13, s8, 0xffffff20
	;; [unrolled: 1-line block ×3, first 2 shown]
	v_mov_b32_e32 v56, s19
	s_sub_i32 s16, s12, 40
	s_add_i32 s14, s8, 0xfffffe40
	s_add_i32 s19, s16, s8
	v_fma_f64 v[47:48], -v[7:8], v[50:51], v[47:48]
	v_mov_b32_e32 v50, s18
	ds_read2_b64 v[50:53], v50 offset1:1
	ds_read2_b64 v[58:61], v56 offset1:1
	s_add_i32 s15, s15, s14
	s_add_i32 s20, s16, s13
	v_mov_b32_e32 v56, s20
	s_waitcnt lgkmcnt(1)
	v_fma_f64 v[52:53], -v[7:8], v[52:53], v[9:10]
	v_mul_f64 v[9:10], v[54:55], v[47:48]
	v_fma_f64 v[11:12], -v[7:8], v[50:51], v[11:12]
	v_mov_b32_e32 v55, s19
	v_mov_b32_e32 v54, s15
	s_add_i32 s15, s18, 0xfffffd60
	s_sub_i32 s17, s12, 56
	s_add_i32 s20, s17, s8
	s_add_i32 s10, s8, 0xfffffd60
	s_waitcnt lgkmcnt(0)
	v_fma_f64 v[47:48], -v[9:10], v[60:61], v[52:53]
	ds_read2_b64 v[50:53], v55 offset1:1
	ds_read2_b64 v[60:63], v54 offset1:1
	v_mov_b32_e32 v54, s15
	ds_read2_b64 v[64:67], v56 offset1:1
	ds_read_b64 v[68:69], v54
	s_add_i32 s15, s16, s14
	s_waitcnt lgkmcnt(3)
	v_fma_f64 v[45:46], -v[7:8], v[52:53], v[45:46]
	v_fma_f64 v[52:53], -v[9:10], v[58:59], v[11:12]
	;; [unrolled: 1-line block ×3, first 2 shown]
	s_waitcnt lgkmcnt(2)
	v_mul_f64 v[11:12], v[62:63], v[47:48]
	v_mov_b32_e32 v47, s15
	v_mov_b32_e32 v56, s20
	s_add_i32 s18, s16, s10
	s_add_i32 s21, s17, s13
	s_waitcnt lgkmcnt(1)
	v_fma_f64 v[62:63], -v[9:10], v[66:67], v[45:46]
	ds_read2_b64 v[45:48], v47 offset1:1
	v_fma_f64 v[50:51], -v[9:10], v[64:65], v[50:51]
	v_fma_f64 v[66:67], -v[11:12], v[60:61], v[52:53]
	ds_read2_b64 v[58:61], v56 offset1:1
	v_mov_b32_e32 v52, s18
	ds_read2_b64 v[52:55], v52 offset1:1
	v_mov_b32_e32 v56, s21
	s_waitcnt lgkmcnt(2)
	v_fma_f64 v[47:48], -v[11:12], v[47:48], v[62:63]
	s_waitcnt lgkmcnt(1)
	v_fma_f64 v[15:16], -v[7:8], v[60:61], v[15:16]
	s_add_i32 s11, s8, 0xfffffc80
	v_mul_f64 v[13:14], v[68:69], v[66:67]
	ds_read2_b64 v[66:69], v56 offset1:1
	v_fma_f64 v[50:51], -v[11:12], v[45:46], v[50:51]
	s_add_i32 s16, s16, s11
	s_add_i32 s15, s17, s14
	v_mov_b32_e32 v56, s16
	s_waitcnt lgkmcnt(0)
	v_fma_f64 v[68:69], -v[9:10], v[68:69], v[15:16]
	s_add_i32 s16, s19, 0xfffffba0
	v_fma_f64 v[54:55], -v[13:14], v[54:55], v[47:48]
	v_mov_b32_e32 v47, s15
	ds_read2_b64 v[60:63], v56 offset1:1
	v_mov_b32_e32 v56, s16
	ds_read2_b64 v[45:48], v47 offset1:1
	ds_read_b64 v[70:71], v56
	v_fma_f64 v[19:20], -v[7:8], v[58:59], v[19:20]
	v_fma_f64 v[50:51], -v[13:14], v[52:53], v[50:51]
	s_add_i32 s15, s17, s10
	s_waitcnt lgkmcnt(2)
	v_mul_f64 v[15:16], v[62:63], v[54:55]
	s_waitcnt lgkmcnt(1)
	v_fma_f64 v[47:48], -v[11:12], v[47:48], v[68:69]
	v_mov_b32_e32 v54, s15
	ds_read2_b64 v[62:65], v54 offset1:1
	s_add_i32 s15, s17, s11
	v_fma_f64 v[19:20], -v[9:10], v[66:67], v[19:20]
	s_add_i32 s16, s8, 0xfffffba0
	s_add_i32 s19, s12, 0xffffffb8
	v_fma_f64 v[54:55], -v[15:16], v[60:61], v[50:51]
	s_waitcnt lgkmcnt(0)
	v_fma_f64 v[47:48], -v[13:14], v[64:65], v[47:48]
	v_mov_b32_e32 v50, s15
	ds_read2_b64 v[50:53], v50 offset1:1
	s_add_i32 s15, s17, s16
	v_mov_b32_e32 v56, s15
	v_fma_f64 v[45:46], -v[11:12], v[45:46], v[19:20]
	ds_read2_b64 v[58:61], v56 offset1:1
	v_mul_f64 v[19:20], v[70:71], v[54:55]
	s_waitcnt lgkmcnt(1)
	v_fma_f64 v[47:48], -v[15:16], v[52:53], v[47:48]
	s_add_i32 s23, s19, s8
	s_add_i32 s18, s19, s13
	v_mov_b32_e32 v52, s18
	s_add_i32 s15, s8, 0xfffffac0
	v_fma_f64 v[64:65], -v[13:14], v[62:63], v[45:46]
	v_mov_b32_e32 v45, s23
	ds_read2_b64 v[52:55], v52 offset1:1
	s_waitcnt lgkmcnt(1)
	v_fma_f64 v[66:67], -v[19:20], v[60:61], v[47:48]
	ds_read2_b64 v[45:48], v45 offset1:1
	s_add_i32 s17, s17, s15
	s_add_i32 s26, s12, 0xffffffa8
	s_add_i32 s21, s26, s8
	v_fma_f64 v[50:51], -v[15:16], v[50:51], v[64:65]
	s_waitcnt lgkmcnt(0)
	v_fma_f64 v[47:48], -v[7:8], v[47:48], v[23:24]
	v_mov_b32_e32 v23, s17
	ds_read2_b64 v[60:63], v23 offset1:1
	s_add_i32 s17, s20, 0xfffff9e0
	v_mov_b32_e32 v23, s17
	s_add_i32 s17, s19, s14
	ds_read_b64 v[70:71], v23
	s_waitcnt lgkmcnt(1)
	v_mul_f64 v[23:24], v[62:63], v[66:67]
	v_fma_f64 v[47:48], -v[9:10], v[54:55], v[47:48]
	v_mov_b32_e32 v54, s17
	ds_read2_b64 v[62:65], v54 offset1:1
	s_add_i32 s17, s19, s10
	v_mov_b32_e32 v54, s17
	ds_read2_b64 v[66:69], v54 offset1:1
	v_fma_f64 v[50:51], -v[19:20], v[58:59], v[50:51]
	v_fma_f64 v[21:22], -v[7:8], v[45:46], v[21:22]
	s_waitcnt lgkmcnt(1)
	v_fma_f64 v[47:48], -v[11:12], v[64:65], v[47:48]
	s_add_i32 s17, s19, s11
	v_mov_b32_e32 v45, s17
	s_add_i32 s17, s19, s16
	s_add_i32 s18, s8, 0xfffff9e0
	;; [unrolled: 1-line block ×3, first 2 shown]
	v_fma_f64 v[54:55], -v[23:24], v[60:61], v[50:51]
	v_mov_b32_e32 v50, s17
	s_waitcnt lgkmcnt(0)
	v_fma_f64 v[58:59], -v[13:14], v[68:69], v[47:48]
	ds_read2_b64 v[45:48], v45 offset1:1
	v_fma_f64 v[21:22], -v[9:10], v[52:53], v[21:22]
	ds_read2_b64 v[50:53], v50 offset1:1
	s_add_i32 s17, s19, s15
	s_add_i32 s24, s25, s8
	;; [unrolled: 1-line block ×4, first 2 shown]
	s_waitcnt lgkmcnt(1)
	v_fma_f64 v[47:48], -v[15:16], v[47:48], v[58:59]
	s_add_i32 s28, s31, s8
	v_fma_f64 v[58:59], -v[11:12], v[62:63], v[21:22]
	v_mul_f64 v[21:22], v[70:71], v[54:55]
	ds_write_b64 v49, v[7:8]
	s_add_i32 s30, s12, 0xffffff68
	s_add_i32 s29, s30, s8
	s_sub_i32 s5, s5, 24
	s_waitcnt lgkmcnt(1)
	v_fma_f64 v[47:48], -v[19:20], v[52:53], v[47:48]
	v_mov_b32_e32 v52, s17
	ds_read2_b64 v[52:55], v52 offset1:1
	v_fma_f64 v[66:67], -v[13:14], v[66:67], v[58:59]
	s_add_i32 s17, s19, s18
	v_mov_b32_e32 v56, s17
	s_add_i32 s17, s26, s13
	ds_read2_b64 v[58:61], v56 offset1:1
	s_waitcnt lgkmcnt(1)
	v_fma_f64 v[54:55], -v[23:24], v[54:55], v[47:48]
	v_mov_b32_e32 v47, s21
	ds_read2_b64 v[62:65], v47 offset1:1
	v_fma_f64 v[66:67], -v[15:16], v[45:46], v[66:67]
	v_mov_b32_e32 v45, s17
	ds_read2_b64 v[45:48], v45 offset1:1
	s_add_i32 s17, s8, 0xfffff900
	s_waitcnt lgkmcnt(1)
	v_fma_f64 v[27:28], -v[7:8], v[64:65], v[27:28]
	s_add_i32 s19, s19, s17
	v_mov_b32_e32 v56, s19
	s_add_i32 s19, s26, s14
	v_fma_f64 v[50:51], -v[19:20], v[50:51], v[66:67]
	ds_read2_b64 v[64:67], v56 offset1:1
	v_fma_f64 v[54:55], -v[21:22], v[60:61], v[54:55]
	v_fma_f64 v[29:30], -v[7:8], v[62:63], v[29:30]
	s_waitcnt lgkmcnt(1)
	v_fma_f64 v[27:28], -v[9:10], v[47:48], v[27:28]
	v_mov_b32_e32 v47, s19
	ds_read2_b64 v[68:71], v47 offset1:1
	s_add_i32 s19, s26, s10
	v_fma_f64 v[47:48], -v[23:24], v[52:53], v[50:51]
	v_mov_b32_e32 v50, s19
	ds_read2_b64 v[50:53], v50 offset1:1
	s_add_i32 s19, s23, 0xfffff820
	s_waitcnt lgkmcnt(1)
	v_fma_f64 v[60:61], -v[11:12], v[70:71], v[27:28]
	v_mov_b32_e32 v27, s19
	ds_read_b64 v[70:71], v27
	s_add_i32 s19, s26, s11
	v_fma_f64 v[58:59], -v[21:22], v[58:59], v[47:48]
	v_mov_b32_e32 v47, s19
	v_mul_f64 v[27:28], v[66:67], v[54:55]
	v_fma_f64 v[29:30], -v[9:10], v[45:46], v[29:30]
	s_waitcnt lgkmcnt(1)
	v_fma_f64 v[60:61], -v[13:14], v[52:53], v[60:61]
	ds_read2_b64 v[52:55], v47 offset1:1
	s_add_i32 s19, s26, s16
	v_mov_b32_e32 v47, s19
	ds_read2_b64 v[45:48], v47 offset1:1
	s_add_i32 s19, s26, s15
	v_fma_f64 v[66:67], -v[27:28], v[64:65], v[58:59]
	v_fma_f64 v[29:30], -v[11:12], v[68:69], v[29:30]
	s_waitcnt lgkmcnt(1)
	v_fma_f64 v[54:55], -v[15:16], v[54:55], v[60:61]
	s_add_i32 s23, s25, s13
	s_add_i32 s20, s26, s17
	s_addk_i32 s21, 0xf660
	v_fma_f64 v[50:51], -v[13:14], v[50:51], v[29:30]
	s_waitcnt lgkmcnt(0)
	v_fma_f64 v[47:48], -v[19:20], v[47:48], v[54:55]
	v_mov_b32_e32 v54, s19
	ds_read2_b64 v[58:61], v54 offset1:1
	s_add_i32 s19, s26, s18
	v_mov_b32_e32 v54, s19
	ds_read2_b64 v[62:65], v54 offset1:1
	s_add_i32 s19, s8, 0xfffff820
	v_fma_f64 v[54:55], -v[15:16], v[52:53], v[50:51]
	s_waitcnt lgkmcnt(1)
	v_fma_f64 v[47:48], -v[23:24], v[60:61], v[47:48]
	v_mul_f64 v[29:30], v[70:71], v[66:67]
	v_fma_f64 v[60:61], -v[19:20], v[45:46], v[54:55]
	s_waitcnt lgkmcnt(0)
	v_fma_f64 v[64:65], -v[21:22], v[64:65], v[47:48]
	v_mov_b32_e32 v47, s24
	ds_read2_b64 v[50:53], v47 offset1:1
	v_mov_b32_e32 v45, s23
	ds_read2_b64 v[45:48], v45 offset1:1
	s_addk_i32 s24, 0xf4a0
	s_waitcnt lgkmcnt(1)
	v_fma_f64 v[43:44], -v[7:8], v[52:53], v[43:44]
	v_mov_b32_e32 v52, s20
	ds_read2_b64 v[52:55], v52 offset1:1
	s_add_i32 s20, s26, s19
	v_mov_b32_e32 v56, s20
	s_add_i32 s20, s25, s14
	v_fma_f64 v[68:69], -v[23:24], v[58:59], v[60:61]
	ds_read2_b64 v[58:61], v56 offset1:1
	s_waitcnt lgkmcnt(2)
	v_fma_f64 v[43:44], -v[9:10], v[47:48], v[43:44]
	v_mov_b32_e32 v47, s20
	s_waitcnt lgkmcnt(1)
	v_fma_f64 v[54:55], -v[27:28], v[54:55], v[64:65]
	ds_read2_b64 v[64:67], v47 offset1:1
	v_fma_f64 v[35:36], -v[7:8], v[50:51], v[35:36]
	s_add_i32 s20, s25, s10
	v_mov_b32_e32 v56, s20
	v_fma_f64 v[47:48], -v[21:22], v[62:63], v[68:69]
	s_waitcnt lgkmcnt(0)
	v_fma_f64 v[43:44], -v[11:12], v[66:67], v[43:44]
	ds_read2_b64 v[68:71], v56 offset1:1
	s_add_i32 s20, s8, 0xfffff740
	v_fma_f64 v[60:61], -v[29:30], v[60:61], v[54:55]
	s_add_i32 s23, s26, s20
	v_fma_f64 v[35:36], -v[9:10], v[45:46], v[35:36]
	v_mov_b32_e32 v56, s23
	s_add_i32 s23, s25, s11
	s_waitcnt lgkmcnt(0)
	v_fma_f64 v[54:55], -v[13:14], v[70:71], v[43:44]
	v_mov_b32_e32 v43, s23
	v_fma_f64 v[47:48], -v[27:28], v[52:53], v[47:48]
	ds_read2_b64 v[50:53], v43 offset1:1
	s_add_i32 s23, s25, s16
	v_fma_f64 v[64:65], -v[11:12], v[64:65], v[35:36]
	v_mov_b32_e32 v43, s23
	ds_read2_b64 v[43:46], v43 offset1:1
	s_waitcnt lgkmcnt(1)
	v_fma_f64 v[62:63], -v[15:16], v[52:53], v[54:55]
	ds_read2_b64 v[52:55], v56 offset1:1
	v_mov_b32_e32 v56, s21
	s_add_i32 s21, s25, s15
	ds_read_b64 v[66:67], v56
	v_fma_f64 v[64:65], -v[13:14], v[68:69], v[64:65]
	s_waitcnt lgkmcnt(1)
	v_mul_f64 v[35:36], v[54:55], v[60:61]
	v_fma_f64 v[54:55], -v[29:30], v[58:59], v[47:48]
	v_fma_f64 v[62:63], -v[19:20], v[45:46], v[62:63]
	v_mov_b32_e32 v45, s21
	ds_read2_b64 v[45:48], v45 offset1:1
	s_add_i32 s21, s25, s18
	v_mov_b32_e32 v56, s21
	ds_read2_b64 v[58:61], v56 offset1:1
	s_add_i32 s21, s25, s17
	s_add_i32 s26, s27, s8
	s_waitcnt lgkmcnt(1)
	v_fma_f64 v[47:48], -v[23:24], v[47:48], v[62:63]
	v_fma_f64 v[62:63], -v[15:16], v[50:51], v[64:65]
	v_mov_b32_e32 v50, s21
	v_fma_f64 v[64:65], -v[35:36], v[52:53], v[54:55]
	ds_read2_b64 v[50:53], v50 offset1:1
	s_add_i32 s21, s25, s19
	v_mov_b32_e32 v54, s21
	s_add_i32 s21, s27, s13
	s_waitcnt lgkmcnt(1)
	v_fma_f64 v[47:48], -v[21:22], v[60:61], v[47:48]
	v_fma_f64 v[43:44], -v[19:20], v[43:44], v[62:63]
	ds_read2_b64 v[60:63], v54 offset1:1
	v_fma_f64 v[68:69], -v[23:24], v[45:46], v[43:44]
	v_mov_b32_e32 v43, s21
	ds_read2_b64 v[43:46], v43 offset1:1
	s_waitcnt lgkmcnt(2)
	v_fma_f64 v[47:48], -v[27:28], v[52:53], v[47:48]
	v_mov_b32_e32 v52, s26
	ds_read2_b64 v[52:55], v52 offset1:1
	s_add_i32 s21, s25, s20
	v_mov_b32_e32 v56, s21
	s_add_i32 s21, s27, s14
	v_fma_f64 v[58:59], -v[21:22], v[58:59], v[68:69]
	s_waitcnt lgkmcnt(0)
	v_fma_f64 v[54:55], -v[7:8], v[54:55], v[37:38]
	v_fma_f64 v[74:75], -v[29:30], v[62:63], v[47:48]
	v_mul_f64 v[37:38], v[66:67], v[64:65]
	ds_read2_b64 v[66:69], v56 offset1:1
	v_fma_f64 v[41:42], -v[7:8], v[52:53], v[41:42]
	s_addk_i32 s26, 0xf2e0
	v_fma_f64 v[50:51], -v[27:28], v[50:51], v[58:59]
	v_fma_f64 v[54:55], -v[9:10], v[45:46], v[54:55]
	v_mov_b32_e32 v45, s21
	ds_read2_b64 v[45:48], v45 offset1:1
	s_add_i32 s21, s27, s10
	v_mov_b32_e32 v58, s21
	ds_read2_b64 v[62:65], v58 offset1:1
	s_add_i32 s21, s8, 0xfffff660
	s_add_i32 s23, s25, s21
	s_waitcnt lgkmcnt(1)
	v_fma_f64 v[47:48], -v[11:12], v[47:48], v[54:55]
	v_mov_b32_e32 v54, s23
	ds_read2_b64 v[70:73], v54 offset1:1
	s_add_i32 s23, s27, s11
	v_fma_f64 v[54:55], -v[35:36], v[68:69], v[74:75]
	v_fma_f64 v[68:69], -v[29:30], v[60:61], v[50:51]
	v_mov_b32_e32 v50, s23
	ds_read2_b64 v[58:61], v50 offset1:1
	s_waitcnt lgkmcnt(2)
	v_fma_f64 v[47:48], -v[13:14], v[64:65], v[47:48]
	s_add_i32 s23, s27, s16
	v_mov_b32_e32 v50, s23
	ds_read2_b64 v[50:53], v50 offset1:1
	v_fma_f64 v[41:42], -v[9:10], v[43:44], v[41:42]
	s_add_i32 s23, s8, 0xfffff580
	s_add_i32 s25, s25, s23
	v_fma_f64 v[64:65], -v[35:36], v[66:67], v[68:69]
	s_waitcnt lgkmcnt(1)
	v_fma_f64 v[47:48], -v[15:16], v[60:61], v[47:48]
	v_fma_f64 v[60:61], -v[37:38], v[72:73], v[54:55]
	v_mov_b32_e32 v54, s25
	ds_read2_b64 v[72:75], v54 offset1:1
	s_add_i32 s25, s27, s15
	v_mov_b32_e32 v43, s25
	v_fma_f64 v[66:67], -v[11:12], v[45:46], v[41:42]
	v_mov_b32_e32 v41, s24
	s_waitcnt lgkmcnt(1)
	v_fma_f64 v[47:48], -v[19:20], v[52:53], v[47:48]
	ds_read2_b64 v[52:55], v43 offset1:1
	ds_read_b64 v[76:77], v41
	s_add_i32 s25, s27, s18
	v_mov_b32_e32 v43, s25
	ds_read2_b64 v[43:46], v43 offset1:1
	s_add_i32 s24, s27, s17
	s_waitcnt lgkmcnt(3)
	v_mul_f64 v[41:42], v[74:75], v[60:61]
	s_waitcnt lgkmcnt(2)
	v_fma_f64 v[47:48], -v[23:24], v[54:55], v[47:48]
	v_fma_f64 v[54:55], -v[13:14], v[62:63], v[66:67]
	v_fma_f64 v[62:63], -v[37:38], v[70:71], v[64:65]
	s_add_i32 s25, s31, s13
	s_waitcnt lgkmcnt(0)
	v_fma_f64 v[64:65], -v[21:22], v[45:46], v[47:48]
	v_mov_b32_e32 v45, s24
	ds_read2_b64 v[45:48], v45 offset1:1
	v_fma_f64 v[54:55], -v[15:16], v[58:59], v[54:55]
	s_add_i32 s24, s27, s19
	v_mov_b32_e32 v56, s24
	ds_read2_b64 v[58:61], v56 offset1:1
	v_fma_f64 v[70:71], -v[41:42], v[72:73], v[62:63]
	s_waitcnt lgkmcnt(1)
	v_fma_f64 v[47:48], -v[27:28], v[47:48], v[64:65]
	s_add_i32 s24, s27, s20
	v_mov_b32_e32 v56, s24
	v_fma_f64 v[50:51], -v[19:20], v[50:51], v[54:55]
	v_mov_b32_e32 v54, s28
	s_add_i32 s24, s27, s21
	s_addk_i32 s28, 0xf120
	s_waitcnt lgkmcnt(0)
	v_fma_f64 v[47:48], -v[29:30], v[60:61], v[47:48]
	ds_read2_b64 v[60:63], v54 offset1:1
	v_fma_f64 v[54:55], -v[23:24], v[52:53], v[50:51]
	v_mov_b32_e32 v50, s25
	ds_read2_b64 v[50:53], v50 offset1:1
	s_waitcnt lgkmcnt(1)
	v_fma_f64 v[39:40], -v[7:8], v[62:63], v[39:40]
	ds_read2_b64 v[62:65], v56 offset1:1
	s_add_i32 s25, s27, s23
	v_mov_b32_e32 v49, s25
	s_add_i32 s25, s31, s11
	v_fma_f64 v[43:44], -v[21:22], v[43:44], v[54:55]
	v_mov_b32_e32 v54, s24
	ds_read2_b64 v[66:69], v54 offset1:1
	s_waitcnt lgkmcnt(2)
	v_fma_f64 v[39:40], -v[9:10], v[52:53], v[39:40]
	s_add_i32 s24, s31, s14
	v_mov_b32_e32 v52, s24
	ds_read2_b64 v[52:55], v52 offset1:1
	s_waitcnt lgkmcnt(2)
	v_fma_f64 v[47:48], -v[35:36], v[64:65], v[47:48]
	s_add_i32 s24, s31, s10
	v_fma_f64 v[64:65], -v[27:28], v[45:46], v[43:44]
	v_mov_b32_e32 v43, s24
	s_waitcnt lgkmcnt(0)
	v_fma_f64 v[54:55], -v[11:12], v[54:55], v[39:40]
	ds_read2_b64 v[43:46], v43 offset1:1
	v_mul_f64 v[39:40], v[76:77], v[70:71]
	s_add_i32 s24, s8, 0xfffff4a0
	v_fma_f64 v[76:77], -v[37:38], v[68:69], v[47:48]
	ds_read2_b64 v[68:71], v49 offset1:1
	v_fma_f64 v[58:59], -v[29:30], v[58:59], v[64:65]
	v_fma_f64 v[33:34], -v[7:8], v[60:61], v[33:34]
	s_waitcnt lgkmcnt(1)
	v_fma_f64 v[54:55], -v[13:14], v[45:46], v[54:55]
	v_mov_b32_e32 v45, s25
	ds_read2_b64 v[45:48], v45 offset1:1
	s_add_i32 s25, s31, s16
	v_mov_b32_e32 v56, s25
	s_add_i32 s25, s27, s24
	v_mov_b32_e32 v49, s25
	ds_read2_b64 v[72:75], v49 offset1:1
	s_waitcnt lgkmcnt(1)
	v_fma_f64 v[47:48], -v[15:16], v[47:48], v[54:55]
	v_fma_f64 v[58:59], -v[35:36], v[62:63], v[58:59]
	ds_read2_b64 v[62:65], v56 offset1:1
	s_add_i32 s25, s31, s15
	v_fma_f64 v[33:34], -v[9:10], v[50:51], v[33:34]
	v_fma_f64 v[54:55], -v[41:42], v[70:71], v[76:77]
	v_add_u32_e32 v76, s13, v57
	ds_write_b64 v76, v[9:10]
	s_waitcnt lgkmcnt(1)
	v_fma_f64 v[64:65], -v[19:20], v[64:65], v[47:48]
	v_mov_b32_e32 v47, s25
	v_fma_f64 v[66:67], -v[37:38], v[66:67], v[58:59]
	ds_read2_b64 v[58:61], v47 offset1:1
	s_add_i32 s25, s31, s18
	v_mov_b32_e32 v47, s25
	ds_read2_b64 v[47:50], v47 offset1:1
	s_add_i32 s25, s8, 0xfffff3c0
	s_waitcnt lgkmcnt(1)
	v_fma_f64 v[60:61], -v[23:24], v[60:61], v[64:65]
	v_fma_f64 v[33:34], -v[11:12], v[52:53], v[33:34]
	s_add_i32 s27, s27, s25
	v_mov_b32_e32 v64, s27
	v_fma_f64 v[68:69], -v[41:42], v[68:69], v[66:67]
	ds_read2_b64 v[64:67], v64 offset1:1
	s_add_i32 s27, s31, s17
	v_fma_f64 v[70:71], -v[39:40], v[74:75], v[54:55]
	s_waitcnt lgkmcnt(1)
	v_fma_f64 v[60:61], -v[21:22], v[49:50], v[60:61]
	v_mov_b32_e32 v49, s27
	ds_read2_b64 v[49:52], v49 offset1:1
	v_fma_f64 v[33:34], -v[13:14], v[43:44], v[33:34]
	s_add_i32 s27, s31, s19
	v_mov_b32_e32 v43, s27
	ds_read2_b64 v[53:56], v43 offset1:1
	v_fma_f64 v[74:75], -v[39:40], v[72:73], v[68:69]
	s_waitcnt lgkmcnt(1)
	v_fma_f64 v[43:44], -v[27:28], v[51:52], v[60:61]
	v_mov_b32_e32 v51, s26
	ds_read_b64 v[80:81], v51
	v_fma_f64 v[51:52], -v[15:16], v[45:46], v[33:34]
	s_add_i32 s26, s31, s20
	v_mul_f64 v[33:34], v[66:67], v[70:71]
	s_add_i32 s27, s30, s14
	s_waitcnt lgkmcnt(1)
	v_fma_f64 v[55:56], -v[29:30], v[55:56], v[43:44]
	v_mov_b32_e32 v43, s26
	ds_read2_b64 v[43:46], v43 offset1:1
	v_fma_f64 v[51:52], -v[19:20], v[62:63], v[51:52]
	s_add_i32 s26, s31, s21
	v_mov_b32_e32 v60, s26
	ds_read2_b64 v[60:63], v60 offset1:1
	s_add_i32 s26, s30, s13
	s_waitcnt lgkmcnt(1)
	v_fma_f64 v[45:46], -v[35:36], v[45:46], v[55:56]
	v_mov_b32_e32 v55, s29
	ds_read2_b64 v[66:69], v55 offset1:1
	v_fma_f64 v[51:52], -v[23:24], v[58:59], v[51:52]
	v_mov_b32_e32 v55, s26
	ds_read2_b64 v[70:73], v55 offset1:1
	v_add_u32_e32 v55, s14, v57
	s_waitcnt lgkmcnt(1)
	v_fma_f64 v[31:32], -v[7:8], v[68:69], v[31:32]
	v_fma_f64 v[68:69], -v[37:38], v[62:63], v[45:46]
	v_mov_b32_e32 v45, s27
	s_add_i32 s27, s30, s10
	v_fma_f64 v[51:52], -v[21:22], v[47:48], v[51:52]
	ds_read2_b64 v[45:48], v45 offset1:1
	ds_write_b64 v55, v[11:12]
	s_add_i32 s26, s31, s23
	s_waitcnt lgkmcnt(2)
	v_fma_f64 v[31:32], -v[9:10], v[72:73], v[31:32]
	v_fma_f64 v[58:59], -v[33:34], v[64:65], v[74:75]
	;; [unrolled: 1-line block ×3, first 2 shown]
	s_addk_i32 s29, 0xef60
	v_fma_f64 v[55:56], -v[27:28], v[49:50], v[51:52]
	v_mov_b32_e32 v49, s27
	ds_read2_b64 v[49:52], v49 offset1:1
	s_add_i32 s27, s31, s25
	s_waitcnt lgkmcnt(2)
	v_fma_f64 v[31:32], -v[11:12], v[47:48], v[31:32]
	v_mov_b32_e32 v47, s26
	ds_read2_b64 v[62:65], v47 offset1:1
	s_add_i32 s26, s31, s24
	v_fma_f64 v[47:48], -v[29:30], v[53:54], v[55:56]
	v_mov_b32_e32 v53, s26
	s_add_i32 s26, s30, s11
	s_waitcnt lgkmcnt(0)
	v_fma_f64 v[64:65], -v[41:42], v[64:65], v[68:69]
	v_fma_f64 v[31:32], -v[13:14], v[51:52], v[31:32]
	v_mov_b32_e32 v51, s26
	ds_read2_b64 v[72:75], v51 offset1:1
	s_add_i32 s26, s30, s16
	v_fma_f64 v[43:44], -v[35:36], v[43:44], v[47:48]
	v_mov_b32_e32 v47, s26
	ds_read2_b64 v[76:79], v47 offset1:1
	ds_read2_b64 v[53:56], v53 offset1:1
	s_waitcnt lgkmcnt(2)
	v_fma_f64 v[47:48], -v[15:16], v[74:75], v[31:32]
	v_mul_f64 v[31:32], v[80:81], v[58:59]
	s_add_i32 s26, s8, 0xfffff2e0
	v_fma_f64 v[25:26], -v[9:10], v[70:71], v[25:26]
	s_waitcnt lgkmcnt(0)
	v_fma_f64 v[51:52], -v[39:40], v[55:56], v[64:65]
	v_mov_b32_e32 v55, s27
	s_add_i32 s27, s30, s15
	v_mov_b32_e32 v56, s27
	v_fma_f64 v[47:48], -v[19:20], v[78:79], v[47:48]
	v_fma_f64 v[43:44], -v[37:38], v[60:61], v[43:44]
	ds_read2_b64 v[58:61], v56 offset1:1
	ds_read2_b64 v[78:81], v55 offset1:1
	s_add_i32 s27, s30, s18
	v_mov_b32_e32 v56, s27
	s_add_i32 s27, s31, s26
	v_mov_b32_e32 v55, s27
	s_waitcnt lgkmcnt(1)
	v_fma_f64 v[47:48], -v[23:24], v[60:61], v[47:48]
	v_fma_f64 v[43:44], -v[41:42], v[62:63], v[43:44]
	ds_read2_b64 v[62:65], v56 offset1:1
	ds_read2_b64 v[82:85], v55 offset1:1
	s_add_i32 s27, s30, s17
	s_waitcnt lgkmcnt(2)
	v_fma_f64 v[55:56], -v[33:34], v[80:81], v[51:52]
	v_mov_b32_e32 v51, s27
	s_add_i32 s27, s30, s19
	s_waitcnt lgkmcnt(1)
	v_fma_f64 v[47:48], -v[21:22], v[64:65], v[47:48]
	v_fma_f64 v[43:44], -v[39:40], v[53:54], v[43:44]
	ds_read2_b64 v[51:54], v51 offset1:1
	v_mov_b32_e32 v60, s27
	ds_read2_b64 v[64:67], v60 offset1:1
	v_fma_f64 v[25:26], -v[11:12], v[45:46], v[25:26]
	s_add_i32 s27, s8, 0xfffff200
	s_add_i32 s31, s31, s27
	s_waitcnt lgkmcnt(1)
	v_fma_f64 v[47:48], -v[27:28], v[53:54], v[47:48]
	v_add_u32_e32 v68, s10, v57
	v_fma_f64 v[60:61], -v[31:32], v[84:85], v[55:56]
	v_mov_b32_e32 v55, s31
	s_add_i32 s31, s30, s20
	v_fma_f64 v[25:26], -v[13:14], v[49:50], v[25:26]
	ds_write_b64 v68, v[13:14]
	v_fma_f64 v[68:69], -v[33:34], v[78:79], v[43:44]
	s_waitcnt lgkmcnt(1)
	v_fma_f64 v[53:54], -v[29:30], v[66:67], v[47:48]
	v_mov_b32_e32 v43, s31
	ds_read2_b64 v[43:46], v43 offset1:1
	s_add_i32 s31, s30, s21
	v_mov_b32_e32 v47, s31
	ds_read2_b64 v[47:50], v47 offset1:1
	v_fma_f64 v[70:71], -v[15:16], v[72:73], v[25:26]
	v_mov_b32_e32 v66, s28
	s_waitcnt lgkmcnt(1)
	v_fma_f64 v[45:46], -v[35:36], v[45:46], v[53:54]
	ds_read2_b64 v[53:56], v55 offset1:1
	ds_read_b64 v[80:81], v66
	s_add_i32 s28, s30, s23
	s_add_i32 s33, s30, s27
	s_waitcnt lgkmcnt(1)
	v_mul_f64 v[25:26], v[55:56], v[60:61]
	v_fma_f64 v[55:56], -v[31:32], v[82:83], v[68:69]
	v_fma_f64 v[45:46], -v[37:38], v[49:50], v[45:46]
	v_mov_b32_e32 v49, s28
	ds_read2_b64 v[66:69], v49 offset1:1
	s_add_i32 s28, s30, s24
	v_fma_f64 v[49:50], -v[19:20], v[76:77], v[70:71]
	v_mov_b32_e32 v60, s28
	s_add_i32 s28, s12, 0xffffff58
	s_add_i32 s31, s28, s8
	ds_read2_b64 v[70:73], v60 offset1:1
	v_mov_b32_e32 v60, s31
	ds_read2_b64 v[74:77], v60 offset1:1
	s_add_i32 s31, s28, s13
	v_fma_f64 v[49:50], -v[23:24], v[58:59], v[49:50]
	v_mov_b32_e32 v58, s31
	ds_read2_b64 v[58:61], v58 offset1:1
	s_waitcnt lgkmcnt(1)
	v_fma_f64 v[17:18], -v[7:8], v[76:77], v[17:18]
	s_add_i32 s31, s30, s25
	v_fma_f64 v[45:46], -v[41:42], v[68:69], v[45:46]
	v_add_u32_e32 v68, s11, v57
	ds_write_b64 v68, v[15:16]
	v_fma_f64 v[49:50], -v[21:22], v[62:63], v[49:50]
	v_mov_b32_e32 v62, s31
	s_add_i32 s31, s28, s14
	s_waitcnt lgkmcnt(1)
	v_fma_f64 v[17:18], -v[9:10], v[60:61], v[17:18]
	v_fma_f64 v[68:69], -v[25:26], v[53:54], v[55:56]
	v_mov_b32_e32 v53, s31
	ds_read2_b64 v[53:56], v53 offset1:1
	s_add_i32 s31, s28, s10
	v_fma_f64 v[76:77], -v[27:28], v[51:52], v[49:50]
	v_mov_b32_e32 v49, s31
	ds_read2_b64 v[49:52], v49 offset1:1
	s_waitcnt lgkmcnt(1)
	v_fma_f64 v[17:18], -v[11:12], v[55:56], v[17:18]
	v_fma_f64 v[5:6], -v[7:8], v[74:75], v[5:6]
	;; [unrolled: 1-line block ×3, first 2 shown]
	ds_read2_b64 v[60:63], v62 offset1:1
	s_add_i32 s31, s30, s26
	v_mov_b32_e32 v55, s31
	s_add_i32 s31, s28, s11
	ds_read2_b64 v[72:75], v55 offset1:1
	s_waitcnt lgkmcnt(2)
	v_fma_f64 v[17:18], -v[13:14], v[51:52], v[17:18]
	v_fma_f64 v[5:6], -v[9:10], v[58:59], v[5:6]
	v_mov_b32_e32 v51, s31
	s_waitcnt lgkmcnt(1)
	v_fma_f64 v[45:46], -v[33:34], v[62:63], v[45:46]
	v_fma_f64 v[55:56], -v[29:30], v[64:65], v[76:77]
	ds_read2_b64 v[62:65], v51 offset1:1
	s_add_i32 s31, s28, s16
	v_mov_b32_e32 v51, s31
	ds_read2_b64 v[76:79], v51 offset1:1
	v_fma_f64 v[5:6], -v[11:12], v[53:54], v[5:6]
	s_waitcnt lgkmcnt(1)
	v_fma_f64 v[17:18], -v[15:16], v[64:65], v[17:18]
	v_mov_b32_e32 v53, s33
	v_fma_f64 v[51:52], -v[35:36], v[43:44], v[55:56]
	s_add_i32 s33, s28, s15
	v_mov_b32_e32 v43, s33
	v_fma_f64 v[58:59], -v[31:32], v[74:75], v[45:46]
	ds_read2_b64 v[43:46], v43 offset1:1
	v_fma_f64 v[5:6], -v[13:14], v[49:50], v[5:6]
	s_waitcnt lgkmcnt(1)
	v_fma_f64 v[17:18], -v[19:20], v[78:79], v[17:18]
	s_add_i32 s33, s28, s18
	v_fma_f64 v[55:56], -v[37:38], v[47:48], v[51:52]
	v_mov_b32_e32 v47, s33
	ds_read2_b64 v[47:50], v47 offset1:1
	ds_read2_b64 v[51:54], v53 offset1:1
	s_add_i32 s31, s8, 0xfffff120
	v_fma_f64 v[5:6], -v[15:16], v[62:63], v[5:6]
	s_waitcnt lgkmcnt(2)
	v_fma_f64 v[17:18], -v[23:24], v[45:46], v[17:18]
	s_add_i32 s33, s30, s31
	v_fma_f64 v[45:46], -v[41:42], v[66:67], v[55:56]
	v_mov_b32_e32 v62, s33
	s_add_i32 s33, s28, s17
	ds_read2_b64 v[62:65], v62 offset1:1
	s_waitcnt lgkmcnt(1)
	v_fma_f64 v[58:59], -v[25:26], v[53:54], v[58:59]
	v_fma_f64 v[5:6], -v[19:20], v[76:77], v[5:6]
	;; [unrolled: 1-line block ×3, first 2 shown]
	v_mov_b32_e32 v49, s33
	ds_read2_b64 v[53:56], v49 offset1:1
	v_fma_f64 v[45:46], -v[39:40], v[70:71], v[45:46]
	s_add_i32 s33, s28, s19
	v_mov_b32_e32 v49, s33
	v_mul_f64 v[80:81], v[80:81], v[68:69]
	v_fma_f64 v[5:6], -v[23:24], v[43:44], v[5:6]
	s_waitcnt lgkmcnt(0)
	v_fma_f64 v[17:18], -v[27:28], v[55:56], v[17:18]
	ds_read2_b64 v[66:69], v49 offset1:1
	v_add_u32_e32 v49, s16, v57
	ds_write_b64 v49, v[19:20]
	v_fma_f64 v[49:50], -v[33:34], v[60:61], v[45:46]
	v_add_u32_e32 v43, s15, v57
	s_add_i32 s33, s28, s20
	v_fma_f64 v[5:6], -v[21:22], v[47:48], v[5:6]
	s_waitcnt lgkmcnt(1)
	v_fma_f64 v[17:18], -v[29:30], v[68:69], v[17:18]
	ds_write_b64 v43, v[23:24]
	v_mov_b32_e32 v43, s33
	ds_read2_b64 v[43:46], v43 offset1:1
	s_add_i32 s33, s28, s21
	v_mov_b32_e32 v47, s33
	v_fma_f64 v[55:56], -v[31:32], v[72:73], v[49:50]
	ds_read2_b64 v[47:50], v47 offset1:1
	s_waitcnt lgkmcnt(1)
	v_fma_f64 v[17:18], -v[35:36], v[45:46], v[17:18]
	v_fma_f64 v[5:6], -v[27:28], v[53:54], v[5:6]
	;; [unrolled: 1-line block ×3, first 2 shown]
	v_mov_b32_e32 v59, s29
	s_add_i32 s29, s28, s23
	s_addk_i32 s12, 0xff48
	v_mov_b32_e32 v45, s29
	s_add_i32 s29, s12, s8
	v_fma_f64 v[68:69], -v[25:26], v[51:52], v[55:56]
	s_waitcnt lgkmcnt(0)
	v_fma_f64 v[17:18], -v[37:38], v[49:50], v[17:18]
	v_fma_f64 v[5:6], -v[29:30], v[66:67], v[5:6]
	ds_read2_b64 v[49:52], v45 offset1:1
	v_mov_b32_e32 v45, s29
	ds_read2_b64 v[53:56], v45 offset1:1
	s_add_i32 s13, s12, s13
	s_add_i32 s33, s8, 0xfffff040
	;; [unrolled: 1-line block ×3, first 2 shown]
	v_mov_b32_e32 v58, s30
	s_waitcnt lgkmcnt(0)
	v_fma_f64 v[55:56], -v[7:8], v[55:56], v[3:4]
	v_fma_f64 v[66:67], -v[35:36], v[43:44], v[5:6]
	v_mov_b32_e32 v5, s13
	ds_read2_b64 v[43:46], v5 offset1:1
	s_add_i32 s13, s28, s24
	v_fma_f64 v[1:2], -v[7:8], v[53:54], v[1:2]
	ds_read2_b64 v[3:6], v58 offset1:1
	ds_read_b64 v[70:71], v59
	v_mov_b32_e32 v58, s13
	s_waitcnt lgkmcnt(2)
	v_fma_f64 v[55:56], -v[9:10], v[45:46], v[55:56]
	s_add_i32 s13, s12, s14
	v_mov_b32_e32 v45, s13
	v_fma_f64 v[66:67], -v[37:38], v[47:48], v[66:67]
	ds_read2_b64 v[45:48], v45 offset1:1
	s_add_i32 s10, s12, s10
	v_mov_b32_e32 v7, s10
	v_fma_f64 v[17:18], -v[41:42], v[51:52], v[17:18]
	ds_read2_b64 v[51:54], v7 offset1:1
	s_waitcnt lgkmcnt(1)
	v_fma_f64 v[7:8], -v[11:12], v[47:48], v[55:56]
	v_fma_f64 v[1:2], -v[9:10], v[43:44], v[1:2]
	s_add_i32 s10, s28, s25
	v_mov_b32_e32 v47, s10
	s_add_i32 s10, s12, s11
	v_mul_f64 v[55:56], v[5:6], v[64:65]
	v_mov_b32_e32 v5, s10
	s_add_i32 s10, s12, s16
	s_waitcnt lgkmcnt(0)
	v_fma_f64 v[43:44], -v[13:14], v[53:54], v[7:8]
	v_fma_f64 v[1:2], -v[11:12], v[45:46], v[1:2]
	ds_read2_b64 v[5:8], v5 offset1:1
	v_mov_b32_e32 v9, s10
	ds_read2_b64 v[9:12], v9 offset1:1
	ds_read2_b64 v[58:61], v58 offset1:1
	s_add_i32 s10, s28, s26
	v_fma_f64 v[62:63], -v[80:81], v[62:63], v[68:69]
	s_waitcnt lgkmcnt(2)
	v_fma_f64 v[7:8], -v[15:16], v[7:8], v[43:44]
	v_fma_f64 v[1:2], -v[13:14], v[51:52], v[1:2]
	ds_read2_b64 v[43:46], v47 offset1:1
	s_waitcnt lgkmcnt(1)
	v_fma_f64 v[17:18], -v[39:40], v[60:61], v[17:18]
	v_mov_b32_e32 v47, s10
	s_add_i32 s10, s12, s15
	v_fma_f64 v[60:61], -v[41:42], v[49:50], v[66:67]
	ds_read2_b64 v[47:50], v47 offset1:1
	v_fma_f64 v[51:52], -v[19:20], v[11:12], v[7:8]
	v_fma_f64 v[1:2], -v[15:16], v[5:6], v[1:2]
	v_mov_b32_e32 v7, s10
	ds_read2_b64 v[11:14], v7 offset1:1
	s_waitcnt lgkmcnt(2)
	v_fma_f64 v[17:18], -v[33:34], v[45:46], v[17:18]
	s_add_i32 s10, s12, s18
	v_mov_b32_e32 v5, s10
	ds_read2_b64 v[5:8], v5 offset1:1
	s_waitcnt lgkmcnt(1)
	v_fma_f64 v[13:14], -v[23:24], v[13:14], v[51:52]
	v_fma_f64 v[9:10], -v[19:20], v[9:10], v[1:2]
	s_add_i32 s10, s28, s27
	v_fma_f64 v[51:52], -v[55:56], v[3:4], v[62:63]
	v_fma_f64 v[15:16], -v[31:32], v[49:50], v[17:18]
	v_mov_b32_e32 v49, s10
	s_add_i32 s10, s12, s17
	v_mov_b32_e32 v1, s10
	ds_read2_b64 v[1:4], v1 offset1:1
	s_waitcnt lgkmcnt(1)
	v_fma_f64 v[13:14], -v[21:22], v[7:8], v[13:14]
	v_fma_f64 v[19:20], -v[23:24], v[11:12], v[9:10]
	;; [unrolled: 1-line block ×3, first 2 shown]
	s_add_i32 s10, s12, s19
	v_mov_b32_e32 v7, s10
	ds_read2_b64 v[7:10], v7 offset1:1
	s_add_i32 s10, s28, s31
	s_add_i32 s11, s28, s33
	s_waitcnt lgkmcnt(1)
	v_fma_f64 v[23:24], -v[27:28], v[3:4], v[13:14]
	v_fma_f64 v[19:20], -v[21:22], v[5:6], v[19:20]
	ds_read2_b64 v[11:14], v49 offset1:1
	v_fma_f64 v[17:18], -v[33:34], v[43:44], v[45:46]
	v_mov_b32_e32 v3, s10
	ds_read2_b64 v[3:6], v3 offset1:1
	s_add_i32 s10, s12, s20
	s_waitcnt lgkmcnt(1)
	v_fma_f64 v[43:44], -v[25:26], v[13:14], v[15:16]
	v_fma_f64 v[9:10], -v[29:30], v[9:10], v[23:24]
	;; [unrolled: 1-line block ×3, first 2 shown]
	v_mov_b32_e32 v13, s10
	ds_read2_b64 v[13:16], v13 offset1:1
	s_add_i32 s10, s12, s21
	v_fma_f64 v[45:46], -v[31:32], v[47:48], v[17:18]
	v_mov_b32_e32 v17, s10
	ds_read2_b64 v[17:20], v17 offset1:1
	s_waitcnt lgkmcnt(1)
	v_fma_f64 v[9:10], -v[35:36], v[15:16], v[9:10]
	v_fma_f64 v[1:2], -v[29:30], v[7:8], v[1:2]
	v_mov_b32_e32 v47, s11
	s_add_i32 s11, s12, s23
	v_fma_f64 v[43:44], -v[80:81], v[5:6], v[43:44]
	v_mov_b32_e32 v5, s11
	ds_read2_b64 v[5:8], v5 offset1:1
	s_add_i32 s11, s12, s24
	s_waitcnt lgkmcnt(1)
	v_fma_f64 v[15:16], -v[37:38], v[19:20], v[9:10]
	v_fma_f64 v[1:2], -v[35:36], v[13:14], v[1:2]
	v_mov_b32_e32 v9, s11
	v_fma_f64 v[45:46], -v[25:26], v[11:12], v[45:46]
	ds_read2_b64 v[9:12], v9 offset1:1
	s_add_i32 s10, s8, 0xffffef60
	s_add_i32 s11, s28, s10
	v_mov_b32_e32 v19, s11
	s_waitcnt lgkmcnt(1)
	v_fma_f64 v[7:8], -v[41:42], v[7:8], v[15:16]
	ds_read2_b64 v[13:16], v47 offset1:1
	v_fma_f64 v[47:48], -v[37:38], v[17:18], v[1:2]
	s_add_i32 s11, s12, s25
	v_mov_b32_e32 v1, s11
	s_add_i32 s11, s12, s26
	s_waitcnt lgkmcnt(0)
	v_fma_f64 v[15:16], -v[55:56], v[15:16], v[43:44]
	v_fma_f64 v[43:44], -v[80:81], v[3:4], v[45:46]
	;; [unrolled: 1-line block ×3, first 2 shown]
	ds_read2_b64 v[1:4], v1 offset1:1
	v_fma_f64 v[45:46], -v[41:42], v[5:6], v[47:48]
	v_mov_b32_e32 v5, s11
	ds_read2_b64 v[5:8], v5 offset1:1
	v_mul_f64 v[23:24], v[70:71], v[51:52]
	ds_read2_b64 v[17:20], v19 offset1:1
	s_add_i32 s11, s8, 0xffffee80
	s_waitcnt lgkmcnt(2)
	v_fma_f64 v[3:4], -v[33:34], v[3:4], v[11:12]
	s_add_i32 s13, s28, s11
	v_fma_f64 v[45:46], -v[39:40], v[9:10], v[45:46]
	v_mov_b32_e32 v9, s13
	s_add_i32 s13, s12, s27
	s_waitcnt lgkmcnt(0)
	v_fma_f64 v[19:20], -v[23:24], v[19:20], v[15:16]
	v_fma_f64 v[43:44], -v[55:56], v[13:14], v[43:44]
	ds_read2_b64 v[9:12], v9 offset1:1
	v_fma_f64 v[7:8], -v[31:32], v[7:8], v[3:4]
	v_mov_b32_e32 v3, s13
	v_fma_f64 v[45:46], -v[33:34], v[1:2], v[45:46]
	ds_read2_b64 v[13:16], v3 offset1:1
	s_add_i32 s13, s12, s31
	v_mov_b32_e32 v1, s13
	ds_read2_b64 v[1:4], v1 offset1:1
	s_add_i32 s13, s8, 0xffffeda0
	s_waitcnt lgkmcnt(1)
	v_fma_f64 v[7:8], -v[25:26], v[15:16], v[7:8]
	s_add_i32 s14, s28, s13
	v_fma_f64 v[15:16], -v[31:32], v[5:6], v[45:46]
	v_mov_b32_e32 v47, s14
	s_add_i32 s14, s12, s33
	v_mul_f64 v[19:20], v[11:12], v[19:20]
	v_fma_f64 v[17:18], -v[23:24], v[17:18], v[43:44]
	ds_read_b64 v[45:46], v47
	s_waitcnt lgkmcnt(1)
	v_fma_f64 v[7:8], -v[80:81], v[3:4], v[7:8]
	v_mov_b32_e32 v3, s14
	v_fma_f64 v[15:16], -v[25:26], v[13:14], v[15:16]
	ds_read2_b64 v[3:6], v3 offset1:1
	s_add_i32 s14, s12, s10
	v_mov_b32_e32 v11, s14
	ds_read2_b64 v[11:14], v11 offset1:1
	v_fma_f64 v[9:10], -v[19:20], v[9:10], v[17:18]
	s_waitcnt lgkmcnt(1)
	v_fma_f64 v[5:6], -v[55:56], v[5:6], v[7:8]
	v_add_u32_e32 v7, s17, v57
	v_fma_f64 v[1:2], -v[80:81], v[1:2], v[15:16]
	s_add_i32 s14, s12, s11
	ds_write_b64 v7, v[27:28]
	v_add_u32_e32 v7, s19, v57
	ds_write_b64 v7, v[29:30]
	v_mul_f64 v[9:10], v[45:46], v[9:10]
	s_waitcnt lgkmcnt(2)
	v_fma_f64 v[13:14], -v[23:24], v[13:14], v[5:6]
	v_mov_b32_e32 v5, s14
	v_fma_f64 v[15:16], -v[55:56], v[3:4], v[1:2]
	ds_read2_b64 v[5:8], v5 offset1:1
	s_add_i32 s14, s12, s13
	v_mov_b32_e32 v1, s14
	ds_read2_b64 v[1:4], v1 offset1:1
	s_add_i32 s14, s8, 0xffffecc0
	s_waitcnt lgkmcnt(1)
	v_fma_f64 v[7:8], -v[19:20], v[7:8], v[13:14]
	s_add_i32 s15, s12, s14
	v_fma_f64 v[11:12], -v[23:24], v[11:12], v[15:16]
	v_add_u32_e32 v13, s20, v57
	ds_write_b64 v13, v[35:36]
	v_add_u32_e32 v13, s21, v57
	s_addk_i32 s8, 0xebe0
	v_add_u32_e32 v53, s18, v57
	s_waitcnt lgkmcnt(1)
	v_fma_f64 v[7:8], -v[9:10], v[3:4], v[7:8]
	v_mov_b32_e32 v3, s15
	v_fma_f64 v[11:12], -v[19:20], v[5:6], v[11:12]
	ds_read2_b64 v[3:6], v3 offset1:1
	ds_write_b64 v13, v[37:38]
	v_add_u32_e32 v13, s23, v57
	s_add_i32 s12, s12, s8
	ds_write_b64 v53, v[21:22]
	ds_write_b64 v13, v[41:42]
	v_mov_b32_e32 v13, s12
	ds_read_b64 v[13:14], v13
	s_waitcnt lgkmcnt(4)
	v_mul_f64 v[5:6], v[5:6], v[7:8]
	v_fma_f64 v[1:2], -v[9:10], v[1:2], v[11:12]
	v_add_u32_e32 v7, s24, v57
	ds_write_b64 v7, v[39:40]
	v_add_u32_e32 v7, s25, v57
	ds_write_b64 v7, v[33:34]
	;; [unrolled: 2-line block ×3, first 2 shown]
	v_add_u32_e32 v7, s27, v57
	v_fma_f64 v[1:2], -v[5:6], v[3:4], v[1:2]
	v_add_u32_e32 v3, s31, v57
	ds_write_b64 v7, v[25:26]
	ds_write_b64 v3, v[80:81]
	v_add_u32_e32 v3, s33, v57
	ds_write_b64 v3, v[55:56]
	v_add_u32_e32 v3, s10, v57
	ds_write_b64 v3, v[23:24]
	s_waitcnt lgkmcnt(7)
	v_mul_f64 v[1:2], v[13:14], v[1:2]
	v_add_u32_e32 v3, s11, v57
	ds_write_b64 v3, v[19:20]
	v_add_u32_e32 v3, s13, v57
	ds_write_b64 v3, v[9:10]
	;; [unrolled: 2-line block ×4, first 2 shown]
.LBB97_33:
	s_cmp_lt_i32 s5, 0
	s_cbranch_scc1 .LBB97_46
; %bb.34:
	s_bitcmp1_b32 s5, 0
	s_cselect_b64 s[10:11], -1, 0
	s_and_b64 vcc, exec, s[10:11]
	s_mov_b32 s8, s5
	s_cbranch_vccnz .LBB97_39
; %bb.35:
	s_mul_i32 s8, s5, 0xe0
	v_add_u32_e32 v3, s8, v57
	ds_read_b64 v[1:2], v3
	s_cmp_le_i32 s4, s5
	s_cbranch_scc1 .LBB97_38
; %bb.36:
	s_mul_i32 s10, s22, 0xe0
	s_lshl_b32 s8, s5, 3
	s_add_i32 s8, s10, s8
	v_lshl_add_u32 v4, v0, 3, s10
	s_addk_i32 s8, 0xff20
	v_add_u32_e32 v4, 0x17a0, v4
	s_mov_b32 s10, s4
.LBB97_37:                              ; =>This Inner Loop Header: Depth=1
	v_mov_b32_e32 v7, s8
	ds_read_b64 v[5:6], v4
	ds_read_b64 v[7:8], v7
	s_add_i32 s10, s10, -1
	s_addk_i32 s8, 0xff20
	s_cmp_gt_i32 s10, s5
	v_add_u32_e32 v4, 0xffffff20, v4
	s_waitcnt lgkmcnt(0)
	v_fma_f64 v[1:2], -v[5:6], v[7:8], v[1:2]
	s_cbranch_scc1 .LBB97_37
.LBB97_38:
	s_mul_i32 s8, s5, 0xe8
	v_mov_b32_e32 v4, s8
	ds_read_b64 v[4:5], v4
	s_add_i32 s8, s5, -1
	s_waitcnt lgkmcnt(0)
	v_mul_f64 v[1:2], v[4:5], v[1:2]
	ds_write_b64 v3, v[1:2]
.LBB97_39:
	s_cmp_eq_u32 s5, 0
	s_cbranch_scc1 .LBB97_46
; %bb.40:
	s_mul_i32 s10, s22, 0xe0
	s_lshl_b32 s5, s8, 3
	s_add_i32 s11, s10, s5
	v_lshl_add_u32 v1, v0, 3, s10
	s_add_i32 s5, s11, 0xffffff20
	v_add_u32_e32 v5, 0x17a0, v1
	s_add_i32 s10, s11, 0xffffff18
	s_branch .LBB97_42
.LBB97_41:                              ;   in Loop: Header=BB97_42 Depth=1
	s_addk_i32 s11, 0xff18
	v_mov_b32_e32 v1, s11
	ds_read_b64 v[1:2], v1
	s_add_i32 s11, s8, -2
	s_add_i32 s5, s5, -16
	;; [unrolled: 1-line block ×3, first 2 shown]
	s_cmp_lt_i32 s8, 2
	s_waitcnt lgkmcnt(0)
	v_mul_f64 v[1:2], v[1:2], v[3:4]
	s_mov_b32 s8, s11
	ds_write_b64 v7, v[1:2]
	s_cbranch_scc1 .LBB97_46
.LBB97_42:                              ; =>This Loop Header: Depth=1
                                        ;     Child Loop BB97_43 Depth 2
                                        ;     Child Loop BB97_45 Depth 2
	s_mul_i32 s12, s8, 0xe0
	v_add_u32_e32 v6, s12, v57
	ds_read_b64 v[1:2], v6
	s_cmp_le_i32 s4, s8
	v_mov_b32_e32 v3, v5
	s_mov_b32 s11, s5
	s_mov_b32 s13, s4
	s_cbranch_scc1 .LBB97_44
.LBB97_43:                              ;   Parent Loop BB97_42 Depth=1
                                        ; =>  This Inner Loop Header: Depth=2
	v_mov_b32_e32 v4, s11
	ds_read_b64 v[7:8], v3
	ds_read_b64 v[9:10], v4
	s_add_i32 s13, s13, -1
	s_addk_i32 s11, 0xff20
	s_cmp_gt_i32 s13, s8
	v_add_u32_e32 v3, 0xffffff20, v3
	s_waitcnt lgkmcnt(0)
	v_fma_f64 v[1:2], -v[7:8], v[9:10], v[1:2]
	s_cbranch_scc1 .LBB97_43
.LBB97_44:                              ;   in Loop: Header=BB97_42 Depth=1
	s_mul_i32 s11, s8, 0xe8
	v_mov_b32_e32 v3, s11
	ds_read_b64 v[8:9], v3
	s_addk_i32 s12, 0xff20
	v_add_u32_e32 v7, s12, v57
	ds_read_b64 v[3:4], v7
	s_mov_b32 s12, s10
	s_waitcnt lgkmcnt(1)
	v_mul_f64 v[8:9], v[8:9], v[1:2]
	v_mov_b32_e32 v1, v5
	s_cmp_le_i32 s22, s8
	s_mov_b32 s13, s22
	ds_write_b64 v6, v[8:9]
	s_cbranch_scc1 .LBB97_41
.LBB97_45:                              ;   Parent Loop BB97_42 Depth=1
                                        ; =>  This Inner Loop Header: Depth=2
	v_mov_b32_e32 v2, s12
	ds_read_b64 v[8:9], v1
	ds_read_b64 v[10:11], v2
	s_add_i32 s13, s13, -1
	s_addk_i32 s12, 0xff20
	s_cmp_gt_i32 s13, s8
	v_add_u32_e32 v1, 0xffffff20, v1
	s_waitcnt lgkmcnt(0)
	v_fma_f64 v[3:4], -v[8:9], v[10:11], v[3:4]
	s_cbranch_scc1 .LBB97_45
	s_branch .LBB97_41
.LBB97_46:
	s_waitcnt lgkmcnt(0)
	; wave barrier
	s_and_saveexec_b64 s[4:5], s[0:1]
	s_cbranch_execz .LBB97_50
; %bb.47:
	s_andn2_b64 vcc, exec, s[2:3]
	s_cbranch_vccnz .LBB97_50
; %bb.48:
	v_mad_i64_i32 v[1:2], s[0:1], s9, v0, 0
	v_mov_b32_e32 v3, s7
	v_lshlrev_b64 v[1:2], 3, v[1:2]
	v_add_co_u32_e32 v1, vcc, s6, v1
	v_addc_co_u32_e32 v2, vcc, v3, v2, vcc
	v_mov_b32_e32 v3, 0x1880
	v_lshl_add_u32 v0, v0, 3, v3
.LBB97_49:                              ; =>This Inner Loop Header: Depth=1
	ds_read_b64 v[3:4], v0
	s_add_i32 s22, s22, -1
	v_add_u32_e32 v0, 0xe0, v0
	s_cmp_lg_u32 s22, 0
	s_waitcnt lgkmcnt(0)
	global_store_dwordx2 v[1:2], v[3:4], off
	v_add_co_u32_e32 v1, vcc, 8, v1
	v_addc_co_u32_e32 v2, vcc, 0, v2, vcc
	s_cbranch_scc1 .LBB97_49
.LBB97_50:
	s_endpgm
	.section	.rodata,"a",@progbits
	.p2align	6, 0x0
	.amdhsa_kernel _ZL38rocblas_trsm_small_left_device_sharedBILi28ELi28ELb0EddPKdPdEv13rocblas_fill_18rocblas_operation_17rocblas_diagonal_iiT3_T4_lilT5_lili
		.amdhsa_group_segment_fixed_size 12544
		.amdhsa_private_segment_fixed_size 0
		.amdhsa_kernarg_size 360
		.amdhsa_user_sgpr_count 6
		.amdhsa_user_sgpr_private_segment_buffer 1
		.amdhsa_user_sgpr_dispatch_ptr 0
		.amdhsa_user_sgpr_queue_ptr 0
		.amdhsa_user_sgpr_kernarg_segment_ptr 1
		.amdhsa_user_sgpr_dispatch_id 0
		.amdhsa_user_sgpr_flat_scratch_init 0
		.amdhsa_user_sgpr_private_segment_size 0
		.amdhsa_uses_dynamic_stack 0
		.amdhsa_system_sgpr_private_segment_wavefront_offset 0
		.amdhsa_system_sgpr_workgroup_id_x 1
		.amdhsa_system_sgpr_workgroup_id_y 0
		.amdhsa_system_sgpr_workgroup_id_z 1
		.amdhsa_system_sgpr_workgroup_info 0
		.amdhsa_system_vgpr_workitem_id 0
		.amdhsa_next_free_vgpr 129
		.amdhsa_next_free_sgpr 98
		.amdhsa_reserve_vcc 1
		.amdhsa_reserve_flat_scratch 0
		.amdhsa_float_round_mode_32 0
		.amdhsa_float_round_mode_16_64 0
		.amdhsa_float_denorm_mode_32 3
		.amdhsa_float_denorm_mode_16_64 3
		.amdhsa_dx10_clamp 1
		.amdhsa_ieee_mode 1
		.amdhsa_fp16_overflow 0
		.amdhsa_exception_fp_ieee_invalid_op 0
		.amdhsa_exception_fp_denorm_src 0
		.amdhsa_exception_fp_ieee_div_zero 0
		.amdhsa_exception_fp_ieee_overflow 0
		.amdhsa_exception_fp_ieee_underflow 0
		.amdhsa_exception_fp_ieee_inexact 0
		.amdhsa_exception_int_div_zero 0
	.end_amdhsa_kernel
	.section	.text._ZL38rocblas_trsm_small_left_device_sharedBILi28ELi28ELb0EddPKdPdEv13rocblas_fill_18rocblas_operation_17rocblas_diagonal_iiT3_T4_lilT5_lili,"axG",@progbits,_ZL38rocblas_trsm_small_left_device_sharedBILi28ELi28ELb0EddPKdPdEv13rocblas_fill_18rocblas_operation_17rocblas_diagonal_iiT3_T4_lilT5_lili,comdat
.Lfunc_end97:
	.size	_ZL38rocblas_trsm_small_left_device_sharedBILi28ELi28ELb0EddPKdPdEv13rocblas_fill_18rocblas_operation_17rocblas_diagonal_iiT3_T4_lilT5_lili, .Lfunc_end97-_ZL38rocblas_trsm_small_left_device_sharedBILi28ELi28ELb0EddPKdPdEv13rocblas_fill_18rocblas_operation_17rocblas_diagonal_iiT3_T4_lilT5_lili
                                        ; -- End function
	.set _ZL38rocblas_trsm_small_left_device_sharedBILi28ELi28ELb0EddPKdPdEv13rocblas_fill_18rocblas_operation_17rocblas_diagonal_iiT3_T4_lilT5_lili.num_vgpr, 129
	.set _ZL38rocblas_trsm_small_left_device_sharedBILi28ELi28ELb0EddPKdPdEv13rocblas_fill_18rocblas_operation_17rocblas_diagonal_iiT3_T4_lilT5_lili.num_agpr, 0
	.set _ZL38rocblas_trsm_small_left_device_sharedBILi28ELi28ELb0EddPKdPdEv13rocblas_fill_18rocblas_operation_17rocblas_diagonal_iiT3_T4_lilT5_lili.numbered_sgpr, 36
	.set _ZL38rocblas_trsm_small_left_device_sharedBILi28ELi28ELb0EddPKdPdEv13rocblas_fill_18rocblas_operation_17rocblas_diagonal_iiT3_T4_lilT5_lili.num_named_barrier, 0
	.set _ZL38rocblas_trsm_small_left_device_sharedBILi28ELi28ELb0EddPKdPdEv13rocblas_fill_18rocblas_operation_17rocblas_diagonal_iiT3_T4_lilT5_lili.private_seg_size, 0
	.set _ZL38rocblas_trsm_small_left_device_sharedBILi28ELi28ELb0EddPKdPdEv13rocblas_fill_18rocblas_operation_17rocblas_diagonal_iiT3_T4_lilT5_lili.uses_vcc, 1
	.set _ZL38rocblas_trsm_small_left_device_sharedBILi28ELi28ELb0EddPKdPdEv13rocblas_fill_18rocblas_operation_17rocblas_diagonal_iiT3_T4_lilT5_lili.uses_flat_scratch, 0
	.set _ZL38rocblas_trsm_small_left_device_sharedBILi28ELi28ELb0EddPKdPdEv13rocblas_fill_18rocblas_operation_17rocblas_diagonal_iiT3_T4_lilT5_lili.has_dyn_sized_stack, 0
	.set _ZL38rocblas_trsm_small_left_device_sharedBILi28ELi28ELb0EddPKdPdEv13rocblas_fill_18rocblas_operation_17rocblas_diagonal_iiT3_T4_lilT5_lili.has_recursion, 0
	.set _ZL38rocblas_trsm_small_left_device_sharedBILi28ELi28ELb0EddPKdPdEv13rocblas_fill_18rocblas_operation_17rocblas_diagonal_iiT3_T4_lilT5_lili.has_indirect_call, 0
	.section	.AMDGPU.csdata,"",@progbits
; Kernel info:
; codeLenInByte = 24600
; TotalNumSgprs: 40
; NumVgprs: 129
; ScratchSize: 0
; MemoryBound: 0
; FloatMode: 240
; IeeeMode: 1
; LDSByteSize: 12544 bytes/workgroup (compile time only)
; SGPRBlocks: 12
; VGPRBlocks: 32
; NumSGPRsForWavesPerEU: 102
; NumVGPRsForWavesPerEU: 129
; Occupancy: 1
; WaveLimiterHint : 0
; COMPUTE_PGM_RSRC2:SCRATCH_EN: 0
; COMPUTE_PGM_RSRC2:USER_SGPR: 6
; COMPUTE_PGM_RSRC2:TRAP_HANDLER: 0
; COMPUTE_PGM_RSRC2:TGID_X_EN: 1
; COMPUTE_PGM_RSRC2:TGID_Y_EN: 0
; COMPUTE_PGM_RSRC2:TGID_Z_EN: 1
; COMPUTE_PGM_RSRC2:TIDIG_COMP_CNT: 0
	.section	.text._ZL30rocblas_trsm_small_left_deviceILi28ELi28ELb0EddPKdPdEv13rocblas_fill_18rocblas_operation_17rocblas_diagonal_iiT3_T4_lilT5_lili,"axG",@progbits,_ZL30rocblas_trsm_small_left_deviceILi28ELi28ELb0EddPKdPdEv13rocblas_fill_18rocblas_operation_17rocblas_diagonal_iiT3_T4_lilT5_lili,comdat
	.globl	_ZL30rocblas_trsm_small_left_deviceILi28ELi28ELb0EddPKdPdEv13rocblas_fill_18rocblas_operation_17rocblas_diagonal_iiT3_T4_lilT5_lili ; -- Begin function _ZL30rocblas_trsm_small_left_deviceILi28ELi28ELb0EddPKdPdEv13rocblas_fill_18rocblas_operation_17rocblas_diagonal_iiT3_T4_lilT5_lili
	.p2align	8
	.type	_ZL30rocblas_trsm_small_left_deviceILi28ELi28ELb0EddPKdPdEv13rocblas_fill_18rocblas_operation_17rocblas_diagonal_iiT3_T4_lilT5_lili,@function
_ZL30rocblas_trsm_small_left_deviceILi28ELi28ELb0EddPKdPdEv13rocblas_fill_18rocblas_operation_17rocblas_diagonal_iiT3_T4_lilT5_lili: ; @_ZL30rocblas_trsm_small_left_deviceILi28ELi28ELb0EddPKdPdEv13rocblas_fill_18rocblas_operation_17rocblas_diagonal_iiT3_T4_lilT5_lili
; %bb.0:
	s_load_dwordx4 s[8:11], s[4:5], 0x4
	s_load_dwordx4 s[0:3], s[4:5], 0x18
	s_load_dwordx2 s[20:21], s[4:5], 0x28
	s_load_dwordx4 s[12:15], s[4:5], 0x38
	s_load_dwordx2 s[16:17], s[4:5], 0x48
	s_waitcnt lgkmcnt(0)
	s_min_i32 s22, s10, 28
	v_cmp_gt_i32_e32 vcc, s22, v0
	s_and_saveexec_b64 s[18:19], vcc
	s_cbranch_execz .LBB98_6
; %bb.1:
	s_load_dword s24, s[4:5], 0x30
	s_mul_i32 s13, s13, s7
	s_mul_hi_u32 s23, s12, s7
	s_mul_i32 s12, s12, s7
	s_add_i32 s13, s23, s13
	s_waitcnt lgkmcnt(0)
	s_ashr_i32 s25, s24, 31
	s_lshl_b64 s[12:13], s[12:13], 3
	s_add_u32 s12, s2, s12
	s_addc_u32 s13, s3, s13
	s_lshl_b64 s[2:3], s[20:21], 3
	s_add_u32 s2, s12, s2
	s_addc_u32 s3, s13, s3
	v_lshlrev_b32_e32 v3, 3, v0
	v_mov_b32_e32 v2, s3
	v_add_co_u32_e32 v1, vcc, s2, v3
	s_lshl_b64 s[2:3], s[24:25], 3
	v_addc_co_u32_e32 v2, vcc, 0, v2, vcc
	v_mov_b32_e32 v4, s3
	v_mov_b32_e32 v5, v3
	s_mov_b32 s3, s22
.LBB98_2:                               ; =>This Inner Loop Header: Depth=1
	global_load_dwordx2 v[6:7], v[1:2], off
	v_add_co_u32_e32 v1, vcc, s2, v1
	s_add_i32 s3, s3, -1
	v_addc_co_u32_e32 v2, vcc, v2, v4, vcc
	s_cmp_eq_u32 s3, 0
	s_waitcnt vmcnt(0)
	ds_write_b64 v5, v[6:7]
	v_add_u32_e32 v5, 0xe0, v5
	s_cbranch_scc0 .LBB98_2
; %bb.3:
	v_mul_u32_u24_e32 v4, 0xe0, v0
	v_mov_b32_e32 v1, 0
	s_cmpk_lg_i32 s9, 0x84
	v_mov_b32_e32 v2, 0x3ff00000
	v_add_u32_e32 v3, v3, v4
	s_cbranch_scc0 .LBB98_5
; %bb.4:
	ds_read_b64 v[1:2], v3
	s_waitcnt lgkmcnt(0)
	v_div_scale_f64 v[4:5], s[2:3], v[1:2], v[1:2], 1.0
	v_div_scale_f64 v[10:11], vcc, 1.0, v[1:2], 1.0
	v_rcp_f64_e32 v[6:7], v[4:5]
	v_fma_f64 v[8:9], -v[4:5], v[6:7], 1.0
	v_fma_f64 v[6:7], v[6:7], v[8:9], v[6:7]
	v_fma_f64 v[8:9], -v[4:5], v[6:7], 1.0
	v_fma_f64 v[6:7], v[6:7], v[8:9], v[6:7]
	v_mul_f64 v[8:9], v[10:11], v[6:7]
	v_fma_f64 v[4:5], -v[4:5], v[8:9], v[10:11]
	v_div_fmas_f64 v[4:5], v[4:5], v[6:7], v[8:9]
	v_div_fixup_f64 v[1:2], v[4:5], v[1:2], 1.0
.LBB98_5:
	ds_write_b64 v3, v[1:2]
.LBB98_6:
	s_or_b64 exec, exec, s[18:19]
	s_load_dword s2, s[4:5], 0x68
	s_mul_i32 s3, s6, 0xffffffe4
	s_add_i32 s3, s11, s3
	s_waitcnt lgkmcnt(0)
	; wave barrier
	s_add_i32 s2, s2, -1
	s_cmp_ge_u32 s6, s2
	s_cselect_b32 s2, s3, 28
	v_cmp_gt_i32_e32 vcc, s2, v0
	s_and_saveexec_b64 s[2:3], vcc
	s_cbranch_execz .LBB98_47
; %bb.7:
	s_load_dwordx2 s[2:3], s[4:5], 0x58
	s_load_dword s9, s[4:5], 0x50
	s_waitcnt lgkmcnt(0)
	s_mul_i32 s3, s3, s7
	s_mul_hi_u32 s4, s2, s7
	s_add_i32 s3, s4, s3
	v_mad_u64_u32 v[0:1], s[4:5], s6, 28, v[0:1]
	s_mul_i32 s2, s2, s7
	s_lshl_b64 s[2:3], s[2:3], 3
	s_add_u32 s4, s14, s2
	s_addc_u32 s5, s15, s3
	v_mad_i64_i32 v[0:1], s[2:3], s9, v0, 0
	s_lshl_b64 s[2:3], s[16:17], 3
	s_add_u32 s2, s4, s2
	v_lshlrev_b64 v[0:1], 3, v[0:1]
	s_addc_u32 s3, s5, s3
	v_mov_b32_e32 v2, s3
	v_add_co_u32_e32 v56, vcc, s2, v0
	v_addc_co_u32_e32 v57, vcc, v2, v1, vcc
	s_cmpk_eq_i32 s8, 0x6f
	s_mov_b64 s[2:3], -1
	s_cbranch_scc1 .LBB98_25
; %bb.8:
	s_cmp_lt_i32 s10, 28
	s_cselect_b64 s[2:3], -1, 0
	s_cmp_gt_i32 s10, 27
	s_mov_b32 s4, 0
	s_cbranch_scc0 .LBB98_10
; %bb.9:
	global_load_dwordx4 v[16:19], v[56:57], off offset:48
	global_load_dwordx4 v[12:15], v[56:57], off offset:32
	;; [unrolled: 1-line block ×3, first 2 shown]
	global_load_dwordx4 v[8:11], v[56:57], off
	v_mov_b32_e32 v58, 0
	global_load_dwordx4 v[36:39], v[56:57], off offset:112
	global_load_dwordx4 v[32:35], v[56:57], off offset:96
	;; [unrolled: 1-line block ×10, first 2 shown]
	ds_read2_b64 v[59:62], v58 offset1:58
	ds_read_b128 v[63:66], v58 offset:224
	s_movk_i32 s4, 0x400
	s_waitcnt vmcnt(10)
	v_mul_f64 v[8:9], s[0:1], v[8:9]
	s_waitcnt lgkmcnt(1)
	v_mul_f64 v[8:9], v[59:60], v[8:9]
	s_waitcnt lgkmcnt(0)
	v_mul_f64 v[59:60], v[8:9], v[63:64]
	v_fma_f64 v[10:11], s[0:1], v[10:11], -v[59:60]
	v_mul_f64 v[10:11], v[65:66], v[10:11]
	ds_read_b128 v[63:66], v58 offset:448
	s_waitcnt lgkmcnt(0)
	v_mul_f64 v[59:60], v[8:9], v[63:64]
	global_store_dwordx4 v[56:57], v[8:11], off
	v_fma_f64 v[4:5], s[0:1], v[4:5], -v[59:60]
	v_fma_f64 v[4:5], -v[10:11], v[65:66], v[4:5]
	ds_read_b128 v[63:66], v58 offset:1120
	v_mul_f64 v[4:5], v[61:62], v[4:5]
	ds_read_b128 v[59:62], v58 offset:672
	s_waitcnt lgkmcnt(0)
	v_mul_f64 v[59:60], v[8:9], v[59:60]
	v_fma_f64 v[6:7], s[0:1], v[6:7], -v[59:60]
	v_fma_f64 v[6:7], -v[10:11], v[61:62], v[6:7]
	ds_read_b128 v[59:62], v58 offset:688
	s_waitcnt lgkmcnt(0)
	v_fma_f64 v[6:7], -v[4:5], v[59:60], v[6:7]
	v_mul_f64 v[6:7], v[61:62], v[6:7]
	ds_read_b128 v[59:62], v58 offset:896
	s_waitcnt lgkmcnt(0)
	v_mul_f64 v[59:60], v[8:9], v[59:60]
	global_store_dwordx4 v[56:57], v[4:7], off offset:16
	v_fma_f64 v[12:13], s[0:1], v[12:13], -v[59:60]
	v_fma_f64 v[12:13], -v[10:11], v[61:62], v[12:13]
	ds_read_b128 v[59:62], v58 offset:912
	s_waitcnt lgkmcnt(0)
	v_fma_f64 v[12:13], -v[4:5], v[59:60], v[12:13]
	v_fma_f64 v[12:13], -v[6:7], v[61:62], v[12:13]
	ds_read2_b64 v[59:62], v58 offset0:116 offset1:174
	s_waitcnt lgkmcnt(0)
	v_mul_f64 v[12:13], v[59:60], v[12:13]
	v_mul_f64 v[59:60], v[8:9], v[63:64]
	v_fma_f64 v[14:15], s[0:1], v[14:15], -v[59:60]
	v_fma_f64 v[14:15], -v[10:11], v[65:66], v[14:15]
	ds_read_b128 v[63:66], v58 offset:1136
	s_waitcnt lgkmcnt(0)
	v_fma_f64 v[14:15], -v[4:5], v[63:64], v[14:15]
	v_fma_f64 v[14:15], -v[6:7], v[65:66], v[14:15]
	ds_read_b128 v[63:66], v58 offset:1152
	s_waitcnt lgkmcnt(0)
	v_fma_f64 v[14:15], -v[12:13], v[63:64], v[14:15]
	v_mul_f64 v[14:15], v[65:66], v[14:15]
	global_store_dwordx4 v[56:57], v[12:15], off offset:32
	ds_read_b128 v[63:66], v58 offset:1344
	ds_read_b128 v[67:70], v58 offset:1360
	;; [unrolled: 1-line block ×3, first 2 shown]
	s_waitcnt lgkmcnt(2)
	v_mul_f64 v[59:60], v[8:9], v[63:64]
	v_fma_f64 v[16:17], s[0:1], v[16:17], -v[59:60]
	v_fma_f64 v[16:17], -v[10:11], v[65:66], v[16:17]
	ds_read_b128 v[63:66], v58 offset:2016
	s_waitcnt lgkmcnt(2)
	v_fma_f64 v[16:17], -v[4:5], v[67:68], v[16:17]
	v_fma_f64 v[16:17], -v[6:7], v[69:70], v[16:17]
	s_waitcnt lgkmcnt(1)
	v_fma_f64 v[16:17], -v[12:13], v[71:72], v[16:17]
	v_fma_f64 v[16:17], -v[14:15], v[73:74], v[16:17]
	v_mul_f64 v[16:17], v[61:62], v[16:17]
	ds_read_b128 v[59:62], v58 offset:1568
	s_waitcnt lgkmcnt(0)
	v_mul_f64 v[59:60], v[8:9], v[59:60]
	v_fma_f64 v[18:19], s[0:1], v[18:19], -v[59:60]
	v_fma_f64 v[18:19], -v[10:11], v[61:62], v[18:19]
	ds_read_b128 v[59:62], v58 offset:1584
	s_waitcnt lgkmcnt(0)
	v_fma_f64 v[18:19], -v[4:5], v[59:60], v[18:19]
	v_fma_f64 v[18:19], -v[6:7], v[61:62], v[18:19]
	ds_read_b128 v[59:62], v58 offset:1600
	s_waitcnt lgkmcnt(0)
	v_fma_f64 v[18:19], -v[12:13], v[59:60], v[18:19]
	;; [unrolled: 4-line block ×3, first 2 shown]
	v_mul_f64 v[18:19], v[61:62], v[18:19]
	ds_read_b128 v[59:62], v58 offset:1792
	s_waitcnt lgkmcnt(0)
	v_mul_f64 v[59:60], v[8:9], v[59:60]
	global_store_dwordx4 v[56:57], v[16:19], off offset:48
	s_waitcnt vmcnt(10)
	v_fma_f64 v[20:21], s[0:1], v[20:21], -v[59:60]
	v_fma_f64 v[20:21], -v[10:11], v[61:62], v[20:21]
	ds_read_b128 v[59:62], v58 offset:1808
	s_waitcnt lgkmcnt(0)
	v_fma_f64 v[20:21], -v[4:5], v[59:60], v[20:21]
	v_fma_f64 v[20:21], -v[6:7], v[61:62], v[20:21]
	ds_read_b128 v[59:62], v58 offset:1824
	s_waitcnt lgkmcnt(0)
	v_fma_f64 v[20:21], -v[12:13], v[59:60], v[20:21]
	;; [unrolled: 4-line block ×3, first 2 shown]
	v_add_u32_e64 v59, s4, 0
	s_movk_i32 s4, 0x800
	v_fma_f64 v[20:21], -v[18:19], v[61:62], v[20:21]
	ds_read2_b64 v[59:62], v59 offset0:104 offset1:162
	s_waitcnt lgkmcnt(0)
	v_mul_f64 v[20:21], v[59:60], v[20:21]
	v_mul_f64 v[59:60], v[8:9], v[63:64]
	v_fma_f64 v[22:23], s[0:1], v[22:23], -v[59:60]
	v_fma_f64 v[22:23], -v[10:11], v[65:66], v[22:23]
	ds_read_b128 v[63:66], v58 offset:2032
	s_waitcnt lgkmcnt(0)
	v_fma_f64 v[22:23], -v[4:5], v[63:64], v[22:23]
	v_fma_f64 v[22:23], -v[6:7], v[65:66], v[22:23]
	ds_read_b128 v[63:66], v58 offset:2048
	s_waitcnt lgkmcnt(0)
	v_fma_f64 v[22:23], -v[12:13], v[63:64], v[22:23]
	;; [unrolled: 4-line block ×4, first 2 shown]
	v_mul_f64 v[22:23], v[65:66], v[22:23]
	global_store_dwordx4 v[56:57], v[20:23], off offset:64
	ds_read_b128 v[63:66], v58 offset:2240
	ds_read_b128 v[67:70], v58 offset:2256
	;; [unrolled: 1-line block ×4, first 2 shown]
	s_waitcnt lgkmcnt(3)
	v_mul_f64 v[59:60], v[8:9], v[63:64]
	v_fma_f64 v[24:25], s[0:1], v[24:25], -v[59:60]
	v_fma_f64 v[24:25], -v[10:11], v[65:66], v[24:25]
	ds_read_b128 v[63:66], v58 offset:2304
	s_waitcnt lgkmcnt(3)
	v_fma_f64 v[24:25], -v[4:5], v[67:68], v[24:25]
	v_fma_f64 v[24:25], -v[6:7], v[69:70], v[24:25]
	s_waitcnt lgkmcnt(2)
	v_fma_f64 v[24:25], -v[12:13], v[71:72], v[24:25]
	v_fma_f64 v[24:25], -v[14:15], v[73:74], v[24:25]
	;; [unrolled: 3-line block ×4, first 2 shown]
	ds_read_b128 v[63:66], v58 offset:2912
	v_mul_f64 v[24:25], v[61:62], v[24:25]
	ds_read_b128 v[59:62], v58 offset:2464
	s_waitcnt lgkmcnt(0)
	v_mul_f64 v[59:60], v[8:9], v[59:60]
	v_fma_f64 v[26:27], s[0:1], v[26:27], -v[59:60]
	v_fma_f64 v[26:27], -v[10:11], v[61:62], v[26:27]
	ds_read_b128 v[59:62], v58 offset:2480
	s_waitcnt lgkmcnt(0)
	v_fma_f64 v[26:27], -v[4:5], v[59:60], v[26:27]
	v_fma_f64 v[26:27], -v[6:7], v[61:62], v[26:27]
	ds_read_b128 v[59:62], v58 offset:2496
	s_waitcnt lgkmcnt(0)
	v_fma_f64 v[26:27], -v[12:13], v[59:60], v[26:27]
	;; [unrolled: 4-line block ×5, first 2 shown]
	v_mul_f64 v[26:27], v[61:62], v[26:27]
	ds_read_b128 v[59:62], v58 offset:2688
	s_waitcnt lgkmcnt(0)
	v_mul_f64 v[59:60], v[8:9], v[59:60]
	global_store_dwordx4 v[56:57], v[24:27], off offset:80
	v_fma_f64 v[32:33], s[0:1], v[32:33], -v[59:60]
	v_fma_f64 v[32:33], -v[10:11], v[61:62], v[32:33]
	ds_read_b128 v[59:62], v58 offset:2704
	s_waitcnt lgkmcnt(0)
	v_fma_f64 v[32:33], -v[4:5], v[59:60], v[32:33]
	v_fma_f64 v[32:33], -v[6:7], v[61:62], v[32:33]
	ds_read_b128 v[59:62], v58 offset:2720
	s_waitcnt lgkmcnt(0)
	v_fma_f64 v[32:33], -v[12:13], v[59:60], v[32:33]
	;; [unrolled: 4-line block ×5, first 2 shown]
	v_add_u32_e64 v59, s4, 0
	s_movk_i32 s4, 0xc00
	v_fma_f64 v[32:33], -v[26:27], v[61:62], v[32:33]
	ds_read2_b64 v[59:62], v59 offset0:92 offset1:150
	s_waitcnt lgkmcnt(0)
	v_mul_f64 v[32:33], v[59:60], v[32:33]
	v_mul_f64 v[59:60], v[8:9], v[63:64]
	v_fma_f64 v[34:35], s[0:1], v[34:35], -v[59:60]
	v_fma_f64 v[34:35], -v[10:11], v[65:66], v[34:35]
	ds_read_b128 v[63:66], v58 offset:2928
	s_waitcnt lgkmcnt(0)
	v_fma_f64 v[34:35], -v[4:5], v[63:64], v[34:35]
	v_fma_f64 v[34:35], -v[6:7], v[65:66], v[34:35]
	ds_read_b128 v[63:66], v58 offset:2944
	s_waitcnt lgkmcnt(0)
	v_fma_f64 v[34:35], -v[12:13], v[63:64], v[34:35]
	;; [unrolled: 4-line block ×6, first 2 shown]
	v_mul_f64 v[34:35], v[65:66], v[34:35]
	global_store_dwordx4 v[56:57], v[32:35], off offset:96
	ds_read_b128 v[63:66], v58 offset:3136
	ds_read_b128 v[67:70], v58 offset:3152
	;; [unrolled: 1-line block ×4, first 2 shown]
	s_waitcnt lgkmcnt(3)
	v_mul_f64 v[59:60], v[8:9], v[63:64]
	v_fma_f64 v[36:37], s[0:1], v[36:37], -v[59:60]
	v_fma_f64 v[36:37], -v[10:11], v[65:66], v[36:37]
	ds_read_b128 v[63:66], v58 offset:3200
	s_waitcnt lgkmcnt(3)
	v_fma_f64 v[36:37], -v[4:5], v[67:68], v[36:37]
	v_fma_f64 v[36:37], -v[6:7], v[69:70], v[36:37]
	s_waitcnt lgkmcnt(2)
	v_fma_f64 v[36:37], -v[12:13], v[71:72], v[36:37]
	v_fma_f64 v[36:37], -v[14:15], v[73:74], v[36:37]
	;; [unrolled: 3-line block ×4, first 2 shown]
	ds_read_b128 v[63:66], v58 offset:3216
	s_waitcnt lgkmcnt(0)
	v_fma_f64 v[36:37], -v[24:25], v[63:64], v[36:37]
	v_fma_f64 v[36:37], -v[26:27], v[65:66], v[36:37]
	ds_read_b128 v[63:66], v58 offset:3232
	s_waitcnt lgkmcnt(0)
	v_fma_f64 v[36:37], -v[32:33], v[63:64], v[36:37]
	v_fma_f64 v[36:37], -v[34:35], v[65:66], v[36:37]
	v_mul_f64 v[36:37], v[61:62], v[36:37]
	ds_read_b128 v[59:62], v58 offset:3360
	s_waitcnt lgkmcnt(0)
	v_mul_f64 v[59:60], v[8:9], v[59:60]
	v_fma_f64 v[38:39], s[0:1], v[38:39], -v[59:60]
	v_fma_f64 v[38:39], -v[10:11], v[61:62], v[38:39]
	ds_read_b128 v[59:62], v58 offset:3376
	s_waitcnt lgkmcnt(0)
	v_fma_f64 v[38:39], -v[4:5], v[59:60], v[38:39]
	v_fma_f64 v[38:39], -v[6:7], v[61:62], v[38:39]
	ds_read_b128 v[59:62], v58 offset:3392
	s_waitcnt lgkmcnt(0)
	v_fma_f64 v[38:39], -v[12:13], v[59:60], v[38:39]
	v_fma_f64 v[38:39], -v[14:15], v[61:62], v[38:39]
	ds_read_b128 v[59:62], v58 offset:3408
	s_waitcnt lgkmcnt(0)
	v_fma_f64 v[38:39], -v[16:17], v[59:60], v[38:39]
	v_fma_f64 v[38:39], -v[18:19], v[61:62], v[38:39]
	ds_read_b128 v[59:62], v58 offset:3424
	s_waitcnt lgkmcnt(0)
	v_fma_f64 v[38:39], -v[20:21], v[59:60], v[38:39]
	v_fma_f64 v[38:39], -v[22:23], v[61:62], v[38:39]
	ds_read_b128 v[59:62], v58 offset:3440
	s_waitcnt lgkmcnt(0)
	v_fma_f64 v[38:39], -v[24:25], v[59:60], v[38:39]
	v_fma_f64 v[38:39], -v[26:27], v[61:62], v[38:39]
	ds_read_b128 v[59:62], v58 offset:3456
	s_waitcnt lgkmcnt(0)
	v_fma_f64 v[38:39], -v[32:33], v[59:60], v[38:39]
	v_fma_f64 v[38:39], -v[34:35], v[61:62], v[38:39]
	ds_read_b128 v[59:62], v58 offset:3472
	s_waitcnt lgkmcnt(0)
	v_fma_f64 v[38:39], -v[36:37], v[59:60], v[38:39]
	v_mul_f64 v[38:39], v[61:62], v[38:39]
	global_store_dwordx4 v[56:57], v[36:39], off offset:112
	ds_read_b128 v[59:62], v58 offset:3584
	ds_read_b128 v[63:66], v58 offset:3600
	;; [unrolled: 1-line block ×4, first 2 shown]
	s_waitcnt lgkmcnt(3)
	v_mul_f64 v[59:60], v[8:9], v[59:60]
	s_waitcnt vmcnt(10)
	v_fma_f64 v[44:45], s[0:1], v[44:45], -v[59:60]
	v_fma_f64 v[44:45], -v[10:11], v[61:62], v[44:45]
	ds_read_b128 v[59:62], v58 offset:3648
	s_waitcnt lgkmcnt(3)
	v_fma_f64 v[44:45], -v[4:5], v[63:64], v[44:45]
	v_fma_f64 v[44:45], -v[6:7], v[65:66], v[44:45]
	ds_read_b128 v[63:66], v58 offset:3808
	s_waitcnt lgkmcnt(3)
	v_fma_f64 v[44:45], -v[12:13], v[67:68], v[44:45]
	v_fma_f64 v[44:45], -v[14:15], v[69:70], v[44:45]
	s_waitcnt lgkmcnt(2)
	v_fma_f64 v[44:45], -v[16:17], v[71:72], v[44:45]
	v_fma_f64 v[44:45], -v[18:19], v[73:74], v[44:45]
	;; [unrolled: 3-line block ×3, first 2 shown]
	ds_read_b128 v[59:62], v58 offset:3664
	s_waitcnt lgkmcnt(0)
	v_fma_f64 v[44:45], -v[24:25], v[59:60], v[44:45]
	v_fma_f64 v[44:45], -v[26:27], v[61:62], v[44:45]
	ds_read_b128 v[59:62], v58 offset:3680
	s_waitcnt lgkmcnt(0)
	v_fma_f64 v[44:45], -v[32:33], v[59:60], v[44:45]
	v_fma_f64 v[44:45], -v[34:35], v[61:62], v[44:45]
	ds_read_b128 v[59:62], v58 offset:3696
	s_waitcnt lgkmcnt(0)
	v_fma_f64 v[44:45], -v[36:37], v[59:60], v[44:45]
	v_add_u32_e64 v59, s4, 0
	s_movk_i32 s4, 0x1000
	v_fma_f64 v[44:45], -v[38:39], v[61:62], v[44:45]
	ds_read2_b64 v[59:62], v59 offset0:80 offset1:138
	s_waitcnt lgkmcnt(0)
	v_mul_f64 v[44:45], v[59:60], v[44:45]
	v_mul_f64 v[59:60], v[8:9], v[63:64]
	v_fma_f64 v[46:47], s[0:1], v[46:47], -v[59:60]
	v_fma_f64 v[46:47], -v[10:11], v[65:66], v[46:47]
	ds_read_b128 v[63:66], v58 offset:3824
	s_waitcnt lgkmcnt(0)
	v_fma_f64 v[46:47], -v[4:5], v[63:64], v[46:47]
	v_fma_f64 v[46:47], -v[6:7], v[65:66], v[46:47]
	ds_read_b128 v[63:66], v58 offset:3840
	s_waitcnt lgkmcnt(0)
	v_fma_f64 v[46:47], -v[12:13], v[63:64], v[46:47]
	;; [unrolled: 4-line block ×8, first 2 shown]
	v_mul_f64 v[46:47], v[65:66], v[46:47]
	global_store_dwordx4 v[56:57], v[44:47], off offset:128
	ds_read_b128 v[63:66], v58 offset:4032
	ds_read_b128 v[67:70], v58 offset:4048
	ds_read_b128 v[71:74], v58 offset:4064
	ds_read_b128 v[75:78], v58 offset:4080
	s_waitcnt lgkmcnt(3)
	v_mul_f64 v[59:60], v[8:9], v[63:64]
	v_fma_f64 v[48:49], s[0:1], v[48:49], -v[59:60]
	v_fma_f64 v[48:49], -v[10:11], v[65:66], v[48:49]
	ds_read_b128 v[63:66], v58 offset:4096
	s_waitcnt lgkmcnt(3)
	v_fma_f64 v[48:49], -v[4:5], v[67:68], v[48:49]
	v_fma_f64 v[48:49], -v[6:7], v[69:70], v[48:49]
	s_waitcnt lgkmcnt(2)
	v_fma_f64 v[48:49], -v[12:13], v[71:72], v[48:49]
	v_fma_f64 v[48:49], -v[14:15], v[73:74], v[48:49]
	;; [unrolled: 3-line block ×4, first 2 shown]
	ds_read_b128 v[63:66], v58 offset:4112
	s_waitcnt lgkmcnt(0)
	v_fma_f64 v[48:49], -v[24:25], v[63:64], v[48:49]
	v_fma_f64 v[48:49], -v[26:27], v[65:66], v[48:49]
	ds_read_b128 v[63:66], v58 offset:4128
	s_waitcnt lgkmcnt(0)
	v_fma_f64 v[48:49], -v[32:33], v[63:64], v[48:49]
	v_fma_f64 v[48:49], -v[34:35], v[65:66], v[48:49]
	;; [unrolled: 4-line block ×4, first 2 shown]
	v_mul_f64 v[48:49], v[61:62], v[48:49]
	ds_read_b128 v[59:62], v58 offset:4256
	s_waitcnt lgkmcnt(0)
	v_mul_f64 v[59:60], v[8:9], v[59:60]
	v_fma_f64 v[50:51], s[0:1], v[50:51], -v[59:60]
	v_fma_f64 v[50:51], -v[10:11], v[61:62], v[50:51]
	ds_read_b128 v[59:62], v58 offset:4272
	s_waitcnt lgkmcnt(0)
	v_fma_f64 v[50:51], -v[4:5], v[59:60], v[50:51]
	v_fma_f64 v[50:51], -v[6:7], v[61:62], v[50:51]
	ds_read_b128 v[59:62], v58 offset:4288
	s_waitcnt lgkmcnt(0)
	v_fma_f64 v[50:51], -v[12:13], v[59:60], v[50:51]
	;; [unrolled: 4-line block ×9, first 2 shown]
	v_mul_f64 v[50:51], v[61:62], v[50:51]
	global_store_dwordx4 v[56:57], v[48:51], off offset:144
	ds_read_b128 v[59:62], v58 offset:4480
	ds_read_b128 v[63:66], v58 offset:4496
	;; [unrolled: 1-line block ×4, first 2 shown]
	s_waitcnt lgkmcnt(3)
	v_mul_f64 v[59:60], v[8:9], v[59:60]
	v_fma_f64 v[52:53], s[0:1], v[52:53], -v[59:60]
	v_fma_f64 v[52:53], -v[10:11], v[61:62], v[52:53]
	ds_read_b128 v[59:62], v58 offset:4544
	s_waitcnt lgkmcnt(3)
	v_fma_f64 v[52:53], -v[4:5], v[63:64], v[52:53]
	v_fma_f64 v[52:53], -v[6:7], v[65:66], v[52:53]
	s_waitcnt lgkmcnt(2)
	v_fma_f64 v[52:53], -v[12:13], v[67:68], v[52:53]
	ds_read_b128 v[64:67], v58 offset:4704
	v_fma_f64 v[52:53], -v[14:15], v[69:70], v[52:53]
	s_waitcnt lgkmcnt(2)
	v_fma_f64 v[52:53], -v[16:17], v[71:72], v[52:53]
	v_fma_f64 v[52:53], -v[18:19], v[73:74], v[52:53]
	s_waitcnt lgkmcnt(1)
	v_fma_f64 v[52:53], -v[20:21], v[59:60], v[52:53]
	v_fma_f64 v[52:53], -v[22:23], v[61:62], v[52:53]
	ds_read_b128 v[59:62], v58 offset:4560
	s_waitcnt lgkmcnt(0)
	v_fma_f64 v[52:53], -v[24:25], v[59:60], v[52:53]
	v_fma_f64 v[52:53], -v[26:27], v[61:62], v[52:53]
	ds_read_b128 v[59:62], v58 offset:4576
	;; [unrolled: 4-line block ×5, first 2 shown]
	s_waitcnt lgkmcnt(0)
	v_fma_f64 v[52:53], -v[48:49], v[59:60], v[52:53]
	v_add_u32_e64 v59, s4, 0
	s_mov_b32 s4, 28
	v_fma_f64 v[52:53], -v[50:51], v[61:62], v[52:53]
	ds_read2_b64 v[60:63], v59 offset0:68 offset1:126
	s_waitcnt lgkmcnt(0)
	v_mul_f64 v[52:53], v[60:61], v[52:53]
	v_mul_f64 v[60:61], v[8:9], v[64:65]
	v_fma_f64 v[54:55], s[0:1], v[54:55], -v[60:61]
	v_fma_f64 v[54:55], -v[10:11], v[66:67], v[54:55]
	ds_read_b128 v[64:67], v58 offset:4720
	s_waitcnt lgkmcnt(0)
	v_fma_f64 v[54:55], -v[4:5], v[64:65], v[54:55]
	v_fma_f64 v[54:55], -v[6:7], v[66:67], v[54:55]
	ds_read_b128 v[64:67], v58 offset:4736
	s_waitcnt lgkmcnt(0)
	v_fma_f64 v[54:55], -v[12:13], v[64:65], v[54:55]
	;; [unrolled: 4-line block ×10, first 2 shown]
	v_mul_f64 v[54:55], v[66:67], v[54:55]
	global_store_dwordx4 v[56:57], v[52:55], off offset:160
	ds_read_b128 v[64:67], v58 offset:4928
	ds_read_b128 v[68:71], v58 offset:4944
	;; [unrolled: 1-line block ×4, first 2 shown]
	s_waitcnt lgkmcnt(3)
	v_mul_f64 v[60:61], v[8:9], v[64:65]
	v_fma_f64 v[40:41], s[0:1], v[40:41], -v[60:61]
	v_fma_f64 v[40:41], -v[10:11], v[66:67], v[40:41]
	ds_read_b128 v[64:67], v58 offset:4992
	s_waitcnt lgkmcnt(3)
	v_fma_f64 v[40:41], -v[4:5], v[68:69], v[40:41]
	v_fma_f64 v[40:41], -v[6:7], v[70:71], v[40:41]
	s_waitcnt lgkmcnt(2)
	v_fma_f64 v[40:41], -v[12:13], v[72:73], v[40:41]
	v_fma_f64 v[40:41], -v[14:15], v[74:75], v[40:41]
	;; [unrolled: 3-line block ×4, first 2 shown]
	ds_read_b128 v[64:67], v58 offset:5008
	s_waitcnt lgkmcnt(0)
	v_fma_f64 v[40:41], -v[24:25], v[64:65], v[40:41]
	v_fma_f64 v[40:41], -v[26:27], v[66:67], v[40:41]
	ds_read_b128 v[64:67], v58 offset:5024
	s_waitcnt lgkmcnt(0)
	v_fma_f64 v[40:41], -v[32:33], v[64:65], v[40:41]
	v_fma_f64 v[40:41], -v[34:35], v[66:67], v[40:41]
	;; [unrolled: 4-line block ×6, first 2 shown]
	v_mul_f64 v[40:41], v[62:63], v[40:41]
	ds_read_b128 v[60:63], v58 offset:5152
	s_waitcnt lgkmcnt(0)
	v_mul_f64 v[60:61], v[8:9], v[60:61]
	v_fma_f64 v[42:43], s[0:1], v[42:43], -v[60:61]
	v_fma_f64 v[42:43], -v[10:11], v[62:63], v[42:43]
	ds_read_b128 v[60:63], v58 offset:5168
	s_waitcnt lgkmcnt(0)
	v_fma_f64 v[42:43], -v[4:5], v[60:61], v[42:43]
	v_fma_f64 v[42:43], -v[6:7], v[62:63], v[42:43]
	ds_read_b128 v[60:63], v58 offset:5184
	s_waitcnt lgkmcnt(0)
	v_fma_f64 v[42:43], -v[12:13], v[60:61], v[42:43]
	;; [unrolled: 4-line block ×11, first 2 shown]
	v_mul_f64 v[42:43], v[62:63], v[42:43]
	global_store_dwordx4 v[56:57], v[40:43], off offset:176
	ds_read_b128 v[60:63], v58 offset:5376
	ds_read_b128 v[64:67], v58 offset:5392
	;; [unrolled: 1-line block ×4, first 2 shown]
	s_waitcnt lgkmcnt(3)
	v_mul_f64 v[60:61], v[8:9], v[60:61]
	s_waitcnt vmcnt(12)
	v_fma_f64 v[28:29], s[0:1], v[28:29], -v[60:61]
	v_fma_f64 v[28:29], -v[10:11], v[62:63], v[28:29]
	ds_read_b128 v[60:63], v58 offset:5440
	s_waitcnt lgkmcnt(3)
	v_fma_f64 v[28:29], -v[4:5], v[64:65], v[28:29]
	v_fma_f64 v[28:29], -v[6:7], v[66:67], v[28:29]
	s_waitcnt lgkmcnt(2)
	v_fma_f64 v[28:29], -v[12:13], v[68:69], v[28:29]
	v_fma_f64 v[28:29], -v[14:15], v[70:71], v[28:29]
	;; [unrolled: 3-line block ×4, first 2 shown]
	ds_read_b128 v[60:63], v58 offset:5456
	s_waitcnt lgkmcnt(0)
	v_fma_f64 v[28:29], -v[24:25], v[60:61], v[28:29]
	v_fma_f64 v[28:29], -v[26:27], v[62:63], v[28:29]
	ds_read_b128 v[60:63], v58 offset:5472
	s_waitcnt lgkmcnt(0)
	v_fma_f64 v[28:29], -v[32:33], v[60:61], v[28:29]
	v_fma_f64 v[28:29], -v[34:35], v[62:63], v[28:29]
	;; [unrolled: 4-line block ×7, first 2 shown]
	ds_read2_b64 v[59:62], v59 offset0:184 offset1:242
	ds_read_b128 v[63:66], v58 offset:5600
	s_waitcnt lgkmcnt(1)
	v_mul_f64 v[28:29], v[59:60], v[28:29]
	s_waitcnt lgkmcnt(0)
	v_mul_f64 v[59:60], v[8:9], v[63:64]
	v_fma_f64 v[30:31], s[0:1], v[30:31], -v[59:60]
	v_fma_f64 v[30:31], -v[10:11], v[65:66], v[30:31]
	ds_read_b128 v[63:66], v58 offset:5616
	s_waitcnt lgkmcnt(0)
	v_fma_f64 v[30:31], -v[4:5], v[63:64], v[30:31]
	v_fma_f64 v[30:31], -v[6:7], v[65:66], v[30:31]
	ds_read_b128 v[63:66], v58 offset:5632
	s_waitcnt lgkmcnt(0)
	v_fma_f64 v[30:31], -v[12:13], v[63:64], v[30:31]
	;; [unrolled: 4-line block ×12, first 2 shown]
	v_mul_f64 v[30:31], v[65:66], v[30:31]
	global_store_dwordx4 v[56:57], v[28:31], off offset:192
	ds_read_b128 v[63:66], v58 offset:5824
	ds_read_b128 v[67:70], v58 offset:5840
	;; [unrolled: 1-line block ×4, first 2 shown]
	s_waitcnt lgkmcnt(3)
	v_mul_f64 v[59:60], v[8:9], v[63:64]
	v_fma_f64 v[0:1], s[0:1], v[0:1], -v[59:60]
	v_fma_f64 v[0:1], -v[10:11], v[65:66], v[0:1]
	ds_read_b128 v[63:66], v58 offset:5888
	s_waitcnt lgkmcnt(3)
	v_fma_f64 v[0:1], -v[4:5], v[67:68], v[0:1]
	v_fma_f64 v[0:1], -v[6:7], v[69:70], v[0:1]
	s_waitcnt lgkmcnt(2)
	v_fma_f64 v[0:1], -v[12:13], v[71:72], v[0:1]
	v_fma_f64 v[0:1], -v[14:15], v[73:74], v[0:1]
	s_waitcnt lgkmcnt(1)
	v_fma_f64 v[0:1], -v[16:17], v[75:76], v[0:1]
	v_fma_f64 v[0:1], -v[18:19], v[77:78], v[0:1]
	s_waitcnt lgkmcnt(0)
	v_fma_f64 v[0:1], -v[20:21], v[63:64], v[0:1]
	v_fma_f64 v[0:1], -v[22:23], v[65:66], v[0:1]
	ds_read_b128 v[63:66], v58 offset:5904
	s_waitcnt lgkmcnt(0)
	v_fma_f64 v[0:1], -v[24:25], v[63:64], v[0:1]
	v_fma_f64 v[0:1], -v[26:27], v[65:66], v[0:1]
	ds_read_b128 v[63:66], v58 offset:5920
	s_waitcnt lgkmcnt(0)
	v_fma_f64 v[0:1], -v[32:33], v[63:64], v[0:1]
	v_fma_f64 v[0:1], -v[34:35], v[65:66], v[0:1]
	;; [unrolled: 4-line block ×8, first 2 shown]
	v_mul_f64 v[0:1], v[61:62], v[0:1]
	ds_read_b128 v[59:62], v58 offset:6048
	s_waitcnt lgkmcnt(0)
	v_mul_f64 v[8:9], v[8:9], v[59:60]
	v_fma_f64 v[2:3], s[0:1], v[2:3], -v[8:9]
	v_fma_f64 v[2:3], -v[10:11], v[61:62], v[2:3]
	ds_read_b128 v[8:11], v58 offset:6064
	s_waitcnt lgkmcnt(0)
	v_fma_f64 v[2:3], -v[4:5], v[8:9], v[2:3]
	v_fma_f64 v[6:7], -v[6:7], v[10:11], v[2:3]
	ds_read_b128 v[2:5], v58 offset:6080
	s_waitcnt lgkmcnt(0)
	v_fma_f64 v[2:3], -v[12:13], v[2:3], v[6:7]
	;; [unrolled: 4-line block ×13, first 2 shown]
	v_mul_f64 v[2:3], v[4:5], v[2:3]
	global_store_dwordx4 v[56:57], v[0:3], off offset:208
.LBB98_10:
	s_cmp_lt_i32 s4, s22
	s_cbranch_scc0 .LBB98_24
; %bb.11:
	s_add_i32 s5, s4, 23
	s_cmp_ge_u32 s5, s22
	s_cbranch_scc1 .LBB98_19
; %bb.12:
	s_lshl_b32 s5, s4, 3
	v_add_co_u32_e32 v48, vcc, s5, v56
	v_addc_co_u32_e32 v49, vcc, 0, v57, vcc
	global_load_dwordx4 v[0:3], v[48:49], off offset:48
	global_load_dwordx4 v[4:7], v[48:49], off offset:32
	;; [unrolled: 1-line block ×3, first 2 shown]
	global_load_dwordx4 v[12:15], v[48:49], off
	global_load_dwordx4 v[16:19], v[48:49], off offset:112
	global_load_dwordx4 v[20:23], v[48:49], off offset:96
	;; [unrolled: 1-line block ×8, first 2 shown]
	s_andn2_b64 vcc, exec, s[2:3]
	s_cbranch_vccnz .LBB98_14
; %bb.13:
	s_mul_i32 s6, s4, 0xe0
	s_mov_b64 s[2:3], 0
	s_branch .LBB98_15
.LBB98_14:
	s_mov_b64 s[2:3], -1
                                        ; implicit-def: $sgpr6
.LBB98_15:
	s_waitcnt vmcnt(8)
	v_mul_f64 v[64:65], s[0:1], v[12:13]
	v_mul_f64 v[62:63], s[0:1], v[14:15]
	v_mul_f64 v[60:61], s[0:1], v[8:9]
	v_mul_f64 v[8:9], s[0:1], v[10:11]
	v_mul_f64 v[4:5], s[0:1], v[4:5]
	v_mul_f64 v[6:7], s[0:1], v[6:7]
	v_mul_f64 v[58:59], s[0:1], v[0:1]
	v_mul_f64 v[10:11], s[0:1], v[2:3]
	s_waitcnt vmcnt(4)
	v_mul_f64 v[54:55], s[0:1], v[28:29]
	v_mul_f64 v[52:53], s[0:1], v[30:31]
	v_mul_f64 v[14:15], s[0:1], v[24:25]
	v_mul_f64 v[12:13], s[0:1], v[26:27]
	v_mul_f64 v[20:21], s[0:1], v[20:21]
	v_mul_f64 v[50:51], s[0:1], v[22:23]
	v_mul_f64 v[22:23], s[0:1], v[16:17]
	v_mul_f64 v[30:31], s[0:1], v[18:19]
	;; [unrolled: 9-line block ×3, first 2 shown]
	s_andn2_b64 vcc, exec, s[2:3]
	s_cbranch_vccnz .LBB98_18
; %bb.16:
	s_mul_i32 s6, s4, 0xe0
	v_mov_b32_e32 v0, v56
	v_mov_b32_e32 v1, v57
	s_mov_b32 s2, s6
	s_mov_b32 s3, s4
.LBB98_17:                              ; =>This Inner Loop Header: Depth=1
	global_load_dwordx2 v[2:3], v[0:1], off
	v_mov_b32_e32 v34, s2
	ds_read2_b64 v[16:19], v34 offset1:28
	ds_read2_b64 v[44:47], v34 offset0:56 offset1:84
	ds_read2_b64 v[66:69], v34 offset0:112 offset1:140
	;; [unrolled: 1-line block ×4, first 2 shown]
	v_add_u32_e32 v35, 0x800, v34
	v_add_u32_e32 v78, 0xc00, v34
	;; [unrolled: 1-line block ×3, first 2 shown]
	s_add_i32 s3, s3, -1
	s_add_i32 s2, s2, 8
	v_add_co_u32_e32 v0, vcc, 8, v0
	s_cmp_lg_u32 s3, 0
	v_addc_co_u32_e32 v1, vcc, 0, v1, vcc
	s_waitcnt vmcnt(0) lgkmcnt(4)
	v_fma_f64 v[64:65], -v[2:3], v[16:17], v[64:65]
	v_fma_f64 v[62:63], -v[2:3], v[18:19], v[62:63]
	s_waitcnt lgkmcnt(3)
	v_fma_f64 v[60:61], -v[2:3], v[44:45], v[60:61]
	v_fma_f64 v[8:9], -v[2:3], v[46:47], v[8:9]
	ds_read2_b64 v[16:19], v35 offset0:24 offset1:52
	ds_read2_b64 v[44:47], v35 offset0:80 offset1:108
	s_waitcnt lgkmcnt(4)
	v_fma_f64 v[4:5], -v[2:3], v[66:67], v[4:5]
	v_fma_f64 v[6:7], -v[2:3], v[68:69], v[6:7]
	s_waitcnt lgkmcnt(3)
	v_fma_f64 v[58:59], -v[2:3], v[70:71], v[58:59]
	v_fma_f64 v[10:11], -v[2:3], v[72:73], v[10:11]
	ds_read2_b64 v[66:69], v35 offset0:136 offset1:164
	s_waitcnt lgkmcnt(3)
	v_fma_f64 v[54:55], -v[2:3], v[74:75], v[54:55]
	v_fma_f64 v[52:53], -v[2:3], v[76:77], v[52:53]
	ds_read2_b64 v[70:73], v35 offset0:192 offset1:220
	ds_read2_b64 v[74:77], v78 offset0:120 offset1:148
	s_waitcnt lgkmcnt(4)
	v_fma_f64 v[14:15], -v[2:3], v[16:17], v[14:15]
	v_fma_f64 v[12:13], -v[2:3], v[18:19], v[12:13]
	ds_read2_b64 v[16:19], v34 offset0:48 offset1:76
	s_waitcnt lgkmcnt(4)
	v_fma_f64 v[20:21], -v[2:3], v[44:45], v[20:21]
	v_fma_f64 v[50:51], -v[2:3], v[46:47], v[50:51]
	;; [unrolled: 4-line block ×3, first 2 shown]
	s_waitcnt lgkmcnt(3)
	v_fma_f64 v[26:27], -v[2:3], v[70:71], v[26:27]
	v_fma_f64 v[24:25], -v[2:3], v[72:73], v[24:25]
	s_waitcnt lgkmcnt(2)
	v_fma_f64 v[28:29], -v[2:3], v[74:75], v[28:29]
	v_fma_f64 v[42:43], -v[2:3], v[76:77], v[42:43]
	;; [unrolled: 3-line block ×4, first 2 shown]
	s_cbranch_scc1 .LBB98_17
.LBB98_18:
	s_add_i32 s2, s5, s6
	v_mov_b32_e32 v35, s2
	ds_read2_b64 v[16:19], v35 offset1:58
	s_or_b32 s2, s4, 1
	s_mulk_i32 s2, 0xe0
	s_add_i32 s2, s5, s2
	v_mov_b32_e32 v34, s2
	s_waitcnt lgkmcnt(0)
	v_mul_f64 v[0:1], v[16:17], v[64:65]
	ds_read_b128 v[44:47], v34
	s_add_i32 s4, s4, 24
	s_waitcnt lgkmcnt(0)
	v_fma_f64 v[2:3], -v[0:1], v[44:45], v[62:63]
	ds_read_b128 v[62:65], v34 offset:224
	v_mul_f64 v[2:3], v[46:47], v[2:3]
	ds_read_b128 v[44:47], v34 offset:448
	s_waitcnt lgkmcnt(1)
	v_fma_f64 v[16:17], -v[0:1], v[62:63], v[60:61]
	ds_read_b128 v[60:63], v34 offset:672
	s_waitcnt lgkmcnt(1)
	v_fma_f64 v[8:9], -v[0:1], v[44:45], v[8:9]
	s_waitcnt lgkmcnt(0)
	v_fma_f64 v[60:61], -v[0:1], v[60:61], v[4:5]
	v_fma_f64 v[16:17], -v[2:3], v[64:65], v[16:17]
	;; [unrolled: 1-line block ×4, first 2 shown]
	v_mul_f64 v[4:5], v[18:19], v[16:17]
	ds_read_b128 v[16:19], v34 offset:896
	ds_read_b128 v[44:47], v34 offset:464
	s_waitcnt lgkmcnt(1)
	v_fma_f64 v[16:17], -v[0:1], v[16:17], v[6:7]
	s_waitcnt lgkmcnt(0)
	v_fma_f64 v[44:45], -v[4:5], v[44:45], v[8:9]
	ds_read_b128 v[6:9], v34 offset:688
	v_fma_f64 v[62:63], -v[2:3], v[18:19], v[16:17]
	ds_read_b128 v[16:19], v34 offset:912
	s_waitcnt lgkmcnt(1)
	v_fma_f64 v[60:61], -v[4:5], v[6:7], v[60:61]
	v_mul_f64 v[6:7], v[46:47], v[44:45]
	s_waitcnt lgkmcnt(0)
	v_fma_f64 v[16:17], -v[4:5], v[16:17], v[62:63]
	v_fma_f64 v[8:9], -v[6:7], v[8:9], v[60:61]
	ds_read2_b64 v[44:47], v35 offset0:116 offset1:174
	ds_read_b128 v[60:63], v34 offset:1120
	ds_read_b128 v[66:69], v34 offset:1792
	v_fma_f64 v[64:65], -v[6:7], v[18:19], v[16:17]
	ds_read_b128 v[16:19], v34 offset:928
	s_waitcnt lgkmcnt(3)
	v_mul_f64 v[8:9], v[44:45], v[8:9]
	s_waitcnt lgkmcnt(2)
	v_fma_f64 v[44:45], -v[0:1], v[60:61], v[58:59]
	ds_read_b128 v[58:61], v34 offset:1344
	s_waitcnt lgkmcnt(0)
	v_fma_f64 v[58:59], -v[0:1], v[58:59], v[10:11]
	v_fma_f64 v[16:17], -v[8:9], v[16:17], v[64:65]
	;; [unrolled: 1-line block ×3, first 2 shown]
	ds_read_b128 v[62:65], v34 offset:1568
	s_waitcnt lgkmcnt(0)
	v_fma_f64 v[54:55], -v[0:1], v[62:63], v[54:55]
	v_mul_f64 v[10:11], v[18:19], v[16:17]
	ds_read_b128 v[16:19], v34 offset:1136
	v_fma_f64 v[62:63], -v[2:3], v[60:61], v[58:59]
	ds_read_b128 v[58:61], v34 offset:1360
	s_waitcnt lgkmcnt(1)
	v_fma_f64 v[16:17], -v[4:5], v[16:17], v[44:45]
	v_fma_f64 v[44:45], -v[0:1], v[66:67], v[52:53]
	;; [unrolled: 1-line block ×3, first 2 shown]
	ds_read_b128 v[52:55], v34 offset:2016
	s_waitcnt lgkmcnt(1)
	v_fma_f64 v[58:59], -v[4:5], v[58:59], v[62:63]
	ds_read_b128 v[62:65], v34 offset:1152
	v_fma_f64 v[70:71], -v[6:7], v[18:19], v[16:17]
	ds_read_b128 v[16:19], v34 offset:1584
	s_waitcnt lgkmcnt(2)
	v_fma_f64 v[52:53], -v[0:1], v[52:53], v[14:15]
	v_fma_f64 v[44:45], -v[2:3], v[68:69], v[44:45]
	;; [unrolled: 1-line block ×3, first 2 shown]
	ds_read_b128 v[58:61], v34 offset:2240
	s_waitcnt lgkmcnt(1)
	v_fma_f64 v[66:67], -v[4:5], v[16:17], v[66:67]
	ds_read_b128 v[14:17], v34 offset:1808
	v_fma_f64 v[62:63], -v[8:9], v[62:63], v[70:71]
	v_fma_f64 v[70:71], -v[2:3], v[54:55], v[52:53]
	ds_read_b128 v[52:55], v34 offset:1376
	s_waitcnt lgkmcnt(1)
	v_fma_f64 v[14:15], -v[4:5], v[14:15], v[44:45]
	v_fma_f64 v[58:59], -v[0:1], v[58:59], v[12:13]
	;; [unrolled: 1-line block ×4, first 2 shown]
	ds_read_b128 v[62:65], v34 offset:1600
	s_waitcnt lgkmcnt(1)
	v_fma_f64 v[44:45], -v[8:9], v[52:53], v[68:69]
	v_fma_f64 v[68:69], -v[6:7], v[16:17], v[14:15]
	ds_read_b128 v[14:17], v34 offset:2032
	s_waitcnt lgkmcnt(1)
	v_fma_f64 v[18:19], -v[8:9], v[62:63], v[18:19]
	v_mul_f64 v[12:13], v[46:47], v[66:67]
	v_fma_f64 v[66:67], -v[2:3], v[60:61], v[58:59]
	v_fma_f64 v[62:63], -v[10:11], v[54:55], v[44:45]
	ds_read_b128 v[52:55], v34 offset:1824
	ds_read_b128 v[44:47], v34 offset:1392
	s_waitcnt lgkmcnt(2)
	v_fma_f64 v[14:15], -v[4:5], v[14:15], v[70:71]
	v_fma_f64 v[18:19], -v[10:11], v[64:65], v[18:19]
	ds_read_b128 v[58:61], v34 offset:2256
	s_waitcnt lgkmcnt(2)
	v_fma_f64 v[52:53], -v[8:9], v[52:53], v[68:69]
	s_waitcnt lgkmcnt(1)
	v_fma_f64 v[44:45], -v[12:13], v[44:45], v[62:63]
	v_fma_f64 v[62:63], -v[6:7], v[16:17], v[14:15]
	ds_read_b128 v[14:17], v34 offset:1616
	v_fma_f64 v[64:65], -v[10:11], v[54:55], v[52:53]
	ds_read_b128 v[52:55], v34 offset:2048
	s_waitcnt lgkmcnt(1)
	v_fma_f64 v[18:19], -v[12:13], v[14:15], v[18:19]
	v_mul_f64 v[14:15], v[46:47], v[44:45]
	ds_read_b128 v[44:47], v34 offset:1840
	v_fma_f64 v[58:59], -v[4:5], v[58:59], v[66:67]
	s_waitcnt lgkmcnt(1)
	v_fma_f64 v[52:53], -v[8:9], v[52:53], v[62:63]
	s_waitcnt lgkmcnt(0)
	v_fma_f64 v[44:45], -v[12:13], v[44:45], v[64:65]
	v_fma_f64 v[68:69], -v[14:15], v[16:17], v[18:19]
	ds_read_b128 v[16:19], v34 offset:2272
	v_fma_f64 v[66:67], -v[6:7], v[60:61], v[58:59]
	v_add_u32_e32 v58, 0x400, v35
	ds_read2_b64 v[58:61], v58 offset0:104 offset1:162
	ds_read_b128 v[62:65], v34 offset:2064
	v_fma_f64 v[52:53], -v[10:11], v[54:55], v[52:53]
	s_waitcnt lgkmcnt(2)
	v_fma_f64 v[54:55], -v[8:9], v[16:17], v[66:67]
	v_fma_f64 v[66:67], -v[14:15], v[46:47], v[44:45]
	s_waitcnt lgkmcnt(1)
	v_mul_f64 v[16:17], v[58:59], v[68:69]
	ds_read_b128 v[44:47], v34 offset:1856
	s_waitcnt lgkmcnt(1)
	v_fma_f64 v[58:59], -v[12:13], v[62:63], v[52:53]
	v_fma_f64 v[18:19], -v[10:11], v[18:19], v[54:55]
	ds_read_b128 v[52:55], v34 offset:2288
	s_waitcnt lgkmcnt(1)
	v_fma_f64 v[44:45], -v[16:17], v[44:45], v[66:67]
	v_fma_f64 v[58:59], -v[14:15], v[64:65], v[58:59]
	ds_read_b128 v[62:65], v34 offset:2464
	s_waitcnt lgkmcnt(1)
	v_fma_f64 v[52:53], -v[12:13], v[52:53], v[18:19]
	v_mul_f64 v[18:19], v[46:47], v[44:45]
	ds_read_b128 v[44:47], v34 offset:2688
	ds_read_b128 v[66:69], v34 offset:2080
	s_waitcnt lgkmcnt(2)
	v_fma_f64 v[20:21], -v[0:1], v[62:63], v[20:21]
	s_waitcnt lgkmcnt(1)
	v_fma_f64 v[44:45], -v[0:1], v[44:45], v[50:51]
	v_fma_f64 v[54:55], -v[14:15], v[54:55], v[52:53]
	s_waitcnt lgkmcnt(0)
	v_fma_f64 v[58:59], -v[16:17], v[66:67], v[58:59]
	ds_read_b128 v[50:53], v34 offset:2304
	v_fma_f64 v[20:21], -v[2:3], v[64:65], v[20:21]
	ds_read_b128 v[62:65], v34 offset:2480
	v_fma_f64 v[70:71], -v[2:3], v[46:47], v[44:45]
	s_waitcnt lgkmcnt(1)
	v_fma_f64 v[50:51], -v[16:17], v[50:51], v[54:55]
	v_fma_f64 v[54:55], -v[18:19], v[68:69], v[58:59]
	ds_read_b128 v[44:47], v34 offset:2704
	ds_read_b128 v[66:69], v34 offset:2912
	s_waitcnt lgkmcnt(2)
	v_fma_f64 v[58:59], -v[4:5], v[62:63], v[20:21]
	s_waitcnt lgkmcnt(1)
	v_fma_f64 v[44:45], -v[4:5], v[44:45], v[70:71]
	v_fma_f64 v[62:63], -v[18:19], v[52:53], v[50:51]
	v_mul_f64 v[20:21], v[60:61], v[54:55]
	s_waitcnt lgkmcnt(0)
	v_fma_f64 v[22:23], -v[0:1], v[66:67], v[22:23]
	ds_read_b128 v[50:53], v34 offset:2320
	v_fma_f64 v[54:55], -v[6:7], v[64:65], v[58:59]
	ds_read_b128 v[58:61], v34 offset:2496
	;; [unrolled: 2-line block ×3, first 2 shown]
	s_waitcnt lgkmcnt(2)
	v_fma_f64 v[50:51], -v[20:21], v[50:51], v[62:63]
	v_fma_f64 v[68:69], -v[2:3], v[68:69], v[22:23]
	ds_read_b128 v[62:65], v34 offset:2928
	s_waitcnt lgkmcnt(2)
	v_fma_f64 v[54:55], -v[8:9], v[58:59], v[54:55]
	v_mul_f64 v[22:23], v[52:53], v[50:51]
	ds_read_b128 v[50:53], v34 offset:3136
	s_waitcnt lgkmcnt(1)
	v_fma_f64 v[62:63], -v[4:5], v[62:63], v[68:69]
	v_fma_f64 v[54:55], -v[10:11], v[60:61], v[54:55]
	ds_read_b128 v[58:61], v34 offset:2512
	s_waitcnt lgkmcnt(1)
	v_fma_f64 v[30:31], -v[0:1], v[50:51], v[30:31]
	v_fma_f64 v[70:71], -v[6:7], v[64:65], v[62:63]
	ds_read_b128 v[62:65], v34 offset:2736
	v_fma_f64 v[44:45], -v[8:9], v[44:45], v[66:67]
	ds_read_b128 v[66:69], v34 offset:3360
	v_fma_f64 v[30:31], -v[2:3], v[52:53], v[30:31]
	v_fma_f64 v[50:51], -v[10:11], v[46:47], v[44:45]
	ds_read_b128 v[44:47], v34 offset:3584
	s_waitcnt lgkmcnt(1)
	v_fma_f64 v[66:67], -v[0:1], v[66:67], v[26:27]
	s_waitcnt lgkmcnt(0)
	v_fma_f64 v[44:45], -v[0:1], v[44:45], v[24:25]
	ds_read_b128 v[24:27], v34 offset:2944
	v_fma_f64 v[62:63], -v[12:13], v[62:63], v[50:51]
	ds_read_b128 v[50:53], v34 offset:2528
	v_fma_f64 v[54:55], -v[12:13], v[58:59], v[54:55]
	v_fma_f64 v[66:67], -v[2:3], v[68:69], v[66:67]
	;; [unrolled: 1-line block ×3, first 2 shown]
	ds_read_b128 v[44:47], v34 offset:3376
	v_fma_f64 v[54:55], -v[14:15], v[60:61], v[54:55]
	ds_read_b128 v[58:61], v34 offset:3152
	s_waitcnt lgkmcnt(3)
	v_fma_f64 v[24:25], -v[8:9], v[24:25], v[70:71]
	v_fma_f64 v[70:71], -v[14:15], v[64:65], v[62:63]
	ds_read_b128 v[62:65], v34 offset:2752
	s_waitcnt lgkmcnt(1)
	v_fma_f64 v[30:31], -v[4:5], v[58:59], v[30:31]
	v_fma_f64 v[50:51], -v[16:17], v[50:51], v[54:55]
	;; [unrolled: 1-line block ×3, first 2 shown]
	ds_read_b128 v[24:27], v34 offset:2960
	v_fma_f64 v[30:31], -v[6:7], v[60:61], v[30:31]
	ds_read_b128 v[58:61], v34 offset:2544
	s_waitcnt lgkmcnt(2)
	v_fma_f64 v[62:63], -v[16:17], v[62:63], v[70:71]
	v_fma_f64 v[70:71], -v[18:19], v[64:65], v[62:63]
	ds_read_b128 v[62:65], v34 offset:3600
	v_fma_f64 v[44:45], -v[4:5], v[44:45], v[66:67]
	v_fma_f64 v[66:67], -v[18:19], v[52:53], v[50:51]
	ds_read_b128 v[50:53], v34 offset:3168
	s_waitcnt lgkmcnt(3)
	v_fma_f64 v[24:25], -v[12:13], v[24:25], v[54:55]
	s_waitcnt lgkmcnt(1)
	v_fma_f64 v[62:63], -v[4:5], v[62:63], v[68:69]
	v_add_u32_e32 v68, 0x800, v35
	s_waitcnt lgkmcnt(0)
	v_fma_f64 v[30:31], -v[8:9], v[50:51], v[30:31]
	v_fma_f64 v[54:55], -v[6:7], v[46:47], v[44:45]
	ds_read_b128 v[44:47], v34 offset:2768
	v_fma_f64 v[58:59], -v[20:21], v[58:59], v[66:67]
	v_fma_f64 v[66:67], -v[14:15], v[26:27], v[24:25]
	ds_read_b128 v[24:27], v34 offset:3392
	v_fma_f64 v[30:31], -v[10:11], v[52:53], v[30:31]
	ds_read_b128 v[50:53], v34 offset:2976
	s_waitcnt lgkmcnt(2)
	v_fma_f64 v[44:45], -v[20:21], v[44:45], v[70:71]
	v_fma_f64 v[70:71], -v[22:23], v[60:61], v[58:59]
	ds_read_b128 v[58:61], v34 offset:3184
	s_waitcnt lgkmcnt(1)
	v_fma_f64 v[50:51], -v[16:17], v[50:51], v[66:67]
	v_fma_f64 v[72:73], -v[22:23], v[46:47], v[44:45]
	ds_read_b128 v[44:47], v34 offset:3616
	v_fma_f64 v[24:25], -v[8:9], v[24:25], v[54:55]
	v_fma_f64 v[54:55], -v[6:7], v[64:65], v[62:63]
	ds_read2_b64 v[62:65], v68 offset0:92 offset1:150
	ds_read_b128 v[66:69], v34 offset:3408
	v_fma_f64 v[26:27], -v[10:11], v[26:27], v[24:25]
	s_waitcnt lgkmcnt(2)
	v_fma_f64 v[44:45], -v[8:9], v[44:45], v[54:55]
	v_fma_f64 v[54:55], -v[18:19], v[52:53], v[50:51]
	ds_read_b128 v[50:53], v34 offset:2784
	v_fma_f64 v[30:31], -v[12:13], v[58:59], v[30:31]
	s_waitcnt lgkmcnt(2)
	v_mul_f64 v[24:25], v[62:63], v[70:71]
	v_fma_f64 v[62:63], -v[10:11], v[46:47], v[44:45]
	ds_read_b128 v[44:47], v34 offset:3200
	s_waitcnt lgkmcnt(2)
	v_fma_f64 v[26:27], -v[12:13], v[66:67], v[26:27]
	v_fma_f64 v[30:31], -v[14:15], v[60:61], v[30:31]
	s_waitcnt lgkmcnt(1)
	v_fma_f64 v[50:51], -v[24:25], v[50:51], v[72:73]
	ds_read_b128 v[58:61], v34 offset:3632
	v_fma_f64 v[70:71], -v[14:15], v[68:69], v[26:27]
	s_waitcnt lgkmcnt(1)
	v_fma_f64 v[30:31], -v[16:17], v[44:45], v[30:31]
	v_mul_f64 v[26:27], v[52:53], v[50:51]
	ds_read_b128 v[50:53], v34 offset:2992
	ds_read_b128 v[66:69], v34 offset:3424
	s_waitcnt lgkmcnt(2)
	v_fma_f64 v[58:59], -v[12:13], v[58:59], v[62:63]
	s_waitcnt lgkmcnt(1)
	v_fma_f64 v[50:51], -v[20:21], v[50:51], v[54:55]
	;; [unrolled: 2-line block ×3, first 2 shown]
	v_fma_f64 v[30:31], -v[18:19], v[46:47], v[30:31]
	ds_read_b128 v[44:47], v34 offset:3216
	v_fma_f64 v[62:63], -v[22:23], v[52:53], v[50:51]
	v_fma_f64 v[54:55], -v[18:19], v[68:69], v[54:55]
	s_waitcnt lgkmcnt(0)
	v_fma_f64 v[30:31], -v[20:21], v[44:45], v[30:31]
	v_fma_f64 v[44:45], -v[14:15], v[60:61], v[58:59]
	ds_read_b128 v[58:61], v34 offset:3808
	ds_read_b128 v[50:53], v34 offset:3648
	;; [unrolled: 1-line block ×3, first 2 shown]
	s_waitcnt lgkmcnt(2)
	v_fma_f64 v[58:59], -v[0:1], v[58:59], v[28:29]
	v_fma_f64 v[70:71], -v[22:23], v[46:47], v[30:31]
	s_waitcnt lgkmcnt(1)
	v_fma_f64 v[50:51], -v[16:17], v[50:51], v[44:45]
	s_waitcnt lgkmcnt(0)
	v_fma_f64 v[62:63], -v[24:25], v[66:67], v[62:63]
	ds_read_b128 v[28:31], v34 offset:3440
	ds_read_b128 v[44:47], v34 offset:3232
	v_fma_f64 v[66:67], -v[2:3], v[60:61], v[58:59]
	s_waitcnt lgkmcnt(1)
	v_fma_f64 v[28:29], -v[20:21], v[28:29], v[54:55]
	v_fma_f64 v[54:55], -v[18:19], v[52:53], v[50:51]
	;; [unrolled: 1-line block ×3, first 2 shown]
	s_waitcnt lgkmcnt(0)
	v_fma_f64 v[44:45], -v[24:25], v[44:45], v[70:71]
	ds_read_b128 v[50:53], v34 offset:3824
	ds_read_b128 v[58:61], v34 offset:3664
	v_fma_f64 v[30:31], -v[22:23], v[30:31], v[28:29]
	s_waitcnt lgkmcnt(1)
	v_fma_f64 v[50:51], -v[4:5], v[50:51], v[66:67]
	s_waitcnt lgkmcnt(0)
	v_fma_f64 v[54:55], -v[20:21], v[58:59], v[54:55]
	v_mul_f64 v[28:29], v[64:65], v[62:63]
	v_fma_f64 v[58:59], -v[26:27], v[46:47], v[44:45]
	ds_read_b128 v[44:47], v34 offset:3456
	ds_read_b128 v[62:65], v34 offset:3248
	v_fma_f64 v[66:67], -v[6:7], v[52:53], v[50:51]
	v_fma_f64 v[54:55], -v[22:23], v[60:61], v[54:55]
	s_waitcnt lgkmcnt(1)
	v_fma_f64 v[30:31], -v[24:25], v[44:45], v[30:31]
	s_waitcnt lgkmcnt(0)
	v_fma_f64 v[62:63], -v[28:29], v[62:63], v[58:59]
	ds_read_b128 v[50:53], v34 offset:3840
	ds_read_b128 v[58:61], v34 offset:3680
	s_waitcnt lgkmcnt(0)
	v_fma_f64 v[54:55], -v[24:25], v[58:59], v[54:55]
	v_fma_f64 v[58:59], -v[26:27], v[46:47], v[30:31]
	ds_read_b128 v[44:47], v34 offset:4032
	v_mul_f64 v[30:31], v[64:65], v[62:63]
	ds_read_b128 v[62:65], v34 offset:3472
	v_fma_f64 v[50:51], -v[8:9], v[50:51], v[66:67]
	s_waitcnt lgkmcnt(1)
	v_fma_f64 v[66:67], -v[0:1], v[44:45], v[42:43]
	v_fma_f64 v[54:55], -v[26:27], v[60:61], v[54:55]
	s_waitcnt lgkmcnt(0)
	v_fma_f64 v[62:63], -v[28:29], v[62:63], v[58:59]
	v_fma_f64 v[68:69], -v[10:11], v[52:53], v[50:51]
	ds_read_b128 v[42:45], v34 offset:3696
	ds_read_b128 v[50:53], v34 offset:3856
	;; [unrolled: 1-line block ×3, first 2 shown]
	v_fma_f64 v[46:47], -v[2:3], v[46:47], v[66:67]
	s_waitcnt lgkmcnt(2)
	v_fma_f64 v[42:43], -v[28:29], v[42:43], v[54:55]
	v_fma_f64 v[54:55], -v[30:31], v[64:65], v[62:63]
	v_add_u32_e32 v62, 0xc00, v35
	v_add_u32_e32 v35, 0x1000, v35
	s_waitcnt lgkmcnt(1)
	v_fma_f64 v[50:51], -v[12:13], v[50:51], v[68:69]
	ds_read2_b64 v[62:65], v62 offset0:80 offset1:138
	ds_read_b128 v[66:69], v34 offset:4256
	s_waitcnt lgkmcnt(2)
	v_fma_f64 v[58:59], -v[4:5], v[58:59], v[46:47]
	v_fma_f64 v[70:71], -v[30:31], v[44:45], v[42:43]
	s_waitcnt lgkmcnt(1)
	v_mul_f64 v[42:43], v[62:63], v[54:55]
	s_waitcnt lgkmcnt(0)
	v_fma_f64 v[40:41], -v[0:1], v[66:67], v[40:41]
	ds_read_b128 v[44:47], v34 offset:3712
	v_fma_f64 v[54:55], -v[14:15], v[52:53], v[50:51]
	ds_read_b128 v[50:53], v34 offset:3872
	;; [unrolled: 2-line block ×3, first 2 shown]
	s_waitcnt lgkmcnt(2)
	v_fma_f64 v[44:45], -v[42:43], v[44:45], v[70:71]
	v_fma_f64 v[40:41], -v[2:3], v[68:69], v[40:41]
	ds_read_b128 v[66:69], v34 offset:4272
	ds_read_b128 v[70:73], v34 offset:4480
	s_waitcnt lgkmcnt(3)
	v_fma_f64 v[50:51], -v[16:17], v[50:51], v[54:55]
	s_waitcnt lgkmcnt(2)
	v_fma_f64 v[54:55], -v[8:9], v[58:59], v[62:63]
	;; [unrolled: 2-line block ×3, first 2 shown]
	v_mul_f64 v[44:45], v[46:47], v[44:45]
	v_fma_f64 v[58:59], -v[4:5], v[66:67], v[40:41]
	ds_read_b128 v[38:41], v34 offset:4080
	v_fma_f64 v[46:47], -v[18:19], v[52:53], v[50:51]
	ds_read_b128 v[50:53], v34 offset:3888
	v_fma_f64 v[54:55], -v[10:11], v[60:61], v[54:55]
	v_fma_f64 v[62:63], -v[2:3], v[72:73], v[62:63]
	s_waitcnt lgkmcnt(0)
	v_fma_f64 v[46:47], -v[20:21], v[50:51], v[46:47]
	v_fma_f64 v[50:51], -v[6:7], v[68:69], v[58:59]
	ds_read_b128 v[58:61], v34 offset:4704
	v_fma_f64 v[54:55], -v[12:13], v[38:39], v[54:55]
	ds_read_b128 v[66:69], v34 offset:4288
	s_waitcnt lgkmcnt(1)
	v_fma_f64 v[58:59], -v[0:1], v[58:59], v[36:37]
	ds_read_b128 v[36:39], v34 offset:4496
	v_fma_f64 v[46:47], -v[22:23], v[52:53], v[46:47]
	s_waitcnt lgkmcnt(1)
	v_fma_f64 v[66:67], -v[8:9], v[66:67], v[50:51]
	ds_read_b128 v[50:53], v34 offset:4928
	v_fma_f64 v[40:41], -v[14:15], v[40:41], v[54:55]
	s_waitcnt lgkmcnt(1)
	v_fma_f64 v[36:37], -v[4:5], v[36:37], v[62:63]
	v_fma_f64 v[54:55], -v[2:3], v[60:61], v[58:59]
	ds_read_b128 v[58:61], v34 offset:3904
	s_waitcnt lgkmcnt(1)
	v_fma_f64 v[32:33], -v[0:1], v[50:51], v[32:33]
	v_fma_f64 v[62:63], -v[10:11], v[68:69], v[66:67]
	ds_read_b128 v[66:69], v34 offset:4720
	v_fma_f64 v[70:71], -v[6:7], v[38:39], v[36:37]
	ds_read_b128 v[36:39], v34 offset:4096
	s_waitcnt lgkmcnt(2)
	v_fma_f64 v[46:47], -v[24:25], v[58:59], v[46:47]
	v_fma_f64 v[32:33], -v[2:3], v[52:53], v[32:33]
	ds_read_b128 v[50:53], v34 offset:4304
	s_waitcnt lgkmcnt(1)
	v_fma_f64 v[36:37], -v[16:17], v[36:37], v[40:41]
	;; [unrolled: 4-line block ×3, first 2 shown]
	v_fma_f64 v[62:63], -v[18:19], v[38:39], v[36:37]
	ds_read_b128 v[36:39], v34 offset:4736
	v_fma_f64 v[54:55], -v[4:5], v[66:67], v[54:55]
	s_waitcnt lgkmcnt(1)
	v_fma_f64 v[58:59], -v[8:9], v[58:59], v[70:71]
	v_fma_f64 v[46:47], -v[14:15], v[52:53], v[46:47]
	ds_read_b128 v[50:53], v34 offset:4112
	v_fma_f64 v[54:55], -v[6:7], v[68:69], v[54:55]
	ds_read_b128 v[66:69], v34 offset:4944
	s_waitcnt lgkmcnt(0)
	v_fma_f64 v[32:33], -v[4:5], v[66:67], v[32:33]
	v_fma_f64 v[36:37], -v[8:9], v[36:37], v[54:55]
	;; [unrolled: 1-line block ×3, first 2 shown]
	ds_read_b128 v[58:61], v34 offset:4320
	v_fma_f64 v[32:33], -v[6:7], v[68:69], v[32:33]
	ds_read_b128 v[66:69], v34 offset:4528
	s_waitcnt lgkmcnt(1)
	v_fma_f64 v[46:47], -v[16:17], v[58:59], v[46:47]
	s_waitcnt lgkmcnt(0)
	v_fma_f64 v[54:55], -v[12:13], v[66:67], v[54:55]
	v_fma_f64 v[46:47], -v[18:19], v[60:61], v[46:47]
	ds_read_b128 v[58:61], v34 offset:3920
	v_fma_f64 v[50:51], -v[20:21], v[50:51], v[62:63]
	v_fma_f64 v[62:63], -v[10:11], v[38:39], v[36:37]
	ds_read_b128 v[36:39], v34 offset:4960
	v_fma_f64 v[54:55], -v[14:15], v[68:69], v[54:55]
	s_waitcnt lgkmcnt(1)
	v_fma_f64 v[40:41], -v[28:29], v[58:59], v[40:41]
	ds_read_b128 v[66:69], v34 offset:4336
	v_fma_f64 v[70:71], -v[22:23], v[52:53], v[50:51]
	ds_read_b128 v[50:53], v34 offset:4752
	s_waitcnt lgkmcnt(2)
	v_fma_f64 v[32:33], -v[8:9], v[36:37], v[32:33]
	v_fma_f64 v[40:41], -v[30:31], v[60:61], v[40:41]
	ds_read_b128 v[58:61], v34 offset:4128
	s_waitcnt lgkmcnt(1)
	v_fma_f64 v[50:51], -v[12:13], v[50:51], v[62:63]
	v_fma_f64 v[46:47], -v[20:21], v[66:67], v[46:47]
	;; [unrolled: 1-line block ×3, first 2 shown]
	ds_read_b128 v[36:39], v34 offset:4544
	v_fma_f64 v[62:63], -v[14:15], v[52:53], v[50:51]
	ds_read_b128 v[50:53], v34 offset:4976
	v_fma_f64 v[46:47], -v[22:23], v[68:69], v[46:47]
	ds_read_b128 v[66:69], v34 offset:4768
	s_waitcnt lgkmcnt(1)
	v_fma_f64 v[32:33], -v[12:13], v[50:51], v[32:33]
	v_fma_f64 v[32:33], -v[14:15], v[52:53], v[32:33]
	ds_read_b128 v[50:53], v34 offset:4560
	v_fma_f64 v[36:37], -v[16:17], v[36:37], v[54:55]
	v_fma_f64 v[54:55], -v[24:25], v[58:59], v[70:71]
	;; [unrolled: 1-line block ×3, first 2 shown]
	ds_read_b128 v[36:39], v34 offset:3936
	s_waitcnt lgkmcnt(1)
	v_fma_f64 v[50:51], -v[20:21], v[50:51], v[70:71]
	v_fma_f64 v[70:71], -v[22:23], v[52:53], v[50:51]
	ds_read_b128 v[50:53], v34 offset:4144
	s_waitcnt lgkmcnt(1)
	v_fma_f64 v[36:37], -v[42:43], v[36:37], v[40:41]
	v_fma_f64 v[40:41], -v[26:27], v[60:61], v[54:55]
	;; [unrolled: 4-line block ×3, first 2 shown]
	v_fma_f64 v[32:33], -v[18:19], v[60:61], v[32:33]
	ds_read_b128 v[58:61], v34 offset:4576
	v_fma_f64 v[62:63], -v[16:17], v[66:67], v[62:63]
	v_fma_f64 v[40:41], -v[30:31], v[52:53], v[40:41]
	ds_read_b128 v[50:53], v34 offset:4800
	v_fma_f64 v[54:55], -v[18:19], v[68:69], v[62:63]
	v_fma_f64 v[62:63], -v[44:45], v[38:39], v[36:37]
	ds_read_b128 v[36:39], v34 offset:4784
	ds_read_b128 v[66:69], v34 offset:4352
	s_waitcnt lgkmcnt(1)
	v_fma_f64 v[36:37], -v[20:21], v[36:37], v[54:55]
	v_fma_f64 v[54:55], -v[24:25], v[58:59], v[70:71]
	v_fma_f64 v[70:71], -v[22:23], v[38:39], v[36:37]
	ds_read_b128 v[36:39], v34 offset:4368
	s_waitcnt lgkmcnt(1)
	v_fma_f64 v[46:47], -v[24:25], v[66:67], v[46:47]
	v_fma_f64 v[46:47], -v[26:27], v[68:69], v[46:47]
	ds_read_b128 v[66:69], v34 offset:5008
	s_waitcnt lgkmcnt(0)
	v_fma_f64 v[32:33], -v[20:21], v[66:67], v[32:33]
	v_fma_f64 v[36:37], -v[28:29], v[36:37], v[46:47]
	;; [unrolled: 1-line block ×3, first 2 shown]
	ds_read_b128 v[58:61], v34 offset:4160
	v_fma_f64 v[32:33], -v[22:23], v[68:69], v[32:33]
	ds_read_b128 v[66:69], v34 offset:4592
	v_fma_f64 v[54:55], -v[24:25], v[50:51], v[70:71]
	v_mul_f64 v[50:51], v[64:65], v[62:63]
	ds_read_b128 v[62:65], v34 offset:4176
	s_waitcnt lgkmcnt(2)
	v_fma_f64 v[40:41], -v[42:43], v[58:59], v[40:41]
	v_fma_f64 v[70:71], -v[30:31], v[38:39], v[36:37]
	ds_read_b128 v[36:39], v34 offset:5024
	s_waitcnt lgkmcnt(2)
	v_fma_f64 v[46:47], -v[28:29], v[66:67], v[46:47]
	v_fma_f64 v[66:67], -v[26:27], v[52:53], v[54:55]
	;; [unrolled: 4-line block ×3, first 2 shown]
	ds_read_b128 v[58:61], v34 offset:4816
	v_fma_f64 v[46:47], -v[30:31], v[68:69], v[46:47]
	v_fma_f64 v[32:33], -v[26:27], v[38:39], v[32:33]
	;; [unrolled: 1-line block ×3, first 2 shown]
	ds_read_b128 v[36:39], v34 offset:4608
	s_waitcnt lgkmcnt(2)
	v_fma_f64 v[52:53], -v[42:43], v[52:53], v[70:71]
	s_waitcnt lgkmcnt(0)
	v_fma_f64 v[36:37], -v[42:43], v[36:37], v[46:47]
	v_fma_f64 v[54:55], -v[44:45], v[54:55], v[52:53]
	v_mul_f64 v[52:53], v[64:65], v[40:41]
	ds_read_b128 v[62:65], v34 offset:4832
	v_fma_f64 v[58:59], -v[28:29], v[58:59], v[66:67]
	v_fma_f64 v[46:47], -v[44:45], v[38:39], v[36:37]
	ds_read_b128 v[36:39], v34 offset:4624
	ds_read_b128 v[66:69], v34 offset:5040
	v_fma_f64 v[70:71], -v[30:31], v[60:61], v[58:59]
	ds_read_b128 v[58:61], v34 offset:4400
	s_waitcnt lgkmcnt(2)
	v_fma_f64 v[46:47], -v[50:51], v[36:37], v[46:47]
	s_waitcnt lgkmcnt(0)
	v_fma_f64 v[40:41], -v[50:51], v[58:59], v[54:55]
	v_fma_f64 v[54:55], -v[42:43], v[62:63], v[70:71]
	;; [unrolled: 1-line block ×4, first 2 shown]
	ds_read_b128 v[58:61], v34 offset:5056
	v_fma_f64 v[54:55], -v[44:45], v[64:65], v[54:55]
	ds_read_b128 v[62:65], v34 offset:4848
	v_fma_f64 v[32:33], -v[28:29], v[66:67], v[32:33]
	s_waitcnt lgkmcnt(0)
	v_fma_f64 v[54:55], -v[50:51], v[62:63], v[54:55]
	v_fma_f64 v[32:33], -v[30:31], v[68:69], v[32:33]
	ds_read2_b64 v[66:69], v35 offset0:68 offset1:126
	s_waitcnt lgkmcnt(0)
	v_mul_f64 v[35:36], v[66:67], v[40:41]
	v_fma_f64 v[32:33], -v[42:43], v[58:59], v[32:33]
	v_fma_f64 v[32:33], -v[44:45], v[60:61], v[32:33]
	ds_read_b128 v[37:40], v34 offset:4640
	ds_read_b128 v[58:61], v34 offset:5072
	s_waitcnt lgkmcnt(1)
	v_fma_f64 v[37:38], -v[35:36], v[37:38], v[46:47]
	v_fma_f64 v[46:47], -v[52:53], v[64:65], v[54:55]
	ds_read_b128 v[62:65], v34 offset:4864
	s_waitcnt lgkmcnt(1)
	v_fma_f64 v[32:33], -v[50:51], v[58:59], v[32:33]
	v_mul_f64 v[37:38], v[39:40], v[37:38]
	v_fma_f64 v[32:33], -v[52:53], v[60:61], v[32:33]
	ds_read_b128 v[58:61], v34 offset:5088
	s_waitcnt lgkmcnt(1)
	v_fma_f64 v[39:40], -v[35:36], v[62:63], v[46:47]
	s_waitcnt lgkmcnt(0)
	v_fma_f64 v[32:33], -v[35:36], v[58:59], v[32:33]
	v_fma_f64 v[39:40], -v[37:38], v[64:65], v[39:40]
	;; [unrolled: 1-line block ×3, first 2 shown]
	ds_read_b128 v[60:63], v34 offset:5104
	v_mul_f64 v[58:59], v[68:69], v[39:40]
	global_store_dwordx4 v[48:49], v[0:3], off
	global_store_dwordx4 v[48:49], v[4:7], off offset:16
	global_store_dwordx4 v[48:49], v[8:11], off offset:32
	global_store_dwordx4 v[48:49], v[12:15], off offset:48
	s_waitcnt lgkmcnt(0)
	v_fma_f64 v[32:33], -v[58:59], v[60:61], v[32:33]
	v_mul_f64 v[60:61], v[62:63], v[32:33]
	global_store_dwordx4 v[48:49], v[16:19], off offset:64
	global_store_dwordx4 v[48:49], v[20:23], off offset:80
	;; [unrolled: 1-line block ×8, first 2 shown]
.LBB98_19:
	s_cmp_ge_i32 s4, s22
	s_cbranch_scc1 .LBB98_24
; %bb.20:
	s_mul_i32 s2, s4, 0xe0
	s_mov_b32 s5, 0
	s_branch .LBB98_22
.LBB98_21:                              ;   in Loop: Header=BB98_22 Depth=1
	s_mul_i32 s3, s4, 0xe8
	v_mov_b32_e32 v4, s3
	ds_read_b64 v[4:5], v4
	s_add_i32 s4, s4, 1
	s_addk_i32 s2, 0xe0
	s_cmp_ge_i32 s4, s22
	s_waitcnt lgkmcnt(0)
	v_mul_f64 v[2:3], v[4:5], v[2:3]
	global_store_dwordx2 v[0:1], v[2:3], off
	s_cbranch_scc1 .LBB98_24
.LBB98_22:                              ; =>This Loop Header: Depth=1
                                        ;     Child Loop BB98_23 Depth 2
	s_lshl_b64 s[6:7], s[4:5], 3
	v_mov_b32_e32 v1, s7
	v_add_co_u32_e32 v0, vcc, s6, v56
	v_addc_co_u32_e32 v1, vcc, v57, v1, vcc
	global_load_dwordx2 v[2:3], v[0:1], off
	v_mov_b32_e32 v4, v56
	s_cmp_eq_u32 s4, 0
	v_mov_b32_e32 v5, v57
	s_mov_b32 s3, s4
	s_mov_b32 s6, s2
	s_waitcnt vmcnt(0)
	v_mul_f64 v[2:3], s[0:1], v[2:3]
	s_cbranch_scc1 .LBB98_21
.LBB98_23:                              ;   Parent Loop BB98_22 Depth=1
                                        ; =>  This Inner Loop Header: Depth=2
	global_load_dwordx2 v[6:7], v[4:5], off
	v_mov_b32_e32 v8, s6
	ds_read_b64 v[8:9], v8
	s_add_i32 s6, s6, 8
	s_add_i32 s3, s3, -1
	v_add_co_u32_e32 v4, vcc, 8, v4
	s_cmp_lg_u32 s3, 0
	v_addc_co_u32_e32 v5, vcc, 0, v5, vcc
	s_waitcnt vmcnt(0) lgkmcnt(0)
	v_fma_f64 v[2:3], -v[6:7], v[8:9], v[2:3]
	s_cbranch_scc1 .LBB98_23
	s_branch .LBB98_21
.LBB98_24:
	s_mov_b64 s[2:3], 0
.LBB98_25:
	s_and_b64 vcc, exec, s[2:3]
	s_cbranch_vccz .LBB98_47
; %bb.26:
	s_add_i32 s12, s22, -1
	s_cmp_gt_i32 s10, 27
	s_mov_b32 s2, s12
	s_cbranch_scc0 .LBB98_28
; %bb.27:
	global_load_dwordx4 v[0:3], v[56:57], off offset:208
	global_load_dwordx4 v[34:37], v[56:57], off offset:192
	global_load_dwordx4 v[8:11], v[56:57], off offset:176
	global_load_dwordx4 v[4:7], v[56:57], off offset:160
	v_mov_b32_e32 v38, 0
	ds_read_b128 v[20:23], v38 offset:6256
	global_load_dwordx4 v[12:15], v[56:57], off offset:144
	s_movk_i32 s2, 0x1000
	v_add_u32_e64 v39, s2, 0
	ds_read_b128 v[24:27], v38 offset:6240
	global_load_dwordx4 v[16:19], v[56:57], off offset:128
	s_movk_i32 s3, 0xc00
	v_add_u32_e64 v78, s3, 0
	s_movk_i32 s2, 0x800
	s_waitcnt vmcnt(5)
	v_mul_f64 v[2:3], s[0:1], v[2:3]
	s_waitcnt lgkmcnt(1)
	v_mul_f64 v[2:3], v[22:23], v[2:3]
	v_mul_f64 v[28:29], v[2:3], v[20:21]
	global_load_dwordx4 v[20:23], v[56:57], off offset:112
	v_fma_f64 v[0:1], s[0:1], v[0:1], -v[28:29]
	ds_read2_b64 v[28:31], v39 offset0:184 offset1:242
	s_waitcnt lgkmcnt(0)
	v_mul_f64 v[0:1], v[30:31], v[0:1]
	ds_read_b128 v[30:33], v38 offset:6016
	v_mul_f64 v[26:27], v[2:3], v[26:27]
	v_mul_f64 v[40:41], v[2:3], v[24:25]
	s_waitcnt vmcnt(5)
	v_fma_f64 v[36:37], s[0:1], v[36:37], -v[26:27]
	global_load_dwordx4 v[24:27], v[56:57], off offset:96
	v_fma_f64 v[34:35], s[0:1], v[34:35], -v[40:41]
	global_load_dwordx4 v[40:43], v[56:57], off offset:80
	ds_read_b128 v[44:47], v38 offset:5792
	ds_read_b128 v[48:51], v38 offset:6224
	s_waitcnt lgkmcnt(2)
	v_fma_f64 v[32:33], -v[0:1], v[32:33], v[36:37]
	s_waitcnt lgkmcnt(0)
	v_mul_f64 v[54:55], v[2:3], v[50:51]
	v_fma_f64 v[36:37], -v[0:1], v[30:31], v[34:35]
	v_mul_f64 v[48:49], v[2:3], v[48:49]
	global_load_dwordx4 v[50:53], v[56:57], off offset:48
	v_mul_f64 v[30:31], v[46:47], v[32:33]
	global_load_dwordx4 v[32:35], v[56:57], off offset:64
	s_waitcnt vmcnt(8)
	v_fma_f64 v[54:55], s[0:1], v[10:11], -v[54:55]
	v_fma_f64 v[48:49], s[0:1], v[8:9], -v[48:49]
	v_fma_f64 v[36:37], -v[30:31], v[44:45], v[36:37]
	ds_read_b128 v[44:47], v38 offset:6208
	ds_read_b128 v[58:61], v38 offset:6192
	;; [unrolled: 1-line block ×5, first 2 shown]
	s_waitcnt lgkmcnt(3)
	v_mul_f64 v[70:71], v[2:3], v[60:61]
	s_waitcnt lgkmcnt(2)
	v_fma_f64 v[54:55], -v[0:1], v[64:65], v[54:55]
	v_mul_f64 v[28:29], v[28:29], v[36:37]
	v_mul_f64 v[36:37], v[2:3], v[46:47]
	;; [unrolled: 1-line block ×3, first 2 shown]
	v_fma_f64 v[48:49], -v[0:1], v[62:63], v[48:49]
	s_waitcnt lgkmcnt(1)
	v_mul_f64 v[74:75], v[2:3], v[10:11]
	v_mul_f64 v[76:77], v[2:3], v[8:9]
	ds_read_b128 v[8:11], v38 offset:5552
	s_waitcnt lgkmcnt(1)
	v_fma_f64 v[54:55], -v[30:31], v[68:69], v[54:55]
	v_mul_f64 v[72:73], v[2:3], v[58:59]
	s_waitcnt vmcnt(7)
	v_fma_f64 v[36:37], s[0:1], v[6:7], -v[36:37]
	v_fma_f64 v[62:63], s[0:1], v[4:5], -v[64:65]
	ds_read_b128 v[58:61], v38 offset:6144
	ds_read_b128 v[4:7], v38 offset:5984
	v_fma_f64 v[48:49], -v[30:31], v[66:67], v[48:49]
	s_waitcnt vmcnt(6)
	v_fma_f64 v[66:67], s[0:1], v[14:15], -v[70:71]
	s_waitcnt lgkmcnt(2)
	v_fma_f64 v[14:15], -v[28:29], v[10:11], v[54:55]
	v_fma_f64 v[54:55], s[0:1], v[12:13], -v[72:73]
	s_waitcnt lgkmcnt(0)
	v_fma_f64 v[36:37], -v[0:1], v[6:7], v[36:37]
	v_fma_f64 v[4:5], -v[0:1], v[4:5], v[62:63]
	ds_read_b128 v[10:13], v38 offset:5328
	ds_read_b128 v[62:65], v38 offset:5760
	v_fma_f64 v[8:9], -v[28:29], v[8:9], v[48:49]
	ds_read_b128 v[44:47], v38 offset:6160
	s_waitcnt vmcnt(5)
	v_fma_f64 v[68:69], s[0:1], v[18:19], -v[74:75]
	s_waitcnt lgkmcnt(2)
	v_mul_f64 v[6:7], v[12:13], v[14:15]
	s_waitcnt lgkmcnt(1)
	v_fma_f64 v[36:37], -v[30:31], v[64:65], v[36:37]
	v_fma_f64 v[4:5], -v[30:31], v[62:63], v[4:5]
	ds_read_b128 v[12:15], v38 offset:5536
	v_fma_f64 v[48:49], s[0:1], v[16:17], -v[76:77]
	ds_read_b128 v[16:19], v38 offset:5312
	v_mul_f64 v[60:61], v[2:3], v[60:61]
	v_mul_f64 v[58:59], v[2:3], v[58:59]
	v_fma_f64 v[70:71], -v[6:7], v[10:11], v[8:9]
	ds_read_b128 v[8:11], v38 offset:6128
	s_waitcnt lgkmcnt(2)
	v_fma_f64 v[36:37], -v[28:29], v[14:15], v[36:37]
	v_fma_f64 v[72:73], -v[28:29], v[12:13], v[4:5]
	ds_read_b128 v[12:15], v38 offset:6112
	v_mul_f64 v[62:63], v[2:3], v[46:47]
	v_mul_f64 v[64:65], v[2:3], v[44:45]
	ds_read2_b64 v[44:47], v39 offset0:68 offset1:126
	s_waitcnt lgkmcnt(0)
	v_mul_f64 v[4:5], v[46:47], v[70:71]
	s_waitcnt vmcnt(4)
	v_fma_f64 v[62:63], s[0:1], v[22:23], -v[62:63]
	v_fma_f64 v[64:65], s[0:1], v[20:21], -v[64:65]
	ds_read_b128 v[20:23], v38 offset:5088
	v_fma_f64 v[36:37], -v[6:7], v[18:19], v[36:37]
	s_waitcnt vmcnt(3)
	v_fma_f64 v[60:61], s[0:1], v[26:27], -v[60:61]
	v_fma_f64 v[58:59], s[0:1], v[24:25], -v[58:59]
	v_fma_f64 v[24:25], -v[6:7], v[16:17], v[72:73]
	v_mul_f64 v[26:27], v[2:3], v[14:15]
	v_mul_f64 v[46:47], v[2:3], v[10:11]
	v_mul_f64 v[70:71], v[2:3], v[8:9]
	ds_read_b128 v[8:11], v38 offset:4864
	s_waitcnt lgkmcnt(1)
	v_fma_f64 v[14:15], -v[4:5], v[22:23], v[36:37]
	v_mul_f64 v[22:23], v[2:3], v[12:13]
	ds_read_b128 v[16:19], v38 offset:6096
	v_fma_f64 v[24:25], -v[4:5], v[20:21], v[24:25]
	s_waitcnt vmcnt(2)
	v_fma_f64 v[36:37], s[0:1], v[42:43], -v[46:47]
	v_fma_f64 v[46:47], s[0:1], v[40:41], -v[70:71]
	global_load_dwordx4 v[39:42], v[56:57], off offset:32
	s_waitcnt vmcnt(1)
	v_fma_f64 v[74:75], s[0:1], v[34:35], -v[26:27]
	v_fma_f64 v[76:77], s[0:1], v[32:33], -v[22:23]
	ds_read_b128 v[32:35], v38 offset:5072
	s_waitcnt lgkmcnt(2)
	v_mul_f64 v[10:11], v[10:11], v[14:15]
	ds_read_b128 v[12:15], v38 offset:5968
	s_waitcnt lgkmcnt(2)
	v_mul_f64 v[70:71], v[2:3], v[18:19]
	v_mul_f64 v[72:73], v[2:3], v[16:17]
	ds_read_b128 v[20:23], v38 offset:5952
	ds_read_b128 v[16:19], v38 offset:5744
	v_fma_f64 v[8:9], -v[10:11], v[8:9], v[24:25]
	ds_read_b128 v[24:27], v38 offset:5936
	v_fma_f64 v[70:71], s[0:1], v[52:53], -v[70:71]
	v_fma_f64 v[72:73], s[0:1], v[50:51], -v[72:73]
	s_waitcnt lgkmcnt(3)
	v_fma_f64 v[50:51], -v[0:1], v[14:15], v[66:67]
	v_fma_f64 v[52:53], -v[0:1], v[12:13], v[54:55]
	ds_read_b128 v[12:15], v38 offset:5920
	s_waitcnt lgkmcnt(3)
	v_fma_f64 v[54:55], -v[0:1], v[22:23], v[68:69]
	v_fma_f64 v[48:49], -v[0:1], v[20:21], v[48:49]
	ds_read_b128 v[20:23], v38 offset:5904
	v_mul_f64 v[8:9], v[44:45], v[8:9]
	s_waitcnt lgkmcnt(2)
	v_fma_f64 v[43:44], -v[0:1], v[26:27], v[62:63]
	v_fma_f64 v[62:63], -v[0:1], v[24:25], v[64:65]
	ds_read_b128 v[24:27], v38 offset:5888
	s_waitcnt lgkmcnt(2)
	v_fma_f64 v[60:61], -v[0:1], v[14:15], v[60:61]
	v_fma_f64 v[58:59], -v[0:1], v[12:13], v[58:59]
	ds_read_b128 v[12:15], v38 offset:5728
	;; [unrolled: 4-line block ×3, first 2 shown]
	s_waitcnt lgkmcnt(2)
	v_fma_f64 v[64:65], -v[0:1], v[26:27], v[74:75]
	v_fma_f64 v[66:67], -v[0:1], v[24:25], v[76:77]
	;; [unrolled: 1-line block ×3, first 2 shown]
	ds_read_b128 v[24:27], v38 offset:5520
	v_fma_f64 v[52:53], -v[30:31], v[16:17], v[52:53]
	ds_read_b128 v[16:19], v38 offset:5696
	s_waitcnt lgkmcnt(2)
	v_fma_f64 v[43:44], -v[30:31], v[22:23], v[43:44]
	v_fma_f64 v[62:63], -v[30:31], v[20:21], v[62:63]
	ds_read_b128 v[20:23], v38 offset:5664
	v_fma_f64 v[54:55], -v[30:31], v[14:15], v[54:55]
	v_fma_f64 v[47:48], -v[30:31], v[12:13], v[48:49]
	ds_read_b128 v[12:15], v38 offset:5680
	s_waitcnt lgkmcnt(2)
	v_fma_f64 v[60:61], -v[30:31], v[18:19], v[60:61]
	v_fma_f64 v[58:59], -v[30:31], v[16:17], v[58:59]
	ds_read_b128 v[16:19], v38 offset:5504
	s_waitcnt lgkmcnt(2)
	v_fma_f64 v[64:65], -v[30:31], v[22:23], v[64:65]
	v_fma_f64 v[66:67], -v[30:31], v[20:21], v[66:67]
	ds_read_b128 v[20:23], v38 offset:5488
	v_fma_f64 v[49:50], -v[28:29], v[26:27], v[50:51]
	s_waitcnt lgkmcnt(2)
	v_fma_f64 v[36:37], -v[30:31], v[14:15], v[36:37]
	v_fma_f64 v[45:46], -v[30:31], v[12:13], v[45:46]
	ds_read_b128 v[12:15], v38 offset:5296
	v_fma_f64 v[51:52], -v[28:29], v[24:25], v[52:53]
	ds_read_b128 v[24:27], v38 offset:5472
	s_waitcnt lgkmcnt(2)
	v_fma_f64 v[43:44], -v[28:29], v[22:23], v[43:44]
	v_fma_f64 v[62:63], -v[28:29], v[20:21], v[62:63]
	ds_read_b128 v[20:23], v38 offset:5440
	v_fma_f64 v[53:54], -v[28:29], v[18:19], v[54:55]
	v_fma_f64 v[47:48], -v[28:29], v[16:17], v[47:48]
	s_waitcnt lgkmcnt(2)
	v_fma_f64 v[49:50], -v[6:7], v[14:15], v[49:50]
	ds_read_b128 v[16:19], v38 offset:5456
	s_waitcnt lgkmcnt(2)
	v_fma_f64 v[60:61], -v[28:29], v[26:27], v[60:61]
	v_fma_f64 v[58:59], -v[28:29], v[24:25], v[58:59]
	ds_read_b128 v[24:27], v38 offset:5280
	s_waitcnt lgkmcnt(2)
	v_fma_f64 v[64:65], -v[28:29], v[22:23], v[64:65]
	;; [unrolled: 4-line block ×3, first 2 shown]
	v_fma_f64 v[45:46], -v[28:29], v[16:17], v[45:46]
	ds_read_b128 v[16:19], v38 offset:5056
	v_fma_f64 v[51:52], -v[6:7], v[12:13], v[51:52]
	ds_read_b128 v[12:15], v38 offset:5248
	s_waitcnt lgkmcnt(2)
	v_fma_f64 v[43:44], -v[6:7], v[22:23], v[43:44]
	v_fma_f64 v[62:63], -v[6:7], v[20:21], v[62:63]
	ds_read_b128 v[20:23], v38 offset:5216
	v_fma_f64 v[53:54], -v[6:7], v[26:27], v[53:54]
	v_fma_f64 v[47:48], -v[6:7], v[24:25], v[47:48]
	v_fma_f64 v[49:50], -v[4:5], v[34:35], v[49:50]
	ds_read_b128 v[24:27], v38 offset:5232
	s_waitcnt lgkmcnt(2)
	v_fma_f64 v[60:61], -v[6:7], v[14:15], v[60:61]
	v_fma_f64 v[58:59], -v[6:7], v[12:13], v[58:59]
	ds_read_b128 v[12:15], v38 offset:4848
	s_waitcnt lgkmcnt(2)
	v_fma_f64 v[64:65], -v[6:7], v[22:23], v[64:65]
	v_fma_f64 v[66:67], -v[6:7], v[20:21], v[66:67]
	;; [unrolled: 4-line block ×3, first 2 shown]
	ds_read_b128 v[24:27], v38 offset:4832
	v_fma_f64 v[51:52], -v[4:5], v[32:33], v[51:52]
	v_fma_f64 v[53:54], -v[4:5], v[18:19], v[53:54]
	;; [unrolled: 1-line block ×3, first 2 shown]
	ds_read_b128 v[16:19], v38 offset:5024
	s_waitcnt lgkmcnt(2)
	v_fma_f64 v[68:69], -v[4:5], v[22:23], v[43:44]
	v_fma_f64 v[43:44], -v[10:11], v[14:15], v[49:50]
	ds_read_b128 v[32:35], v38 offset:4624
	v_fma_f64 v[62:63], -v[4:5], v[20:21], v[62:63]
	ds_read_b128 v[20:23], v38 offset:5008
	s_waitcnt lgkmcnt(2)
	v_fma_f64 v[49:50], -v[4:5], v[18:19], v[60:61]
	v_fma_f64 v[58:59], -v[4:5], v[16:17], v[58:59]
	ds_read_b128 v[14:17], v38 offset:4992
	v_fma_f64 v[12:13], -v[10:11], v[12:13], v[51:52]
	s_waitcnt lgkmcnt(1)
	v_fma_f64 v[60:61], -v[4:5], v[22:23], v[36:37]
	v_fma_f64 v[53:54], -v[10:11], v[26:27], v[53:54]
	;; [unrolled: 1-line block ×3, first 2 shown]
	ds_read_b128 v[24:27], v38 offset:4784
	v_fma_f64 v[22:23], -v[8:9], v[34:35], v[43:44]
	v_fma_f64 v[74:75], -v[4:5], v[20:21], v[45:46]
	ds_read_b128 v[18:21], v38 offset:4400
	ds_read_b128 v[34:37], v38 offset:4816
	;; [unrolled: 1-line block ×3, first 2 shown]
	s_waitcnt lgkmcnt(4)
	v_fma_f64 v[51:52], -v[4:5], v[16:17], v[64:65]
	v_fma_f64 v[64:65], -v[4:5], v[14:15], v[66:67]
	;; [unrolled: 1-line block ×3, first 2 shown]
	s_waitcnt lgkmcnt(1)
	v_fma_f64 v[62:63], -v[10:11], v[34:35], v[62:63]
	ds_read_b128 v[32:35], v38 offset:4384
	v_mul_f64 v[14:15], v[20:21], v[22:23]
	ds_read_b128 v[20:23], v38 offset:4608
	v_fma_f64 v[36:37], -v[10:11], v[36:37], v[68:69]
	s_waitcnt lgkmcnt(2)
	v_fma_f64 v[66:67], -v[10:11], v[45:46], v[49:50]
	v_fma_f64 v[58:59], -v[10:11], v[43:44], v[58:59]
	;; [unrolled: 1-line block ×4, first 2 shown]
	v_add_u32_e64 v55, s2, 0
	v_fma_f64 v[12:13], -v[14:15], v[18:19], v[12:13]
	ds_read_b128 v[16:19], v38 offset:4768
	s_waitcnt lgkmcnt(1)
	v_fma_f64 v[53:54], -v[8:9], v[22:23], v[53:54]
	ds_read_b128 v[22:25], v38 offset:4160
	ds_read2_b64 v[43:46], v78 offset0:80 offset1:138
	v_fma_f64 v[20:21], -v[8:9], v[20:21], v[47:48]
	ds_read_b128 v[47:50], v38 offset:4592
	s_waitcnt lgkmcnt(3)
	v_fma_f64 v[51:52], -v[10:11], v[18:19], v[51:52]
	s_movk_i32 s2, 0x400
	s_waitcnt lgkmcnt(1)
	v_mul_f64 v[12:13], v[45:46], v[12:13]
	v_fma_f64 v[26:27], -v[14:15], v[34:35], v[53:54]
	v_fma_f64 v[53:54], -v[10:11], v[16:17], v[64:65]
	ds_read_b128 v[16:19], v38 offset:4576
	s_waitcnt lgkmcnt(1)
	v_fma_f64 v[62:63], -v[8:9], v[47:48], v[62:63]
	ds_read_b128 v[45:48], v38 offset:4560
	v_fma_f64 v[49:50], -v[8:9], v[49:50], v[36:37]
	v_fma_f64 v[20:21], -v[14:15], v[32:33], v[20:21]
	ds_read_b128 v[34:37], v38 offset:3936
	v_fma_f64 v[32:33], -v[12:13], v[24:25], v[26:27]
	s_waitcnt lgkmcnt(2)
	v_fma_f64 v[64:65], -v[8:9], v[18:19], v[66:67]
	ds_read_b128 v[24:27], v38 offset:4544
	s_waitcnt lgkmcnt(2)
	v_fma_f64 v[66:67], -v[8:9], v[47:48], v[60:61]
	v_fma_f64 v[68:69], -v[8:9], v[45:46], v[68:69]
	ds_read_b128 v[45:48], v38 offset:4368
	v_fma_f64 v[16:17], -v[8:9], v[16:17], v[58:59]
	v_fma_f64 v[58:59], -v[12:13], v[22:23], v[20:21]
	ds_read_b128 v[20:23], v38 offset:4144
	s_waitcnt lgkmcnt(3)
	v_mul_f64 v[18:19], v[36:37], v[32:33]
	s_waitcnt lgkmcnt(2)
	v_fma_f64 v[36:37], -v[8:9], v[26:27], v[51:52]
	v_fma_f64 v[53:54], -v[8:9], v[24:25], v[53:54]
	ds_read_b128 v[24:27], v38 offset:4352
	s_waitcnt lgkmcnt(2)
	v_fma_f64 v[49:50], -v[14:15], v[47:48], v[49:50]
	v_fma_f64 v[51:52], -v[14:15], v[45:46], v[62:63]
	ds_read_b128 v[45:48], v38 offset:3920
	v_fma_f64 v[58:59], -v[18:19], v[34:35], v[58:59]
	s_waitcnt lgkmcnt(1)
	v_fma_f64 v[26:27], -v[14:15], v[26:27], v[64:65]
	v_fma_f64 v[64:65], -v[14:15], v[24:25], v[16:17]
	ds_read_b128 v[32:35], v38 offset:3904
	v_fma_f64 v[62:63], -v[12:13], v[22:23], v[49:50]
	v_fma_f64 v[74:75], -v[12:13], v[20:21], v[51:52]
	ds_read_b128 v[49:52], v38 offset:4128
	ds_read_b128 v[22:25], v38 offset:4336
	v_mul_f64 v[16:17], v[43:44], v[58:59]
	ds_read_b128 v[58:61], v38 offset:3696
	s_waitcnt lgkmcnt(2)
	v_fma_f64 v[51:52], -v[12:13], v[51:52], v[26:27]
	v_fma_f64 v[47:48], -v[18:19], v[47:48], v[62:63]
	s_waitcnt lgkmcnt(1)
	v_fma_f64 v[62:63], -v[14:15], v[22:23], v[68:69]
	ds_read_b128 v[20:23], v38 offset:4320
	v_fma_f64 v[49:50], -v[12:13], v[49:50], v[64:65]
	v_fma_f64 v[64:65], -v[18:19], v[45:46], v[74:75]
	;; [unrolled: 1-line block ×3, first 2 shown]
	ds_read_b128 v[24:27], v38 offset:3680
	ds_read_b128 v[43:46], v38 offset:4112
	s_waitcnt lgkmcnt(3)
	v_fma_f64 v[47:48], -v[16:17], v[60:61], v[47:48]
	s_waitcnt lgkmcnt(2)
	v_fma_f64 v[36:37], -v[14:15], v[22:23], v[36:37]
	v_fma_f64 v[60:61], -v[14:15], v[20:21], v[53:54]
	ds_read_b128 v[20:23], v38 offset:3472
	v_fma_f64 v[51:52], -v[18:19], v[34:35], v[51:52]
	v_fma_f64 v[53:54], -v[16:17], v[58:59], v[64:65]
	;; [unrolled: 1-line block ×3, first 2 shown]
	ds_read_b128 v[32:35], v38 offset:3456
	s_waitcnt lgkmcnt(1)
	v_mul_f64 v[22:23], v[22:23], v[47:48]
	v_fma_f64 v[58:59], -v[12:13], v[45:46], v[66:67]
	v_fma_f64 v[62:63], -v[12:13], v[43:44], v[62:63]
	ds_read_b128 v[43:46], v38 offset:4096
	v_fma_f64 v[64:65], -v[16:17], v[26:27], v[51:52]
	v_fma_f64 v[66:67], -v[16:17], v[24:25], v[49:50]
	ds_read_b128 v[24:27], v38 offset:3232
	v_fma_f64 v[20:21], -v[22:23], v[20:21], v[53:54]
	ds_read_b128 v[47:50], v38 offset:3888
	ds_read2_b64 v[51:54], v55 offset0:92 offset1:150
	s_waitcnt lgkmcnt(3)
	v_fma_f64 v[68:69], -v[12:13], v[45:46], v[36:37]
	v_fma_f64 v[60:61], -v[12:13], v[43:44], v[60:61]
	;; [unrolled: 1-line block ×3, first 2 shown]
	s_waitcnt lgkmcnt(1)
	v_fma_f64 v[58:59], -v[18:19], v[49:50], v[58:59]
	v_fma_f64 v[62:63], -v[18:19], v[47:48], v[62:63]
	ds_read_b128 v[43:46], v38 offset:3872
	s_waitcnt lgkmcnt(1)
	v_mul_f64 v[20:21], v[53:54], v[20:21]
	v_fma_f64 v[53:54], -v[22:23], v[32:33], v[66:67]
	ds_read_b128 v[34:37], v38 offset:3664
	ds_read_b128 v[47:50], v38 offset:3008
	s_waitcnt lgkmcnt(1)
	v_fma_f64 v[36:37], -v[16:17], v[36:37], v[58:59]
	v_fma_f64 v[26:27], -v[20:21], v[26:27], v[64:65]
	;; [unrolled: 1-line block ×3, first 2 shown]
	ds_read_b128 v[32:35], v38 offset:3648
	v_fma_f64 v[66:67], -v[18:19], v[45:46], v[68:69]
	v_fma_f64 v[68:69], -v[18:19], v[43:44], v[60:61]
	;; [unrolled: 1-line block ×3, first 2 shown]
	ds_read_b128 v[58:61], v38 offset:3440
	ds_read_b128 v[43:46], v38 offset:6080
	s_waitcnt lgkmcnt(3)
	v_mul_f64 v[26:27], v[49:50], v[26:27]
	s_waitcnt lgkmcnt(2)
	v_fma_f64 v[66:67], -v[16:17], v[34:35], v[66:67]
	s_waitcnt lgkmcnt(0)
	v_mul_f64 v[53:54], v[2:3], v[45:46]
	v_mul_f64 v[64:65], v[2:3], v[43:44]
	v_fma_f64 v[49:50], -v[16:17], v[32:33], v[68:69]
	ds_read_b128 v[32:35], v38 offset:3424
	v_fma_f64 v[24:25], -v[26:27], v[47:48], v[24:25]
	v_fma_f64 v[60:61], -v[22:23], v[60:61], v[36:37]
	;; [unrolled: 1-line block ×3, first 2 shown]
	ds_read_b128 v[43:46], v38 offset:3216
	s_waitcnt vmcnt(0)
	v_fma_f64 v[53:54], s[0:1], v[41:42], -v[53:54]
	v_mul_f64 v[24:25], v[51:52], v[24:25]
	v_fma_f64 v[51:52], s[0:1], v[39:40], -v[64:65]
	ds_read_b128 v[39:42], v38 offset:5856
	s_waitcnt lgkmcnt(2)
	v_fma_f64 v[62:63], -v[22:23], v[34:35], v[66:67]
	ds_read_b128 v[34:37], v38 offset:5872
	v_fma_f64 v[66:67], -v[22:23], v[32:33], v[49:50]
	ds_read_b128 v[47:50], v38 offset:3200
	s_waitcnt lgkmcnt(2)
	v_fma_f64 v[68:69], -v[0:1], v[41:42], v[53:54]
	s_waitcnt lgkmcnt(1)
	v_fma_f64 v[36:37], -v[0:1], v[36:37], v[70:71]
	v_fma_f64 v[64:65], -v[0:1], v[34:35], v[72:73]
	ds_read_b128 v[32:35], v38 offset:5648
	v_fma_f64 v[70:71], -v[0:1], v[39:40], v[51:52]
	s_waitcnt lgkmcnt(0)
	v_fma_f64 v[72:73], -v[30:31], v[34:35], v[36:37]
	ds_read_b128 v[34:37], v38 offset:5632
	v_fma_f64 v[62:63], -v[20:21], v[49:50], v[62:63]
	v_fma_f64 v[66:67], -v[20:21], v[47:48], v[66:67]
	ds_read_b128 v[47:50], v38 offset:2992
	v_fma_f64 v[60:61], -v[20:21], v[45:46], v[60:61]
	s_waitcnt lgkmcnt(1)
	v_fma_f64 v[36:37], -v[30:31], v[36:37], v[68:69]
	v_fma_f64 v[68:69], -v[30:31], v[34:35], v[70:71]
	;; [unrolled: 1-line block ×3, first 2 shown]
	ds_read_b128 v[43:46], v38 offset:4976
	v_fma_f64 v[64:65], -v[30:31], v[32:33], v[64:65]
	ds_read_b128 v[39:42], v38 offset:5424
	ds_read_b128 v[51:54], v38 offset:4080
	;; [unrolled: 1-line block ×3, first 2 shown]
	s_waitcnt lgkmcnt(4)
	v_fma_f64 v[60:61], -v[26:27], v[49:50], v[60:61]
	s_waitcnt lgkmcnt(2)
	v_fma_f64 v[70:71], -v[28:29], v[41:42], v[72:73]
	v_fma_f64 v[58:59], -v[26:27], v[47:48], v[58:59]
	s_waitcnt lgkmcnt(0)
	v_fma_f64 v[36:37], -v[28:29], v[34:35], v[36:37]
	v_fma_f64 v[68:69], -v[28:29], v[32:33], v[68:69]
	;; [unrolled: 1-line block ×3, first 2 shown]
	ds_read_b128 v[39:42], v38 offset:5200
	ds_read_b128 v[32:35], v38 offset:5184
	;; [unrolled: 1-line block ×3, first 2 shown]
	s_waitcnt lgkmcnt(1)
	v_fma_f64 v[36:37], -v[6:7], v[34:35], v[36:37]
	v_fma_f64 v[68:69], -v[6:7], v[32:33], v[68:69]
	ds_read_b128 v[32:35], v38 offset:4960
	v_fma_f64 v[70:71], -v[6:7], v[41:42], v[70:71]
	v_fma_f64 v[64:65], -v[6:7], v[39:40], v[64:65]
	ds_read_b128 v[39:42], v38 offset:2768
	s_waitcnt lgkmcnt(2)
	v_fma_f64 v[62:63], -v[26:27], v[49:50], v[62:63]
	v_fma_f64 v[66:67], -v[26:27], v[47:48], v[66:67]
	s_waitcnt lgkmcnt(1)
	v_fma_f64 v[36:37], -v[4:5], v[34:35], v[36:37]
	v_fma_f64 v[68:69], -v[4:5], v[32:33], v[68:69]
	;; [unrolled: 3-line block ×3, first 2 shown]
	v_fma_f64 v[64:65], -v[4:5], v[43:44], v[64:65]
	ds_read_b128 v[43:46], v38 offset:4752
	ds_read_b128 v[47:50], v38 offset:2752
	;; [unrolled: 1-line block ×3, first 2 shown]
	s_waitcnt lgkmcnt(1)
	v_fma_f64 v[49:50], -v[24:25], v[49:50], v[62:63]
	v_fma_f64 v[45:46], -v[10:11], v[45:46], v[70:71]
	v_fma_f64 v[64:65], -v[10:11], v[43:44], v[64:65]
	ds_read_b128 v[41:44], v38 offset:4528
	v_fma_f64 v[70:71], -v[24:25], v[39:40], v[58:59]
	s_waitcnt lgkmcnt(1)
	v_fma_f64 v[74:75], -v[10:11], v[34:35], v[36:37]
	v_fma_f64 v[68:69], -v[10:11], v[32:33], v[68:69]
	ds_read_b128 v[32:35], v38 offset:4512
	ds_read_b128 v[58:61], v38 offset:2544
	s_waitcnt lgkmcnt(2)
	v_fma_f64 v[43:44], -v[8:9], v[43:44], v[45:46]
	v_fma_f64 v[45:46], -v[8:9], v[41:42], v[64:65]
	ds_read_b128 v[39:42], v38 offset:4304
	v_fma_f64 v[64:65], -v[24:25], v[47:48], v[66:67]
	s_waitcnt lgkmcnt(2)
	v_fma_f64 v[62:63], -v[8:9], v[32:33], v[68:69]
	s_waitcnt lgkmcnt(0)
	v_fma_f64 v[43:44], -v[14:15], v[41:42], v[43:44]
	v_fma_f64 v[45:46], -v[14:15], v[39:40], v[45:46]
	ds_read_b128 v[39:42], v38 offset:2528
	v_mul_f64 v[36:37], v[60:61], v[72:73]
	v_fma_f64 v[60:61], -v[8:9], v[34:35], v[74:75]
	ds_read_b128 v[32:35], v38 offset:4288
	v_fma_f64 v[53:54], -v[12:13], v[53:54], v[43:44]
	v_fma_f64 v[51:52], -v[12:13], v[51:52], v[45:46]
	ds_read_b128 v[43:46], v38 offset:3856
	v_fma_f64 v[58:59], -v[36:37], v[58:59], v[70:71]
	s_waitcnt lgkmcnt(1)
	v_fma_f64 v[47:48], -v[14:15], v[34:35], v[60:61]
	v_fma_f64 v[60:61], -v[14:15], v[32:33], v[62:63]
	ds_read_b128 v[32:35], v38 offset:4064
	v_fma_f64 v[62:63], -v[36:37], v[41:42], v[49:50]
	s_waitcnt lgkmcnt(1)
	v_fma_f64 v[53:54], -v[18:19], v[45:46], v[53:54]
	v_fma_f64 v[66:67], -v[18:19], v[43:44], v[51:52]
	ds_read_b128 v[41:44], v38 offset:3632
	v_add_u32_e64 v45, s2, 0
	s_waitcnt lgkmcnt(1)
	v_fma_f64 v[49:50], -v[12:13], v[34:35], v[47:48]
	v_fma_f64 v[60:61], -v[12:13], v[32:33], v[60:61]
	ds_read_b128 v[32:35], v38 offset:3840
	ds_read2_b64 v[45:48], v45 offset0:104 offset1:162
	s_waitcnt lgkmcnt(2)
	v_fma_f64 v[53:54], -v[16:17], v[43:44], v[53:54]
	v_fma_f64 v[66:67], -v[16:17], v[41:42], v[66:67]
	ds_read_b128 v[41:44], v38 offset:3408
	v_fma_f64 v[64:65], -v[36:37], v[39:40], v[64:65]
	s_waitcnt lgkmcnt(2)
	v_fma_f64 v[68:69], -v[18:19], v[34:35], v[49:50]
	v_fma_f64 v[32:33], -v[18:19], v[32:33], v[60:61]
	ds_read_b128 v[49:52], v38 offset:3616
	s_waitcnt lgkmcnt(2)
	v_mul_f64 v[34:35], v[47:48], v[58:59]
	s_waitcnt lgkmcnt(1)
	v_fma_f64 v[53:54], -v[22:23], v[43:44], v[53:54]
	v_fma_f64 v[66:67], -v[22:23], v[41:42], v[66:67]
	ds_read_b128 v[41:44], v38 offset:3184
	ds_read_b128 v[58:61], v38 offset:2304
	s_waitcnt lgkmcnt(2)
	v_fma_f64 v[51:52], -v[16:17], v[51:52], v[68:69]
	v_fma_f64 v[32:33], -v[16:17], v[49:50], v[32:33]
	ds_read_b128 v[47:50], v38 offset:3392
	s_mov_b32 s2, -1
	s_waitcnt lgkmcnt(2)
	v_fma_f64 v[43:44], -v[20:21], v[43:44], v[53:54]
	v_fma_f64 v[66:67], -v[20:21], v[41:42], v[66:67]
	ds_read_b128 v[39:42], v38 offset:2960
	s_waitcnt lgkmcnt(1)
	v_fma_f64 v[32:33], -v[22:23], v[47:48], v[32:33]
	s_waitcnt lgkmcnt(0)
	v_fma_f64 v[70:71], -v[26:27], v[41:42], v[43:44]
	ds_read_b128 v[41:44], v38 offset:2944
	v_fma_f64 v[62:63], -v[34:35], v[60:61], v[62:63]
	v_fma_f64 v[60:61], -v[22:23], v[49:50], v[51:52]
	ds_read_b128 v[47:50], v38 offset:3168
	v_fma_f64 v[64:65], -v[34:35], v[58:59], v[64:65]
	ds_read_b128 v[51:54], v38 offset:2080
	v_fma_f64 v[66:67], -v[26:27], v[39:40], v[66:67]
	s_waitcnt lgkmcnt(1)
	v_fma_f64 v[32:33], -v[20:21], v[47:48], v[32:33]
	v_fma_f64 v[68:69], -v[20:21], v[49:50], v[60:61]
	global_load_dwordx4 v[58:61], v[56:57], off offset:16
	ds_read_b128 v[47:50], v38 offset:2736
	v_fma_f64 v[32:33], -v[26:27], v[41:42], v[32:33]
	ds_read_b128 v[39:42], v38 offset:2512
	s_waitcnt lgkmcnt(2)
	v_mul_f64 v[53:54], v[53:54], v[62:63]
	s_waitcnt lgkmcnt(1)
	v_fma_f64 v[62:63], -v[24:25], v[49:50], v[70:71]
	v_fma_f64 v[68:69], -v[26:27], v[43:44], v[68:69]
	;; [unrolled: 1-line block ×3, first 2 shown]
	ds_read_b128 v[47:50], v38 offset:2720
	v_fma_f64 v[51:52], -v[53:54], v[51:52], v[64:65]
	s_waitcnt lgkmcnt(1)
	v_fma_f64 v[70:71], -v[36:37], v[41:42], v[62:63]
	global_load_dwordx4 v[62:65], v[56:57], off
	ds_read_b128 v[41:44], v38 offset:2288
	s_waitcnt lgkmcnt(1)
	v_fma_f64 v[68:69], -v[24:25], v[49:50], v[68:69]
	v_fma_f64 v[39:40], -v[36:37], v[39:40], v[66:67]
	;; [unrolled: 1-line block ×3, first 2 shown]
	ds_read_b128 v[47:50], v38 offset:2496
	v_mul_f64 v[51:52], v[45:46], v[51:52]
	s_waitcnt lgkmcnt(1)
	v_fma_f64 v[66:67], -v[34:35], v[43:44], v[70:71]
	ds_read_b128 v[43:46], v38 offset:2064
	s_waitcnt lgkmcnt(1)
	v_fma_f64 v[49:50], -v[36:37], v[49:50], v[68:69]
	v_fma_f64 v[68:69], -v[34:35], v[41:42], v[39:40]
	;; [unrolled: 1-line block ×3, first 2 shown]
	ds_read_b128 v[39:42], v38 offset:2272
	s_waitcnt lgkmcnt(1)
	v_fma_f64 v[66:67], -v[53:54], v[45:46], v[66:67]
	ds_read_b128 v[45:48], v38 offset:1840
	s_waitcnt lgkmcnt(1)
	v_fma_f64 v[70:71], -v[34:35], v[41:42], v[49:50]
	v_fma_f64 v[43:44], -v[53:54], v[43:44], v[68:69]
	;; [unrolled: 1-line block ×3, first 2 shown]
	s_waitcnt lgkmcnt(0)
	v_fma_f64 v[66:67], -v[51:52], v[47:48], v[66:67]
	ds_read_b128 v[39:42], v38 offset:2048
	ds_read_b128 v[47:50], v38 offset:1616
	s_waitcnt lgkmcnt(1)
	v_fma_f64 v[68:69], -v[53:54], v[41:42], v[70:71]
	v_fma_f64 v[70:71], -v[51:52], v[45:46], v[43:44]
	;; [unrolled: 1-line block ×3, first 2 shown]
	s_waitcnt lgkmcnt(0)
	v_mul_f64 v[41:42], v[49:50], v[66:67]
	ds_read_b128 v[43:46], v38 offset:1824
	s_waitcnt lgkmcnt(0)
	v_fma_f64 v[39:40], -v[51:52], v[45:46], v[68:69]
	v_fma_f64 v[32:33], -v[51:52], v[43:44], v[32:33]
	;; [unrolled: 1-line block ×3, first 2 shown]
	ds_read_b128 v[43:46], v38 offset:1600
	ds_read2_b64 v[47:50], v38 offset0:116 offset1:174
	s_waitcnt lgkmcnt(1)
	v_fma_f64 v[70:71], -v[41:42], v[45:46], v[39:40]
	v_fma_f64 v[32:33], -v[41:42], v[43:44], v[32:33]
	s_waitcnt lgkmcnt(0)
	v_mul_f64 v[39:40], v[49:50], v[66:67]
	ds_read_b128 v[43:46], v38 offset:1376
	ds_read_b128 v[66:69], v38 offset:6064
	s_waitcnt lgkmcnt(0)
	v_mul_f64 v[68:69], v[2:3], v[68:69]
	v_mul_f64 v[66:67], v[2:3], v[66:67]
	v_fma_f64 v[49:50], -v[39:40], v[45:46], v[70:71]
	v_fma_f64 v[32:33], -v[39:40], v[43:44], v[32:33]
	ds_read_b128 v[43:46], v38 offset:1152
	s_waitcnt lgkmcnt(0)
	v_mul_f64 v[45:46], v[45:46], v[49:50]
	s_waitcnt vmcnt(1)
	v_fma_f64 v[49:50], s[0:1], v[60:61], -v[68:69]
	v_fma_f64 v[70:71], s[0:1], v[58:59], -v[66:67]
	ds_read_b128 v[58:61], v38 offset:5840
	ds_read_b128 v[66:69], v38 offset:6048
	v_fma_f64 v[32:33], -v[45:46], v[43:44], v[32:33]
	s_waitcnt lgkmcnt(1)
	v_fma_f64 v[43:44], -v[0:1], v[60:61], v[49:50]
	v_fma_f64 v[49:50], -v[0:1], v[58:59], v[70:71]
	ds_read_b128 v[58:61], v38 offset:5616
	s_waitcnt lgkmcnt(1)
	v_mul_f64 v[68:69], v[2:3], v[68:69]
	v_mul_f64 v[66:67], v[2:3], v[66:67]
	s_waitcnt lgkmcnt(0)
	v_fma_f64 v[43:44], -v[30:31], v[60:61], v[43:44]
	v_fma_f64 v[49:50], -v[30:31], v[58:59], v[49:50]
	ds_read_b128 v[58:61], v38 offset:5392
	s_waitcnt vmcnt(0)
	v_fma_f64 v[68:69], s[0:1], v[64:65], -v[68:69]
	v_fma_f64 v[66:67], s[0:1], v[62:63], -v[66:67]
	ds_read_b128 v[62:65], v38 offset:5824
	s_waitcnt lgkmcnt(1)
	v_fma_f64 v[43:44], -v[28:29], v[60:61], v[43:44]
	v_fma_f64 v[49:50], -v[28:29], v[58:59], v[49:50]
	ds_read_b128 v[58:61], v38 offset:5168
	s_waitcnt lgkmcnt(1)
	v_fma_f64 v[68:69], -v[0:1], v[64:65], v[68:69]
	v_fma_f64 v[66:67], -v[0:1], v[62:63], v[66:67]
	;; [unrolled: 4-line block ×27, first 2 shown]
	ds_read_b128 v[58:61], v38 offset:2256
	s_waitcnt lgkmcnt(1)
	v_fma_f64 v[64:65], -v[26:27], v[64:65], v[68:69]
	v_mul_f64 v[43:44], v[47:48], v[32:33]
	ds_read_b128 v[47:50], v38 offset:2688
	v_fma_f64 v[32:33], -v[26:27], v[62:63], v[66:67]
	s_waitcnt lgkmcnt(1)
	v_fma_f64 v[66:67], -v[34:35], v[60:61], v[70:71]
	v_fma_f64 v[68:69], -v[34:35], v[58:59], v[72:73]
	s_waitcnt lgkmcnt(0)
	v_fma_f64 v[49:50], -v[24:25], v[49:50], v[64:65]
	ds_read_b128 v[58:61], v38 offset:2032
	ds_read_b128 v[62:65], v38 offset:2464
	v_fma_f64 v[32:33], -v[24:25], v[47:48], v[32:33]
	s_waitcnt lgkmcnt(1)
	v_fma_f64 v[66:67], -v[53:54], v[60:61], v[66:67]
	v_fma_f64 v[68:69], -v[53:54], v[58:59], v[68:69]
	s_waitcnt lgkmcnt(0)
	v_fma_f64 v[64:65], -v[36:37], v[64:65], v[49:50]
	ds_read_b128 v[47:50], v38 offset:1808
	;; [unrolled: 8-line block ×3, first 2 shown]
	ds_read_b128 v[60:63], v38 offset:2016
	v_fma_f64 v[32:33], -v[34:35], v[58:59], v[32:33]
	s_waitcnt lgkmcnt(1)
	v_fma_f64 v[58:59], -v[41:42], v[49:50], v[66:67]
	v_fma_f64 v[68:69], -v[41:42], v[47:48], v[68:69]
	ds_read_b128 v[47:50], v38 offset:1792
	s_waitcnt lgkmcnt(1)
	v_fma_f64 v[66:67], -v[53:54], v[62:63], v[64:65]
	ds_read_b128 v[62:65], v38 offset:1360
	v_fma_f64 v[32:33], -v[53:54], v[60:61], v[32:33]
	s_waitcnt lgkmcnt(0)
	v_fma_f64 v[70:71], -v[39:40], v[64:65], v[58:59]
	ds_read_b128 v[58:61], v38 offset:1136
	v_fma_f64 v[49:50], -v[51:52], v[49:50], v[66:67]
	v_fma_f64 v[66:67], -v[39:40], v[62:63], v[68:69]
	ds_read_b128 v[62:65], v38 offset:1568
	v_fma_f64 v[32:33], -v[51:52], v[47:48], v[32:33]
	s_waitcnt lgkmcnt(0)
	v_fma_f64 v[64:65], -v[41:42], v[64:65], v[49:50]
	ds_read_b128 v[47:50], v38 offset:912
	v_fma_f64 v[68:69], -v[45:46], v[60:61], v[70:71]
	v_fma_f64 v[66:67], -v[45:46], v[58:59], v[66:67]
	ds_read_b128 v[58:61], v38 offset:1344
	v_fma_f64 v[32:33], -v[41:42], v[62:63], v[32:33]
	s_waitcnt lgkmcnt(1)
	v_fma_f64 v[68:69], -v[43:44], v[49:50], v[68:69]
	v_fma_f64 v[70:71], -v[43:44], v[47:48], v[66:67]
	ds_read_b128 v[47:50], v38 offset:1120
	s_waitcnt lgkmcnt(1)
	v_fma_f64 v[64:65], -v[39:40], v[60:61], v[64:65]
	ds_read_b128 v[60:63], v38 offset:688
	v_fma_f64 v[32:33], -v[39:40], v[58:59], v[32:33]
	s_waitcnt lgkmcnt(1)
	v_fma_f64 v[49:50], -v[45:46], v[49:50], v[64:65]
	ds_read_b128 v[64:67], v38 offset:896
	s_waitcnt lgkmcnt(1)
	v_mul_f64 v[62:63], v[62:63], v[68:69]
	v_fma_f64 v[32:33], -v[45:46], v[47:48], v[32:33]
	v_fma_f64 v[58:59], -v[62:63], v[60:61], v[70:71]
	s_waitcnt lgkmcnt(0)
	v_fma_f64 v[70:71], -v[43:44], v[66:67], v[49:50]
	ds_read2_b64 v[47:50], v38 offset1:58
	ds_read_b128 v[66:69], v38 offset:672
	v_fma_f64 v[32:33], -v[43:44], v[64:65], v[32:33]
	s_waitcnt lgkmcnt(1)
	v_mul_f64 v[60:61], v[49:50], v[58:59]
	s_waitcnt lgkmcnt(0)
	v_fma_f64 v[49:50], -v[62:63], v[68:69], v[70:71]
	ds_read_b128 v[68:71], v38 offset:448
	v_fma_f64 v[58:59], -v[62:63], v[66:67], v[32:33]
	ds_read_b128 v[64:67], v38 offset:224
	global_store_dwordx4 v[56:57], v[0:3], off offset:208
	global_store_dwordx4 v[56:57], v[28:31], off offset:192
	;; [unrolled: 1-line block ×6, first 2 shown]
	s_waitcnt lgkmcnt(1)
	v_fma_f64 v[49:50], -v[60:61], v[70:71], v[49:50]
	s_waitcnt lgkmcnt(0)
	v_mul_f64 v[32:33], v[66:67], v[49:50]
	v_fma_f64 v[49:50], -v[60:61], v[68:69], v[58:59]
	v_fma_f64 v[49:50], -v[32:33], v[64:65], v[49:50]
	v_mul_f64 v[30:31], v[47:48], v[49:50]
	global_store_dwordx4 v[56:57], v[20:23], off offset:112
	global_store_dwordx4 v[56:57], v[24:27], off offset:96
	;; [unrolled: 1-line block ×7, first 2 shown]
	global_store_dwordx4 v[56:57], v[30:33], off
.LBB98_28:
	s_cmp_gt_i32 s2, -1
	s_cbranch_scc0 .LBB98_47
; %bb.29:
	s_cmp_lt_u32 s2, 23
	s_cbranch_scc1 .LBB98_34
; %bb.30:
	s_mov_b32 s5, 0
	s_mov_b32 s3, s5
	s_lshl_b64 s[6:7], s[2:3], 3
	v_mov_b32_e32 v0, s7
	v_add_co_u32_e32 v10, vcc, s6, v56
	v_addc_co_u32_e32 v11, vcc, v57, v0, vcc
	global_load_dwordx4 v[0:3], v[10:11], off offset:-8
	global_load_dwordx4 v[12:15], v[10:11], off offset:-24
	;; [unrolled: 1-line block ×12, first 2 shown]
	s_cmp_le_i32 s12, s2
	s_waitcnt vmcnt(11)
	v_mul_f64 v[4:5], s[0:1], v[2:3]
	v_mul_f64 v[8:9], s[0:1], v[0:1]
	s_waitcnt vmcnt(10)
	v_mul_f64 v[48:49], s[0:1], v[14:15]
	v_mul_f64 v[46:47], s[0:1], v[12:13]
	;; [unrolled: 3-line block ×12, first 2 shown]
	s_cbranch_scc1 .LBB98_33
; %bb.31:
	s_mul_i32 s3, s22, 0xe0
	s_lshl_b32 s4, s2, 3
	s_add_i32 s3, s3, s4
	s_addk_i32 s3, 0xfe68
	s_mov_b32 s4, s12
.LBB98_32:                              ; =>This Inner Loop Header: Depth=1
	s_lshl_b64 s[6:7], s[4:5], 3
	v_mov_b32_e32 v51, s7
	v_add_co_u32_e32 v50, vcc, s6, v56
	v_addc_co_u32_e32 v51, vcc, v57, v51, vcc
	global_load_dwordx2 v[54:55], v[50:51], off
	v_mov_b32_e32 v78, s3
	ds_read2_b64 v[50:53], v78 offset0:22 offset1:23
	ds_read2_b64 v[58:61], v78 offset0:20 offset1:21
	;; [unrolled: 1-line block ×6, first 2 shown]
	s_add_i32 s4, s4, -1
	s_addk_i32 s3, 0xff20
	s_cmp_gt_i32 s4, s2
	s_waitcnt vmcnt(0) lgkmcnt(5)
	v_fma_f64 v[4:5], -v[54:55], v[52:53], v[4:5]
	v_fma_f64 v[8:9], -v[54:55], v[50:51], v[8:9]
	ds_read2_b64 v[50:53], v78 offset0:10 offset1:11
	s_waitcnt lgkmcnt(5)
	v_fma_f64 v[48:49], -v[54:55], v[60:61], v[48:49]
	v_fma_f64 v[46:47], -v[54:55], v[58:59], v[46:47]
	ds_read2_b64 v[58:61], v78 offset0:8 offset1:9
	s_waitcnt lgkmcnt(5)
	;; [unrolled: 4-line block ×4, first 2 shown]
	v_fma_f64 v[20:21], -v[54:55], v[72:73], v[20:21]
	v_fma_f64 v[24:25], -v[54:55], v[70:71], v[24:25]
	ds_read2_b64 v[70:73], v78 offset0:2 offset1:3
	ds_read2_b64 v[78:81], v78 offset1:1
	s_waitcnt lgkmcnt(6)
	v_fma_f64 v[26:27], -v[54:55], v[76:77], v[26:27]
	v_fma_f64 v[30:31], -v[54:55], v[74:75], v[30:31]
	s_waitcnt lgkmcnt(5)
	v_fma_f64 v[36:37], -v[54:55], v[52:53], v[36:37]
	v_fma_f64 v[34:35], -v[54:55], v[50:51], v[34:35]
	;; [unrolled: 3-line block ×7, first 2 shown]
	s_cbranch_scc1 .LBB98_32
.LBB98_33:
	s_add_i32 s4, s2, -1
	s_lshl_b32 s5, s4, 3
	s_mul_i32 s3, s2, 0xe0
	s_add_i32 s6, s5, s3
	v_mov_b32_e32 v50, s6
	ds_read2_b64 v[50:53], v50 offset1:1
	s_add_i32 s14, s3, 0xffffff20
	s_add_i32 s5, s5, s14
	v_mov_b32_e32 v54, s5
	ds_read_b64 v[54:55], v54
	s_waitcnt lgkmcnt(1)
	v_mul_f64 v[4:5], v[52:53], v[4:5]
	s_add_i32 s6, s2, -3
	s_lshl_b32 s7, s6, 3
	s_add_i32 s10, s7, s3
	s_mov_b32 s5, 0
	s_lshl_b64 s[8:9], s[4:5], 3
	s_add_i32 s15, s3, 0xfffffe40
	s_add_i32 s16, s3, 0xfffffd60
	v_fma_f64 v[8:9], -v[4:5], v[50:51], v[8:9]
	v_mov_b32_e32 v50, s10
	ds_read2_b64 v[50:53], v50 offset1:1
	s_add_i32 s10, s7, s14
	v_mov_b32_e32 v58, s10
	ds_read2_b64 v[58:61], v58 offset1:1
	s_add_i32 s4, s2, -2
	s_waitcnt lgkmcnt(1)
	v_fma_f64 v[48:49], -v[4:5], v[52:53], v[48:49]
	v_mul_f64 v[8:9], v[54:55], v[8:9]
	v_mov_b32_e32 v53, s9
	v_add_co_u32_e32 v52, vcc, s8, v56
	v_addc_co_u32_e32 v53, vcc, v57, v53, vcc
	global_store_dwordx2 v[10:11], v[4:5], off
	global_store_dwordx2 v[52:53], v[8:9], off
	s_waitcnt lgkmcnt(0)
	v_fma_f64 v[10:11], -v[8:9], v[60:61], v[48:49]
	v_fma_f64 v[50:51], -v[4:5], v[50:51], v[46:47]
	s_add_i32 s8, s7, s15
	v_mov_b32_e32 v46, s8
	ds_read2_b64 v[46:49], v46 offset1:1
	s_add_i32 s7, s7, s16
	v_mov_b32_e32 v52, s7
	ds_read_b64 v[60:61], v52
	s_add_i32 s8, s2, -5
	s_waitcnt lgkmcnt(1)
	v_mul_f64 v[10:11], v[48:49], v[10:11]
	v_fma_f64 v[52:53], -v[8:9], v[58:59], v[50:51]
	s_lshl_b32 s9, s8, 3
	s_lshl_b64 s[10:11], s[4:5], 3
	s_add_i32 s4, s9, s3
	v_mov_b32_e32 v48, s4
	ds_read2_b64 v[48:51], v48 offset1:1
	s_add_i32 s4, s9, s14
	v_mov_b32_e32 v58, s11
	v_fma_f64 v[46:47], -v[10:11], v[46:47], v[52:53]
	v_mov_b32_e32 v52, s4
	s_waitcnt lgkmcnt(0)
	v_fma_f64 v[50:51], -v[4:5], v[50:51], v[12:13]
	ds_read2_b64 v[52:55], v52 offset1:1
	v_add_co_u32_e32 v12, vcc, s10, v56
	v_addc_co_u32_e32 v13, vcc, v57, v58, vcc
	s_add_i32 s4, s9, s15
	global_store_dwordx2 v[12:13], v[10:11], off
	v_mul_f64 v[12:13], v[60:61], v[46:47]
	v_mov_b32_e32 v46, s4
	s_add_i32 s4, s9, s16
	v_fma_f64 v[48:49], -v[4:5], v[48:49], v[44:45]
	v_mov_b32_e32 v44, s4
	ds_read2_b64 v[58:61], v46 offset1:1
	ds_read2_b64 v[44:47], v44 offset1:1
	s_waitcnt lgkmcnt(2)
	v_fma_f64 v[50:51], -v[8:9], v[54:55], v[50:51]
	s_mov_b32 s7, s5
	s_lshl_b64 s[6:7], s[6:7], 3
	v_mov_b32_e32 v62, s7
	v_fma_f64 v[52:53], -v[8:9], v[52:53], v[48:49]
	v_add_co_u32_e32 v54, vcc, s6, v56
	s_add_i32 s11, s3, 0xfffffc80
	s_waitcnt lgkmcnt(1)
	v_fma_f64 v[50:51], -v[10:11], v[60:61], v[50:51]
	v_addc_co_u32_e32 v55, vcc, v57, v62, vcc
	s_add_i32 s6, s9, s11
	global_store_dwordx2 v[54:55], v[12:13], off
	v_fma_f64 v[62:63], -v[10:11], v[58:59], v[52:53]
	s_add_i32 s13, s3, 0xfffffba0
	s_add_i32 s9, s9, s13
	s_waitcnt lgkmcnt(0)
	v_fma_f64 v[54:55], -v[12:13], v[46:47], v[50:51]
	v_mov_b32_e32 v46, s6
	s_add_i32 s6, s2, -7
	s_lshl_b32 s7, s6, 3
	s_add_i32 s10, s7, s3
	v_mov_b32_e32 v50, s10
	ds_read2_b64 v[50:53], v50 offset1:1
	s_add_i32 s10, s7, s14
	v_mov_b32_e32 v58, s10
	ds_read2_b64 v[58:61], v58 offset1:1
	ds_read2_b64 v[46:49], v46 offset1:1
	s_waitcnt lgkmcnt(2)
	v_fma_f64 v[52:53], -v[4:5], v[52:53], v[14:15]
	v_mov_b32_e32 v14, s9
	ds_read_b64 v[64:65], v14
	v_fma_f64 v[44:45], -v[12:13], v[44:45], v[62:63]
	s_waitcnt lgkmcnt(1)
	v_mul_f64 v[14:15], v[48:49], v[54:55]
	s_add_i32 s4, s2, -4
	s_lshl_b64 s[18:19], s[4:5], 3
	s_add_i32 s4, s7, s15
	v_fma_f64 v[52:53], -v[8:9], v[60:61], v[52:53]
	v_fma_f64 v[18:19], -v[4:5], v[50:51], v[18:19]
	v_mov_b32_e32 v48, s4
	ds_read2_b64 v[48:51], v48 offset1:1
	s_add_i32 s4, s7, s16
	v_fma_f64 v[54:55], -v[14:15], v[46:47], v[44:45]
	v_mov_b32_e32 v44, s4
	ds_read2_b64 v[44:47], v44 offset1:1
	s_waitcnt lgkmcnt(1)
	v_fma_f64 v[50:51], -v[10:11], v[50:51], v[52:53]
	v_fma_f64 v[52:53], -v[8:9], v[58:59], v[18:19]
	v_mov_b32_e32 v62, s19
	v_add_co_u32_e32 v18, vcc, s18, v56
	v_addc_co_u32_e32 v19, vcc, v57, v62, vcc
	global_store_dwordx2 v[18:19], v[14:15], off
	v_mul_f64 v[18:19], v[64:65], v[54:55]
	s_waitcnt lgkmcnt(0)
	v_fma_f64 v[54:55], -v[12:13], v[46:47], v[50:51]
	s_add_i32 s4, s7, s11
	v_fma_f64 v[58:59], -v[10:11], v[48:49], v[52:53]
	v_mov_b32_e32 v46, s4
	ds_read2_b64 v[46:49], v46 offset1:1
	s_add_i32 s4, s7, s13
	v_mov_b32_e32 v50, s4
	ds_read2_b64 v[50:53], v50 offset1:1
	s_mov_b32 s9, s5
	s_waitcnt lgkmcnt(1)
	v_fma_f64 v[48:49], -v[14:15], v[48:49], v[54:55]
	v_fma_f64 v[44:45], -v[12:13], v[44:45], v[58:59]
	s_lshl_b64 s[8:9], s[8:9], 3
	v_add_co_u32_e32 v54, vcc, s8, v56
	s_add_i32 s17, s3, 0xfffffac0
	s_add_i32 s8, s2, -9
	v_mov_b32_e32 v55, s9
	s_add_i32 s4, s7, s17
	s_lshl_b32 s9, s8, 3
	s_waitcnt lgkmcnt(0)
	v_fma_f64 v[48:49], -v[18:19], v[52:53], v[48:49]
	v_mov_b32_e32 v52, s4
	s_add_i32 s4, s9, s3
	v_fma_f64 v[62:63], -v[14:15], v[46:47], v[44:45]
	v_mov_b32_e32 v44, s4
	ds_read2_b64 v[44:47], v44 offset1:1
	s_add_i32 s18, s3, 0xfffff9e0
	s_add_i32 s4, s7, s18
	;; [unrolled: 1-line block ×3, first 2 shown]
	v_mov_b32_e32 v58, s7
	ds_read2_b64 v[58:61], v58 offset1:1
	s_waitcnt lgkmcnt(1)
	v_fma_f64 v[46:47], -v[4:5], v[46:47], v[20:21]
	v_addc_co_u32_e32 v55, vcc, v57, v55, vcc
	global_store_dwordx2 v[54:55], v[18:19], off
	ds_read2_b64 v[52:55], v52 offset1:1
	v_mov_b32_e32 v20, s4
	ds_read_b64 v[64:65], v20
	v_fma_f64 v[50:51], -v[18:19], v[50:51], v[62:63]
	s_add_i32 s4, s2, -6
	s_waitcnt lgkmcnt(1)
	v_mul_f64 v[20:21], v[54:55], v[48:49]
	v_fma_f64 v[54:55], -v[8:9], v[60:61], v[46:47]
	s_lshl_b64 s[20:21], s[4:5], 3
	s_add_i32 s4, s9, s15
	v_mov_b32_e32 v46, s4
	ds_read2_b64 v[46:49], v46 offset1:1
	v_fma_f64 v[44:45], -v[4:5], v[44:45], v[24:25]
	s_add_i32 s4, s9, s16
	v_fma_f64 v[60:61], -v[20:21], v[52:53], v[50:51]
	v_mov_b32_e32 v50, s4
	ds_read2_b64 v[50:53], v50 offset1:1
	s_waitcnt lgkmcnt(1)
	v_fma_f64 v[48:49], -v[10:11], v[48:49], v[54:55]
	s_add_i32 s4, s9, s11
	v_mov_b32_e32 v62, s21
	v_fma_f64 v[44:45], -v[8:9], v[58:59], v[44:45]
	v_add_co_u32_e32 v24, vcc, s20, v56
	v_addc_co_u32_e32 v25, vcc, v57, v62, vcc
	s_waitcnt lgkmcnt(0)
	v_fma_f64 v[48:49], -v[12:13], v[52:53], v[48:49]
	v_mov_b32_e32 v52, s4
	ds_read2_b64 v[52:55], v52 offset1:1
	v_fma_f64 v[58:59], -v[10:11], v[46:47], v[44:45]
	s_add_i32 s4, s9, s13
	global_store_dwordx2 v[24:25], v[20:21], off
	v_mul_f64 v[24:25], v[64:65], v[60:61]
	v_mov_b32_e32 v60, s4
	ds_read2_b64 v[44:47], v60 offset1:1
	s_waitcnt lgkmcnt(1)
	v_fma_f64 v[48:49], -v[14:15], v[54:55], v[48:49]
	s_mov_b32 s7, s5
	s_lshl_b64 s[6:7], s[6:7], 3
	v_fma_f64 v[50:51], -v[12:13], v[50:51], v[58:59]
	v_mov_b32_e32 v55, s7
	v_add_co_u32_e32 v54, vcc, s6, v56
	v_addc_co_u32_e32 v55, vcc, v57, v55, vcc
	global_store_dwordx2 v[54:55], v[24:25], off
	s_waitcnt lgkmcnt(0)
	v_fma_f64 v[54:55], -v[18:19], v[46:47], v[48:49]
	s_add_i32 s4, s9, s17
	v_mov_b32_e32 v46, s4
	ds_read2_b64 v[46:49], v46 offset1:1
	v_fma_f64 v[62:63], -v[14:15], v[52:53], v[50:51]
	s_add_i32 s6, s2, -11
	s_add_i32 s4, s9, s18
	s_lshl_b32 s7, s6, 3
	v_mov_b32_e32 v58, s4
	s_add_i32 s4, s7, s3
	ds_read2_b64 v[50:53], v58 offset1:1
	s_waitcnt lgkmcnt(1)
	v_fma_f64 v[48:49], -v[20:21], v[48:49], v[54:55]
	v_mov_b32_e32 v54, s4
	ds_read2_b64 v[58:61], v54 offset1:1
	v_fma_f64 v[44:45], -v[18:19], v[44:45], v[62:63]
	s_add_i32 s4, s7, s14
	v_mov_b32_e32 v54, s4
	ds_read2_b64 v[62:65], v54 offset1:1
	s_waitcnt lgkmcnt(1)
	v_fma_f64 v[26:27], -v[4:5], v[60:61], v[26:27]
	s_add_i32 s19, s3, 0xfffff900
	s_add_i32 s10, s9, s19
	v_fma_f64 v[48:49], -v[24:25], v[52:53], v[48:49]
	v_mov_b32_e32 v52, s10
	s_add_i32 s10, s7, s15
	v_fma_f64 v[60:61], -v[20:21], v[46:47], v[44:45]
	v_mov_b32_e32 v44, s10
	ds_read2_b64 v[44:47], v44 offset1:1
	s_waitcnt lgkmcnt(1)
	v_fma_f64 v[26:27], -v[8:9], v[64:65], v[26:27]
	s_add_i32 s10, s7, s16
	ds_read2_b64 v[52:55], v52 offset1:1
	v_mov_b32_e32 v64, s10
	ds_read2_b64 v[64:67], v64 offset1:1
	s_add_i32 s20, s3, 0xfffff820
	s_add_i32 s9, s9, s20
	v_fma_f64 v[50:51], -v[24:25], v[50:51], v[60:61]
	s_waitcnt lgkmcnt(2)
	v_fma_f64 v[46:47], -v[10:11], v[46:47], v[26:27]
	v_mov_b32_e32 v26, s9
	ds_read_b64 v[68:69], v26
	s_waitcnt lgkmcnt(2)
	v_mul_f64 v[26:27], v[54:55], v[48:49]
	s_add_i32 s4, s2, -8
	v_fma_f64 v[30:31], -v[4:5], v[58:59], v[30:31]
	s_lshl_b64 s[24:25], s[4:5], 3
	s_add_i32 s4, s7, s11
	s_waitcnt lgkmcnt(1)
	v_fma_f64 v[54:55], -v[12:13], v[66:67], v[46:47]
	v_mov_b32_e32 v46, s4
	ds_read2_b64 v[46:49], v46 offset1:1
	s_add_i32 s4, s7, s13
	v_fma_f64 v[58:59], -v[26:27], v[52:53], v[50:51]
	v_mov_b32_e32 v50, s4
	ds_read2_b64 v[50:53], v50 offset1:1
	v_mov_b32_e32 v60, s25
	s_waitcnt lgkmcnt(1)
	v_fma_f64 v[48:49], -v[14:15], v[48:49], v[54:55]
	v_fma_f64 v[54:55], -v[8:9], v[62:63], v[30:31]
	v_add_co_u32_e32 v30, vcc, s24, v56
	v_addc_co_u32_e32 v31, vcc, v57, v60, vcc
	s_add_i32 s4, s7, s17
	global_store_dwordx2 v[30:31], v[26:27], off
	s_waitcnt lgkmcnt(0)
	v_fma_f64 v[48:49], -v[18:19], v[52:53], v[48:49]
	v_fma_f64 v[44:45], -v[10:11], v[44:45], v[54:55]
	v_mul_f64 v[30:31], v[68:69], v[58:59]
	v_mov_b32_e32 v52, s4
	ds_read2_b64 v[52:55], v52 offset1:1
	s_mov_b32 s9, s5
	s_add_i32 s4, s7, s18
	s_lshl_b64 s[8:9], s[8:9], 3
	v_mov_b32_e32 v58, s4
	v_fma_f64 v[44:45], -v[12:13], v[64:65], v[44:45]
	v_mov_b32_e32 v62, s9
	ds_read2_b64 v[58:61], v58 offset1:1
	s_waitcnt lgkmcnt(1)
	v_fma_f64 v[48:49], -v[20:21], v[54:55], v[48:49]
	v_add_co_u32_e32 v54, vcc, s8, v56
	v_addc_co_u32_e32 v55, vcc, v57, v62, vcc
	s_add_i32 s8, s2, -13
	global_store_dwordx2 v[54:55], v[30:31], off
	v_fma_f64 v[54:55], -v[14:15], v[46:47], v[44:45]
	s_lshl_b32 s9, s8, 3
	s_add_i32 s21, s9, s3
	v_mov_b32_e32 v44, s21
	ds_read2_b64 v[44:47], v44 offset1:1
	s_add_i32 s21, s9, s14
	s_waitcnt lgkmcnt(1)
	v_fma_f64 v[64:65], -v[24:25], v[60:61], v[48:49]
	v_mov_b32_e32 v48, s21
	v_fma_f64 v[54:55], -v[18:19], v[50:51], v[54:55]
	ds_read2_b64 v[48:51], v48 offset1:1
	s_waitcnt lgkmcnt(1)
	v_fma_f64 v[36:37], -v[4:5], v[46:47], v[36:37]
	s_add_i32 s10, s7, s19
	v_mov_b32_e32 v46, s10
	ds_read2_b64 v[60:63], v46 offset1:1
	s_add_i32 s10, s7, s20
	s_add_i32 s21, s3, 0xfffff740
	v_fma_f64 v[46:47], -v[20:21], v[52:53], v[54:55]
	v_mov_b32_e32 v52, s10
	s_waitcnt lgkmcnt(1)
	v_fma_f64 v[36:37], -v[8:9], v[50:51], v[36:37]
	s_add_i32 s10, s9, s15
	v_mov_b32_e32 v50, s10
	ds_read2_b64 v[52:55], v52 offset1:1
	s_waitcnt lgkmcnt(1)
	v_fma_f64 v[70:71], -v[26:27], v[62:63], v[64:65]
	ds_read2_b64 v[62:65], v50 offset1:1
	s_add_i32 s10, s9, s16
	v_fma_f64 v[46:47], -v[24:25], v[58:59], v[46:47]
	v_mov_b32_e32 v50, s10
	ds_read2_b64 v[66:69], v50 offset1:1
	s_waitcnt lgkmcnt(1)
	v_fma_f64 v[36:37], -v[10:11], v[64:65], v[36:37]
	s_add_i32 s23, s3, 0xfffff660
	s_add_i32 s10, s7, s21
	;; [unrolled: 1-line block ×3, first 2 shown]
	v_mov_b32_e32 v64, s7
	v_fma_f64 v[34:35], -v[4:5], v[44:45], v[34:35]
	ds_read_b64 v[64:65], v64
	v_fma_f64 v[50:51], -v[30:31], v[54:55], v[70:71]
	s_waitcnt lgkmcnt(1)
	v_fma_f64 v[36:37], -v[12:13], v[68:69], v[36:37]
	v_mov_b32_e32 v54, s10
	s_add_i32 s10, s9, s11
	ds_read2_b64 v[70:73], v54 offset1:1
	v_fma_f64 v[54:55], -v[26:27], v[60:61], v[46:47]
	v_mov_b32_e32 v46, s10
	ds_read2_b64 v[44:47], v46 offset1:1
	s_add_i32 s10, s9, s13
	v_mov_b32_e32 v58, s10
	ds_read2_b64 v[58:61], v58 offset1:1
	s_add_i32 s4, s2, -10
	s_waitcnt lgkmcnt(1)
	v_fma_f64 v[36:37], -v[14:15], v[46:47], v[36:37]
	v_fma_f64 v[46:47], -v[8:9], v[48:49], v[34:35]
	v_mul_f64 v[34:35], v[72:73], v[50:51]
	v_fma_f64 v[50:51], -v[30:31], v[52:53], v[54:55]
	s_lshl_b64 s[24:25], s[4:5], 3
	s_add_i32 s4, s9, s17
	v_mov_b32_e32 v68, s25
	s_mov_b32 s7, s5
	s_waitcnt lgkmcnt(0)
	v_fma_f64 v[36:37], -v[18:19], v[60:61], v[36:37]
	v_fma_f64 v[54:55], -v[10:11], v[62:63], v[46:47]
	v_mov_b32_e32 v46, s4
	ds_read2_b64 v[46:49], v46 offset1:1
	s_add_i32 s4, s9, s18
	v_fma_f64 v[60:61], -v[34:35], v[70:71], v[50:51]
	v_mov_b32_e32 v50, s4
	ds_read2_b64 v[50:53], v50 offset1:1
	s_waitcnt lgkmcnt(1)
	v_fma_f64 v[48:49], -v[20:21], v[48:49], v[36:37]
	v_fma_f64 v[54:55], -v[12:13], v[66:67], v[54:55]
	v_add_co_u32_e32 v36, vcc, s24, v56
	v_addc_co_u32_e32 v37, vcc, v57, v68, vcc
	s_add_i32 s4, s9, s19
	global_store_dwordx2 v[36:37], v[34:35], off
	s_waitcnt lgkmcnt(0)
	v_fma_f64 v[48:49], -v[24:25], v[52:53], v[48:49]
	v_fma_f64 v[44:45], -v[14:15], v[44:45], v[54:55]
	v_mul_f64 v[36:37], v[64:65], v[60:61]
	v_mov_b32_e32 v52, s4
	ds_read2_b64 v[52:55], v52 offset1:1
	s_add_i32 s4, s9, s20
	s_lshl_b64 s[6:7], s[6:7], 3
	v_mov_b32_e32 v60, s4
	v_mov_b32_e32 v64, s7
	v_fma_f64 v[44:45], -v[18:19], v[58:59], v[44:45]
	ds_read2_b64 v[60:63], v60 offset1:1
	s_waitcnt lgkmcnt(1)
	v_fma_f64 v[48:49], -v[26:27], v[54:55], v[48:49]
	v_add_co_u32_e32 v54, vcc, s6, v56
	v_addc_co_u32_e32 v55, vcc, v57, v64, vcc
	s_add_i32 s6, s2, -15
	global_store_dwordx2 v[54:55], v[36:37], off
	v_fma_f64 v[54:55], -v[20:21], v[46:47], v[44:45]
	s_lshl_b32 s7, s6, 3
	s_add_i32 s24, s7, s3
	v_mov_b32_e32 v44, s24
	ds_read2_b64 v[44:47], v44 offset1:1
	s_add_i32 s24, s7, s14
	s_waitcnt lgkmcnt(1)
	v_fma_f64 v[58:59], -v[30:31], v[62:63], v[48:49]
	v_mov_b32_e32 v48, s24
	v_fma_f64 v[54:55], -v[24:25], v[50:51], v[54:55]
	ds_read2_b64 v[48:51], v48 offset1:1
	s_waitcnt lgkmcnt(1)
	v_fma_f64 v[42:43], -v[4:5], v[46:47], v[42:43]
	s_add_i32 s10, s9, s21
	v_mov_b32_e32 v46, s10
	ds_read2_b64 v[62:65], v46 offset1:1
	s_add_i32 s10, s9, s23
	s_add_i32 s25, s3, 0xfffff580
	v_fma_f64 v[46:47], -v[26:27], v[52:53], v[54:55]
	v_mov_b32_e32 v52, s10
	s_waitcnt lgkmcnt(1)
	v_fma_f64 v[42:43], -v[8:9], v[50:51], v[42:43]
	s_add_i32 s10, s7, s15
	v_mov_b32_e32 v50, s10
	ds_read2_b64 v[52:55], v52 offset1:1
	s_waitcnt lgkmcnt(1)
	v_fma_f64 v[68:69], -v[34:35], v[64:65], v[58:59]
	ds_read2_b64 v[64:67], v50 offset1:1
	s_add_i32 s10, s7, s16
	v_fma_f64 v[46:47], -v[30:31], v[60:61], v[46:47]
	v_mov_b32_e32 v50, s10
	ds_read2_b64 v[58:61], v50 offset1:1
	s_waitcnt lgkmcnt(1)
	v_fma_f64 v[42:43], -v[10:11], v[66:67], v[42:43]
	s_add_i32 s9, s9, s25
	v_fma_f64 v[50:51], -v[36:37], v[54:55], v[68:69]
	v_mov_b32_e32 v54, s9
	s_add_i32 s9, s7, s11
	ds_read2_b64 v[66:69], v54 offset1:1
	v_fma_f64 v[54:55], -v[34:35], v[62:63], v[46:47]
	v_mov_b32_e32 v46, s9
	s_waitcnt lgkmcnt(1)
	v_fma_f64 v[42:43], -v[12:13], v[60:61], v[42:43]
	ds_read2_b64 v[60:63], v46 offset1:1
	v_fma_f64 v[70:71], -v[4:5], v[44:45], v[40:41]
	s_add_i32 s9, s7, s13
	s_mul_i32 s24, s2, 0xe8
	v_mov_b32_e32 v46, s9
	ds_read2_b64 v[44:47], v46 offset1:1
	s_add_i32 s9, s24, 0xfffff438
	s_waitcnt lgkmcnt(1)
	v_fma_f64 v[42:43], -v[14:15], v[62:63], v[42:43]
	v_mov_b32_e32 v40, s9
	ds_read_b64 v[62:63], v40
	v_mul_f64 v[40:41], v[68:69], v[50:51]
	v_fma_f64 v[50:51], -v[36:37], v[52:53], v[54:55]
	v_fma_f64 v[54:55], -v[8:9], v[48:49], v[70:71]
	s_add_i32 s4, s2, -12
	s_lshl_b64 s[26:27], s[4:5], 3
	s_waitcnt lgkmcnt(1)
	v_fma_f64 v[42:43], -v[18:19], v[46:47], v[42:43]
	s_add_i32 s4, s7, s17
	v_mov_b32_e32 v46, s4
	ds_read2_b64 v[46:49], v46 offset1:1
	s_add_i32 s4, s7, s18
	v_fma_f64 v[54:55], -v[10:11], v[64:65], v[54:55]
	v_fma_f64 v[66:67], -v[40:41], v[66:67], v[50:51]
	v_mov_b32_e32 v50, s4
	ds_read2_b64 v[50:53], v50 offset1:1
	s_waitcnt lgkmcnt(1)
	v_fma_f64 v[48:49], -v[20:21], v[48:49], v[42:43]
	s_add_i32 s4, s7, s19
	v_mov_b32_e32 v68, s27
	v_add_co_u32_e32 v42, vcc, s26, v56
	v_fma_f64 v[58:59], -v[12:13], v[58:59], v[54:55]
	v_addc_co_u32_e32 v43, vcc, v57, v68, vcc
	s_waitcnt lgkmcnt(0)
	v_fma_f64 v[48:49], -v[24:25], v[52:53], v[48:49]
	v_mov_b32_e32 v52, s4
	ds_read2_b64 v[52:55], v52 offset1:1
	s_add_i32 s4, s7, s20
	global_store_dwordx2 v[42:43], v[40:41], off
	v_fma_f64 v[58:59], -v[14:15], v[60:61], v[58:59]
	v_mul_f64 v[42:43], v[62:63], v[66:67]
	v_mov_b32_e32 v62, s4
	ds_read2_b64 v[62:65], v62 offset1:1
	s_waitcnt lgkmcnt(1)
	v_fma_f64 v[48:49], -v[26:27], v[54:55], v[48:49]
	s_mov_b32 s9, s5
	s_lshl_b64 s[8:9], s[8:9], 3
	v_add_co_u32_e32 v70, vcc, s8, v56
	v_fma_f64 v[44:45], -v[18:19], v[44:45], v[58:59]
	s_sub_i32 s8, s2, 17
	v_mov_b32_e32 v54, s9
	s_lshl_b32 s9, s8, 3
	s_add_i32 s10, s9, s3
	v_addc_co_u32_e32 v71, vcc, v57, v54, vcc
	s_waitcnt lgkmcnt(0)
	v_fma_f64 v[54:55], -v[30:31], v[64:65], v[48:49]
	v_mov_b32_e32 v48, s10
	ds_read2_b64 v[58:61], v48 offset1:1
	v_fma_f64 v[48:49], -v[20:21], v[46:47], v[44:45]
	s_add_i32 s10, s9, s14
	v_mov_b32_e32 v44, s10
	ds_read2_b64 v[44:47], v44 offset1:1
	s_waitcnt lgkmcnt(1)
	v_fma_f64 v[38:39], -v[4:5], v[60:61], v[38:39]
	s_add_i32 s4, s7, s21
	v_mov_b32_e32 v60, s4
	ds_read2_b64 v[64:67], v60 offset1:1
	s_add_i32 s4, s7, s23
	v_fma_f64 v[60:61], -v[24:25], v[50:51], v[48:49]
	v_mov_b32_e32 v48, s4
	ds_read2_b64 v[48:51], v48 offset1:1
	s_waitcnt lgkmcnt(2)
	v_fma_f64 v[38:39], -v[8:9], v[46:47], v[38:39]
	s_add_i32 s4, s9, s15
	v_mov_b32_e32 v46, s4
	s_waitcnt lgkmcnt(1)
	v_fma_f64 v[72:73], -v[34:35], v[66:67], v[54:55]
	ds_read2_b64 v[66:69], v46 offset1:1
	s_add_i32 s4, s9, s16
	v_fma_f64 v[46:47], -v[26:27], v[52:53], v[60:61]
	v_mov_b32_e32 v52, s4
	ds_read2_b64 v[52:55], v52 offset1:1
	s_waitcnt lgkmcnt(1)
	v_fma_f64 v[38:39], -v[10:11], v[68:69], v[38:39]
	v_fma_f64 v[32:33], -v[4:5], v[58:59], v[32:33]
	s_add_i32 s10, s7, s25
	v_fma_f64 v[50:51], -v[36:37], v[50:51], v[72:73]
	v_mov_b32_e32 v72, s10
	s_add_i32 s10, s9, s11
	s_add_i32 s26, s3, 0xfffff4a0
	global_store_dwordx2 v[70:71], v[42:43], off
	s_waitcnt lgkmcnt(0)
	v_fma_f64 v[38:39], -v[12:13], v[54:55], v[38:39]
	v_mov_b32_e32 v54, s10
	ds_read2_b64 v[58:61], v54 offset1:1
	v_fma_f64 v[32:33], -v[8:9], v[44:45], v[32:33]
	s_add_i32 s10, s9, s13
	v_fma_f64 v[54:55], -v[30:31], v[62:63], v[46:47]
	v_mov_b32_e32 v46, s10
	s_add_i32 s10, s7, s26
	s_waitcnt lgkmcnt(0)
	v_fma_f64 v[38:39], -v[14:15], v[60:61], v[38:39]
	v_mov_b32_e32 v60, s10
	ds_read2_b64 v[68:71], v46 offset1:1
	ds_read2_b64 v[60:63], v60 offset1:1
	;; [unrolled: 1-line block ×3, first 2 shown]
	v_fma_f64 v[32:33], -v[10:11], v[66:67], v[32:33]
	v_fma_f64 v[54:55], -v[34:35], v[64:65], v[54:55]
	s_add_i32 s10, s9, s17
	s_waitcnt lgkmcnt(2)
	v_fma_f64 v[38:39], -v[18:19], v[70:71], v[38:39]
	s_waitcnt lgkmcnt(0)
	v_fma_f64 v[50:51], -v[40:41], v[46:47], v[50:51]
	v_mov_b32_e32 v46, s10
	ds_read2_b64 v[64:67], v46 offset1:1
	s_add_i32 s27, s3, 0xfffff3c0
	v_fma_f64 v[32:33], -v[12:13], v[52:53], v[32:33]
	s_add_i32 s7, s7, s27
	v_fma_f64 v[54:55], -v[36:37], v[48:49], v[54:55]
	;; [unrolled: 2-line block ×3, first 2 shown]
	v_mov_b32_e32 v50, s7
	ds_read2_b64 v[50:53], v50 offset1:1
	s_waitcnt lgkmcnt(1)
	v_fma_f64 v[38:39], -v[20:21], v[66:67], v[38:39]
	v_mov_b32_e32 v46, s10
	ds_read2_b64 v[46:49], v46 offset1:1
	v_fma_f64 v[32:33], -v[14:15], v[58:59], v[32:33]
	s_add_i32 s7, s9, s19
	v_fma_f64 v[44:45], -v[40:41], v[44:45], v[54:55]
	s_add_i32 s10, s9, s20
	s_add_i32 s4, s2, -14
	s_waitcnt lgkmcnt(0)
	v_fma_f64 v[38:39], -v[24:25], v[48:49], v[38:39]
	v_mov_b32_e32 v48, s7
	s_add_i32 s7, s24, 0xfffff268
	v_mov_b32_e32 v54, s7
	ds_read2_b64 v[70:73], v48 offset1:1
	ds_read_b64 v[58:59], v54
	v_mov_b32_e32 v48, s10
	ds_read2_b64 v[74:77], v48 offset1:1
	v_fma_f64 v[48:49], -v[18:19], v[68:69], v[32:33]
	s_waitcnt lgkmcnt(2)
	v_fma_f64 v[38:39], -v[26:27], v[72:73], v[38:39]
	v_mul_f64 v[32:33], v[52:53], v[62:63]
	v_fma_f64 v[44:45], -v[42:43], v[60:61], v[44:45]
	s_lshl_b64 s[28:29], s[4:5], 3
	s_add_i32 s4, s9, s21
	s_mov_b32 s7, s5
	v_mov_b32_e32 v62, s29
	v_fma_f64 v[60:61], -v[20:21], v[64:65], v[48:49]
	s_waitcnt lgkmcnt(0)
	v_fma_f64 v[38:39], -v[30:31], v[76:77], v[38:39]
	v_mov_b32_e32 v48, s4
	v_fma_f64 v[44:45], -v[32:33], v[50:51], v[44:45]
	ds_read2_b64 v[52:55], v48 offset1:1
	s_add_i32 s4, s9, s23
	v_mov_b32_e32 v48, s4
	ds_read2_b64 v[48:51], v48 offset1:1
	v_fma_f64 v[46:47], -v[24:25], v[46:47], v[60:61]
	s_waitcnt lgkmcnt(1)
	v_fma_f64 v[54:55], -v[34:35], v[54:55], v[38:39]
	v_add_co_u32_e32 v38, vcc, s28, v56
	s_lshl_b64 s[28:29], s[6:7], 3
	s_sub_i32 s6, s2, 19
	v_addc_co_u32_e32 v39, vcc, v57, v62, vcc
	s_lshl_b32 s7, s6, 3
	global_store_dwordx2 v[38:39], v[32:33], off
	v_mul_f64 v[38:39], v[58:59], v[44:45]
	v_fma_f64 v[58:59], -v[26:27], v[70:71], v[46:47]
	s_add_i32 s10, s7, s3
	v_mov_b32_e32 v44, s10
	ds_read2_b64 v[44:47], v44 offset1:1
	s_waitcnt lgkmcnt(1)
	v_fma_f64 v[54:55], -v[36:37], v[50:51], v[54:55]
	s_add_i32 s10, s7, s14
	s_add_i32 s4, s9, s25
	v_mov_b32_e32 v68, s29
	s_waitcnt lgkmcnt(0)
	v_fma_f64 v[28:29], -v[4:5], v[46:47], v[28:29]
	v_fma_f64 v[50:51], -v[30:31], v[74:75], v[58:59]
	v_mov_b32_e32 v58, s10
	ds_read2_b64 v[58:61], v58 offset1:1
	v_mov_b32_e32 v46, s4
	ds_read2_b64 v[62:65], v46 offset1:1
	s_add_i32 s4, s9, s26
	v_add_co_u32_e32 v74, vcc, s28, v56
	s_waitcnt lgkmcnt(1)
	v_fma_f64 v[28:29], -v[8:9], v[60:61], v[28:29]
	v_fma_f64 v[46:47], -v[34:35], v[52:53], v[50:51]
	v_mov_b32_e32 v50, s4
	s_add_i32 s4, s7, s15
	v_mov_b32_e32 v60, s4
	s_waitcnt lgkmcnt(0)
	v_fma_f64 v[54:55], -v[40:41], v[64:65], v[54:55]
	ds_read2_b64 v[64:67], v60 offset1:1
	s_add_i32 s4, s7, s16
	ds_read2_b64 v[50:53], v50 offset1:1
	v_fma_f64 v[60:61], -v[36:37], v[48:49], v[46:47]
	v_mov_b32_e32 v46, s4
	s_waitcnt lgkmcnt(1)
	v_fma_f64 v[28:29], -v[10:11], v[66:67], v[28:29]
	ds_read2_b64 v[46:49], v46 offset1:1
	s_add_i32 s4, s9, s27
	s_waitcnt lgkmcnt(1)
	v_fma_f64 v[70:71], -v[42:43], v[52:53], v[54:55]
	v_mov_b32_e32 v52, s4
	s_add_i32 s4, s7, s11
	v_fma_f64 v[66:67], -v[40:41], v[62:63], v[60:61]
	ds_read2_b64 v[52:55], v52 offset1:1
	s_waitcnt lgkmcnt(1)
	v_fma_f64 v[28:29], -v[12:13], v[48:49], v[28:29]
	v_mov_b32_e32 v48, s4
	ds_read2_b64 v[60:63], v48 offset1:1
	s_add_i32 s4, s7, s13
	v_mov_b32_e32 v48, s4
	s_add_i32 s28, s3, 0xfffff2e0
	v_fma_f64 v[72:73], -v[42:43], v[50:51], v[66:67]
	ds_read2_b64 v[48:51], v48 offset1:1
	s_waitcnt lgkmcnt(1)
	v_fma_f64 v[28:29], -v[14:15], v[62:63], v[28:29]
	s_add_i32 s4, s9, s28
	v_fma_f64 v[22:23], -v[4:5], v[44:45], v[22:23]
	v_mov_b32_e32 v44, s4
	v_addc_co_u32_e32 v75, vcc, v57, v68, vcc
	ds_read2_b64 v[66:69], v44 offset1:1
	s_add_i32 s4, s7, s17
	s_waitcnt lgkmcnt(1)
	v_fma_f64 v[28:29], -v[18:19], v[50:51], v[28:29]
	v_mov_b32_e32 v50, s4
	v_fma_f64 v[62:63], -v[32:33], v[52:53], v[72:73]
	ds_read2_b64 v[50:53], v50 offset1:1
	s_add_i32 s4, s7, s18
	v_fma_f64 v[44:45], -v[32:33], v[54:55], v[70:71]
	v_mov_b32_e32 v54, s4
	v_fma_f64 v[22:23], -v[8:9], v[58:59], v[22:23]
	ds_read2_b64 v[70:73], v54 offset1:1
	s_waitcnt lgkmcnt(1)
	v_fma_f64 v[28:29], -v[20:21], v[52:53], v[28:29]
	s_add_i32 s29, s3, 0xfffff200
	s_add_i32 s4, s9, s29
	v_fma_f64 v[66:67], -v[38:39], v[66:67], v[62:63]
	v_fma_f64 v[58:59], -v[38:39], v[68:69], v[44:45]
	v_mov_b32_e32 v44, s4
	v_fma_f64 v[22:23], -v[10:11], v[64:65], v[22:23]
	s_add_i32 s4, s7, s19
	s_waitcnt lgkmcnt(0)
	v_fma_f64 v[28:29], -v[24:25], v[72:73], v[28:29]
	ds_read2_b64 v[52:55], v44 offset1:1
	v_mov_b32_e32 v44, s4
	ds_read2_b64 v[62:65], v44 offset1:1
	s_add_i32 s4, s7, s20
	s_mov_b32 s9, s5
	v_fma_f64 v[68:69], -v[12:13], v[46:47], v[22:23]
	v_mov_b32_e32 v22, s4
	s_waitcnt lgkmcnt(0)
	v_fma_f64 v[28:29], -v[26:27], v[64:65], v[28:29]
	ds_read2_b64 v[44:47], v22 offset1:1
	s_add_i32 s4, s24, 0xfffff098
	v_mov_b32_e32 v22, s4
	s_add_i32 s4, s2, -16
	s_lshl_b64 s[30:31], s[4:5], 3
	s_add_i32 s4, s7, s21
	ds_read_b64 v[64:65], v22
	s_waitcnt lgkmcnt(1)
	v_fma_f64 v[28:29], -v[30:31], v[46:47], v[28:29]
	v_fma_f64 v[46:47], -v[14:15], v[60:61], v[68:69]
	v_mul_f64 v[22:23], v[54:55], v[58:59]
	v_mov_b32_e32 v54, s4
	ds_read2_b64 v[58:61], v54 offset1:1
	s_add_i32 s4, s7, s23
	s_lshl_b64 s[8:9], s[8:9], 3
	global_store_dwordx2 v[74:75], v[38:39], off
	s_sub_i32 s10, s2, 23
	v_fma_f64 v[46:47], -v[18:19], v[48:49], v[46:47]
	s_waitcnt lgkmcnt(0)
	v_fma_f64 v[60:61], -v[34:35], v[60:61], v[28:29]
	v_fma_f64 v[66:67], -v[22:23], v[52:53], v[66:67]
	v_mov_b32_e32 v52, s4
	ds_read2_b64 v[52:55], v52 offset1:1
	s_add_i32 s4, s7, s25
	v_mov_b32_e32 v29, s31
	v_add_co_u32_e32 v28, vcc, s30, v56
	v_fma_f64 v[50:51], -v[20:21], v[50:51], v[46:47]
	v_mov_b32_e32 v46, s4
	ds_read2_b64 v[46:49], v46 offset1:1
	s_waitcnt lgkmcnt(1)
	v_fma_f64 v[54:55], -v[36:37], v[54:55], v[60:61]
	s_add_i32 s4, s7, s26
	v_addc_co_u32_e32 v29, vcc, v57, v29, vcc
	v_mov_b32_e32 v60, s4
	v_fma_f64 v[50:51], -v[24:25], v[70:71], v[50:51]
	global_store_dwordx2 v[28:29], v[22:23], off
	v_mul_f64 v[28:29], v[64:65], v[66:67]
	s_waitcnt lgkmcnt(0)
	v_fma_f64 v[48:49], -v[40:41], v[48:49], v[54:55]
	ds_read2_b64 v[64:67], v60 offset1:1
	v_add_co_u32_e32 v72, vcc, s8, v56
	s_sub_i32 s8, s2, 21
	v_fma_f64 v[60:61], -v[26:27], v[62:63], v[50:51]
	v_mov_b32_e32 v54, s9
	s_add_i32 s4, s7, s27
	s_lshl_b32 s9, s8, 3
	v_addc_co_u32_e32 v73, vcc, v57, v54, vcc
	s_waitcnt lgkmcnt(0)
	v_fma_f64 v[54:55], -v[42:43], v[66:67], v[48:49]
	v_mov_b32_e32 v66, s4
	s_add_i32 s4, s9, s3
	v_mov_b32_e32 v48, s4
	ds_read2_b64 v[48:51], v48 offset1:1
	s_add_i32 s4, s9, s14
	v_fma_f64 v[44:45], -v[30:31], v[44:45], v[60:61]
	v_mov_b32_e32 v60, s4
	ds_read2_b64 v[60:63], v60 offset1:1
	s_waitcnt lgkmcnt(1)
	v_fma_f64 v[16:17], -v[4:5], v[50:51], v[16:17]
	ds_read2_b64 v[66:69], v66 offset1:1
	s_add_i32 s4, s7, s28
	v_fma_f64 v[6:7], -v[4:5], v[48:49], v[6:7]
	v_mov_b32_e32 v48, s4
	s_add_i32 s4, s9, s15
	v_fma_f64 v[44:45], -v[34:35], v[58:59], v[44:45]
	v_mov_b32_e32 v58, s4
	s_waitcnt lgkmcnt(1)
	v_fma_f64 v[16:17], -v[8:9], v[62:63], v[16:17]
	ds_read2_b64 v[48:51], v48 offset1:1
	s_waitcnt lgkmcnt(1)
	v_fma_f64 v[54:55], -v[32:33], v[68:69], v[54:55]
	ds_read2_b64 v[68:71], v58 offset1:1
	s_add_i32 s4, s9, s16
	v_mov_b32_e32 v58, s4
	v_fma_f64 v[6:7], -v[8:9], v[60:61], v[6:7]
	ds_read2_b64 v[58:61], v58 offset1:1
	s_waitcnt lgkmcnt(1)
	v_fma_f64 v[16:17], -v[10:11], v[70:71], v[16:17]
	s_add_i32 s4, s7, s29
	v_fma_f64 v[54:55], -v[38:39], v[50:51], v[54:55]
	v_mov_b32_e32 v50, s4
	s_add_i32 s4, s9, s11
	v_fma_f64 v[44:45], -v[36:37], v[52:53], v[44:45]
	v_fma_f64 v[6:7], -v[10:11], v[68:69], v[6:7]
	ds_read2_b64 v[50:53], v50 offset1:1
	s_waitcnt lgkmcnt(1)
	v_fma_f64 v[16:17], -v[12:13], v[60:61], v[16:17]
	v_mov_b32_e32 v60, s4
	ds_read2_b64 v[60:63], v60 offset1:1
	s_add_i32 s4, s9, s13
	s_add_i32 s30, s3, 0xfffff120
	v_fma_f64 v[74:75], -v[40:41], v[46:47], v[44:45]
	v_mov_b32_e32 v44, s4
	ds_read2_b64 v[44:47], v44 offset1:1
	s_waitcnt lgkmcnt(1)
	v_fma_f64 v[16:17], -v[14:15], v[62:63], v[16:17]
	s_add_i32 s4, s7, s30
	v_fma_f64 v[6:7], -v[12:13], v[58:59], v[6:7]
	v_mov_b32_e32 v58, s4
	s_add_i32 s4, s9, s17
	ds_read2_b64 v[68:71], v58 offset1:1
	v_fma_f64 v[62:63], -v[22:23], v[52:53], v[54:55]
	s_add_i32 s31, s3, 0xfffff040
	s_waitcnt lgkmcnt(1)
	v_fma_f64 v[16:17], -v[18:19], v[46:47], v[16:17]
	v_mov_b32_e32 v46, s4
	ds_read2_b64 v[52:55], v46 offset1:1
	v_fma_f64 v[6:7], -v[14:15], v[60:61], v[6:7]
	s_add_i32 s4, s9, s18
	v_mov_b32_e32 v46, s4
	ds_read2_b64 v[58:61], v46 offset1:1
	s_add_i32 s4, s7, s31
	s_waitcnt lgkmcnt(1)
	v_fma_f64 v[16:17], -v[20:21], v[54:55], v[16:17]
	v_mov_b32_e32 v54, s4
	s_add_i32 s4, s9, s19
	v_fma_f64 v[6:7], -v[18:19], v[44:45], v[6:7]
	v_mov_b32_e32 v44, s4
	ds_read2_b64 v[44:47], v44 offset1:1
	s_add_i32 s4, s9, s20
	v_mov_b32_e32 v55, s4
	s_waitcnt lgkmcnt(1)
	v_fma_f64 v[16:17], -v[24:25], v[60:61], v[16:17]
	v_fma_f64 v[70:71], -v[28:29], v[70:71], v[62:63]
	ds_read2_b64 v[60:63], v55 offset1:1
	v_fma_f64 v[6:7], -v[20:21], v[52:53], v[6:7]
	ds_read2_b64 v[52:55], v54 offset1:1
	v_fma_f64 v[64:65], -v[42:43], v[64:65], v[74:75]
	s_sub_i32 s4, s2, 18
	s_add_i32 s7, s24, 0xffffeec8
	s_waitcnt lgkmcnt(2)
	v_fma_f64 v[16:17], -v[26:27], v[46:47], v[16:17]
	v_mov_b32_e32 v46, s7
	s_lshl_b64 s[34:35], s[4:5], 3
	s_add_i32 s4, s9, s21
	v_fma_f64 v[6:7], -v[24:25], v[58:59], v[6:7]
	v_fma_f64 v[66:67], -v[32:33], v[66:67], v[64:65]
	global_store_dwordx2 v[72:73], v[28:29], off
	ds_read_b64 v[72:73], v46
	s_waitcnt lgkmcnt(2)
	v_fma_f64 v[16:17], -v[30:31], v[62:63], v[16:17]
	v_mov_b32_e32 v46, s4
	ds_read2_b64 v[62:65], v46 offset1:1
	s_add_i32 s4, s9, s23
	v_fma_f64 v[6:7], -v[26:27], v[44:45], v[6:7]
	v_fma_f64 v[58:59], -v[38:39], v[48:49], v[66:67]
	v_mov_b32_e32 v46, s4
	ds_read2_b64 v[46:49], v46 offset1:1
	s_waitcnt lgkmcnt(1)
	v_fma_f64 v[16:17], -v[34:35], v[64:65], v[16:17]
	s_add_i32 s4, s9, s25
	s_lshl_b32 s33, s10, 3
	v_mov_b32_e32 v64, s4
	s_add_i32 s4, s33, s3
	v_mul_f64 v[54:55], v[54:55], v[70:71]
	v_mov_b32_e32 v44, s35
	v_add_co_u32_e32 v70, vcc, s34, v56
	s_waitcnt lgkmcnt(0)
	v_fma_f64 v[16:17], -v[36:37], v[48:49], v[16:17]
	v_mov_b32_e32 v48, s4
	v_addc_co_u32_e32 v71, vcc, v57, v44, vcc
	v_fma_f64 v[44:45], -v[22:23], v[50:51], v[58:59]
	v_fma_f64 v[6:7], -v[30:31], v[60:61], v[6:7]
	ds_read2_b64 v[48:51], v48 offset1:1
	s_add_i32 s4, s33, s14
	v_mov_b32_e32 v58, s4
	ds_read2_b64 v[58:61], v58 offset1:1
	s_add_i32 s4, s9, s26
	s_waitcnt lgkmcnt(1)
	v_fma_f64 v[2:3], -v[4:5], v[50:51], v[2:3]
	v_fma_f64 v[50:51], -v[28:29], v[68:69], v[44:45]
	;; [unrolled: 1-line block ×3, first 2 shown]
	v_mov_b32_e32 v44, s4
	ds_read2_b64 v[66:69], v44 offset1:1
	s_add_i32 s4, s33, s15
	v_fma_f64 v[4:5], -v[4:5], v[48:49], v[0:1]
	ds_read2_b64 v[62:65], v64 offset1:1
	s_waitcnt lgkmcnt(2)
	v_fma_f64 v[60:61], -v[8:9], v[60:61], v[2:3]
	v_mov_b32_e32 v2, s4
	v_fma_f64 v[6:7], -v[36:37], v[46:47], v[6:7]
	ds_read2_b64 v[44:47], v2 offset1:1
	s_add_i32 s4, s33, s16
	v_mov_b32_e32 v0, s4
	v_fma_f64 v[8:9], -v[8:9], v[58:59], v[4:5]
	ds_read2_b64 v[0:3], v0 offset1:1
	s_waitcnt lgkmcnt(1)
	v_fma_f64 v[46:47], -v[10:11], v[46:47], v[60:61]
	s_add_i32 s4, s9, s27
	v_mov_b32_e32 v48, s4
	s_add_i32 s4, s33, s11
	v_fma_f64 v[58:59], -v[40:41], v[62:63], v[6:7]
	v_fma_f64 v[16:17], -v[40:41], v[64:65], v[16:17]
	;; [unrolled: 1-line block ×4, first 2 shown]
	s_waitcnt lgkmcnt(0)
	v_fma_f64 v[46:47], -v[12:13], v[2:3], v[46:47]
	v_mov_b32_e32 v2, s4
	ds_read2_b64 v[2:5], v2 offset1:1
	s_add_i32 s4, s33, s13
	v_mov_b32_e32 v6, s4
	ds_read2_b64 v[6:9], v6 offset1:1
	v_fma_f64 v[0:1], -v[12:13], v[0:1], v[10:11]
	s_add_i32 s4, s9, s28
	s_waitcnt lgkmcnt(1)
	v_fma_f64 v[4:5], -v[14:15], v[4:5], v[46:47]
	v_fma_f64 v[16:17], -v[42:43], v[68:69], v[16:17]
	ds_read2_b64 v[44:47], v48 offset1:1
	v_mov_b32_e32 v48, s4
	s_add_i32 s4, s33, s17
	ds_read2_b64 v[48:51], v48 offset1:1
	v_fma_f64 v[14:15], -v[14:15], v[2:3], v[0:1]
	s_mov_b32 s7, s5
	s_waitcnt lgkmcnt(2)
	v_fma_f64 v[4:5], -v[18:19], v[8:9], v[4:5]
	v_mov_b32_e32 v8, s4
	ds_read2_b64 v[8:11], v8 offset1:1
	s_add_i32 s4, s33, s18
	v_mov_b32_e32 v0, s4
	ds_read2_b64 v[0:3], v0 offset1:1
	s_waitcnt lgkmcnt(3)
	v_fma_f64 v[12:13], -v[32:33], v[46:47], v[16:17]
	v_fma_f64 v[6:7], -v[18:19], v[6:7], v[14:15]
	s_waitcnt lgkmcnt(1)
	v_fma_f64 v[4:5], -v[20:21], v[10:11], v[4:5]
	s_add_i32 s4, s9, s29
	v_fma_f64 v[16:17], -v[42:43], v[66:67], v[58:59]
	v_mul_f64 v[46:47], v[72:73], v[52:53]
	s_lshl_b64 s[6:7], s[6:7], 3
	global_store_dwordx2 v[70:71], v[54:55], off
	v_fma_f64 v[50:51], -v[38:39], v[50:51], v[12:13]
	v_mov_b32_e32 v12, s4
	s_waitcnt lgkmcnt(0)
	v_fma_f64 v[10:11], -v[24:25], v[2:3], v[4:5]
	s_add_i32 s4, s33, s19
	v_fma_f64 v[20:21], -v[20:21], v[8:9], v[6:7]
	v_mov_b32_e32 v2, s4
	ds_read2_b64 v[2:5], v2 offset1:1
	s_add_i32 s4, s33, s20
	v_mov_b32_e32 v6, s4
	ds_read2_b64 v[6:9], v6 offset1:1
	v_fma_f64 v[18:19], -v[32:33], v[44:45], v[16:17]
	s_waitcnt lgkmcnt(1)
	v_fma_f64 v[4:5], -v[26:27], v[4:5], v[10:11]
	v_fma_f64 v[0:1], -v[24:25], v[0:1], v[20:21]
	ds_read2_b64 v[10:13], v12 offset1:1
	s_add_i32 s4, s9, s30
	v_mov_b32_e32 v14, s4
	s_add_i32 s4, s33, s21
	ds_read2_b64 v[14:17], v14 offset1:1
	v_fma_f64 v[24:25], -v[38:39], v[48:49], v[18:19]
	s_waitcnt lgkmcnt(2)
	v_fma_f64 v[4:5], -v[30:31], v[8:9], v[4:5]
	v_mov_b32_e32 v8, s4
	ds_read2_b64 v[18:21], v8 offset1:1
	s_waitcnt lgkmcnt(2)
	v_fma_f64 v[12:13], -v[22:23], v[12:13], v[50:51]
	v_fma_f64 v[8:9], -v[26:27], v[2:3], v[0:1]
	s_add_i32 s4, s33, s23
	v_mov_b32_e32 v0, s4
	ds_read2_b64 v[0:3], v0 offset1:1
	s_waitcnt lgkmcnt(1)
	v_fma_f64 v[20:21], -v[34:35], v[20:21], v[4:5]
	s_add_i32 s4, s9, s31
	v_mov_b32_e32 v4, s4
	v_fma_f64 v[26:27], -v[28:29], v[16:17], v[12:13]
	v_fma_f64 v[12:13], -v[30:31], v[6:7], v[8:9]
	ds_read2_b64 v[4:7], v4 offset1:1
	s_add_i32 s4, s33, s25
	v_mov_b32_e32 v8, s4
	s_waitcnt lgkmcnt(1)
	v_fma_f64 v[2:3], -v[36:37], v[2:3], v[20:21]
	v_fma_f64 v[24:25], -v[22:23], v[10:11], v[24:25]
	ds_read2_b64 v[8:11], v8 offset1:1
	s_add_i32 s4, s33, s26
	v_fma_f64 v[20:21], -v[34:35], v[18:19], v[12:13]
	v_mov_b32_e32 v12, s4
	ds_read2_b64 v[16:19], v12 offset1:1
	s_add_i32 s4, s3, 0xffffef60
	s_waitcnt lgkmcnt(1)
	v_fma_f64 v[2:3], -v[40:41], v[10:11], v[2:3]
	s_add_i32 s11, s9, s4
	v_fma_f64 v[26:27], -v[54:55], v[6:7], v[26:27]
	v_mov_b32_e32 v10, s11
	v_fma_f64 v[20:21], -v[36:37], v[0:1], v[20:21]
	s_add_i32 s11, s33, s27
	v_mov_b32_e32 v0, s11
	ds_read2_b64 v[10:13], v10 offset1:1
	s_waitcnt lgkmcnt(1)
	v_fma_f64 v[18:19], -v[42:43], v[18:19], v[2:3]
	ds_read2_b64 v[0:3], v0 offset1:1
	s_add_i32 s11, s33, s28
	v_mov_b32_e32 v6, s11
	v_fma_f64 v[20:21], -v[40:41], v[8:9], v[20:21]
	v_fma_f64 v[14:15], -v[28:29], v[14:15], v[24:25]
	ds_read2_b64 v[6:9], v6 offset1:1
	s_waitcnt lgkmcnt(2)
	v_fma_f64 v[24:25], -v[46:47], v[12:13], v[26:27]
	s_waitcnt lgkmcnt(1)
	v_fma_f64 v[2:3], -v[32:33], v[2:3], v[18:19]
	s_addk_i32 s3, 0xee80
	v_mov_b32_e32 v30, s7
	s_add_i32 s7, s9, s3
	v_fma_f64 v[12:13], -v[42:43], v[16:17], v[20:21]
	v_mov_b32_e32 v16, s7
	s_add_i32 s7, s33, s29
	v_fma_f64 v[20:21], -v[54:55], v[4:5], v[14:15]
	s_waitcnt lgkmcnt(0)
	v_fma_f64 v[8:9], -v[38:39], v[8:9], v[2:3]
	v_mov_b32_e32 v2, s7
	ds_read2_b64 v[2:5], v2 offset1:1
	s_add_i32 s7, s33, s30
	v_fma_f64 v[0:1], -v[32:33], v[0:1], v[12:13]
	v_mov_b32_e32 v12, s7
	ds_read2_b64 v[12:15], v12 offset1:1
	s_add_i32 s7, s24, 0xffffecf8
	s_waitcnt lgkmcnt(1)
	v_fma_f64 v[4:5], -v[22:23], v[4:5], v[8:9]
	v_fma_f64 v[10:11], -v[46:47], v[10:11], v[20:21]
	v_mov_b32_e32 v8, s7
	s_add_i32 s7, s33, s31
	v_fma_f64 v[0:1], -v[38:39], v[6:7], v[0:1]
	ds_read2_b64 v[16:19], v16 offset1:1
	ds_read_b64 v[8:9], v8
	s_add_i32 s4, s33, s4
	s_waitcnt lgkmcnt(2)
	v_fma_f64 v[14:15], -v[28:29], v[14:15], v[4:5]
	v_mov_b32_e32 v4, s7
	ds_read2_b64 v[4:7], v4 offset1:1
	s_waitcnt lgkmcnt(2)
	v_mul_f64 v[18:19], v[18:19], v[24:25]
	v_fma_f64 v[20:21], -v[22:23], v[2:3], v[0:1]
	v_mov_b32_e32 v0, s4
	ds_read2_b64 v[0:3], v0 offset1:1
	s_add_i32 s3, s33, s3
	s_waitcnt lgkmcnt(1)
	v_fma_f64 v[6:7], -v[54:55], v[6:7], v[14:15]
	v_add_co_u32_e32 v14, vcc, s6, v56
	v_addc_co_u32_e32 v15, vcc, v57, v30, vcc
	v_fma_f64 v[12:13], -v[28:29], v[12:13], v[20:21]
	global_store_dwordx2 v[14:15], v[46:47], off
	v_fma_f64 v[10:11], -v[18:19], v[16:17], v[10:11]
	s_waitcnt lgkmcnt(0)
	v_fma_f64 v[14:15], -v[46:47], v[2:3], v[6:7]
	v_mov_b32_e32 v2, s3
	s_sub_i32 s4, s2, 20
	s_lshl_b64 s[6:7], s[4:5], 3
	s_add_i32 s4, s3, 0xffffff20
	v_fma_f64 v[12:13], -v[54:55], v[4:5], v[12:13]
	ds_read2_b64 v[2:5], v2 offset1:1
	v_mov_b32_e32 v6, s4
	v_mul_f64 v[10:11], v[8:9], v[10:11]
	ds_read2_b64 v[6:9], v6 offset1:1
	s_addk_i32 s3, 0xfe40
	s_waitcnt lgkmcnt(1)
	v_fma_f64 v[4:5], -v[18:19], v[4:5], v[14:15]
	v_mov_b32_e32 v16, s7
	v_fma_f64 v[0:1], -v[46:47], v[0:1], v[12:13]
	v_add_co_u32_e32 v12, vcc, s6, v56
	v_addc_co_u32_e32 v13, vcc, v57, v16, vcc
	global_store_dwordx2 v[12:13], v[18:19], off
	s_waitcnt lgkmcnt(0)
	v_fma_f64 v[4:5], -v[10:11], v[8:9], v[4:5]
	s_mov_b32 s9, s5
	v_fma_f64 v[8:9], -v[18:19], v[2:3], v[0:1]
	v_mov_b32_e32 v0, s3
	ds_read2_b64 v[0:3], v0 offset1:1
	s_add_i32 s3, s24, 0xffffeb28
	v_mov_b32_e32 v12, s3
	ds_read_b64 v[12:13], v12
	s_lshl_b64 s[6:7], s[8:9], 3
	s_waitcnt lgkmcnt(1)
	v_mul_f64 v[2:3], v[2:3], v[4:5]
	v_fma_f64 v[4:5], -v[10:11], v[6:7], v[8:9]
	v_mov_b32_e32 v7, s7
	v_add_co_u32_e32 v6, vcc, s6, v56
	s_sub_i32 s4, s2, 22
	v_addc_co_u32_e32 v7, vcc, v57, v7, vcc
	s_lshl_b64 s[6:7], s[4:5], 3
	v_fma_f64 v[0:1], -v[2:3], v[0:1], v[4:5]
	v_mov_b32_e32 v5, s7
	v_add_co_u32_e32 v4, vcc, s6, v56
	s_mov_b32 s11, s5
	v_addc_co_u32_e32 v5, vcc, v57, v5, vcc
	s_lshl_b64 s[4:5], s[10:11], 3
	s_waitcnt lgkmcnt(0)
	v_mul_f64 v[0:1], v[12:13], v[0:1]
	global_store_dwordx2 v[4:5], v[2:3], off
	v_mov_b32_e32 v3, s5
	v_add_co_u32_e32 v2, vcc, s4, v56
	v_addc_co_u32_e32 v3, vcc, v57, v3, vcc
	s_sub_i32 s2, s2, 24
	global_store_dwordx2 v[6:7], v[10:11], off
	global_store_dwordx2 v[2:3], v[0:1], off
.LBB98_34:
	s_cmp_lt_i32 s2, 0
	s_cbranch_scc1 .LBB98_47
; %bb.35:
	s_bitcmp1_b32 s2, 0
	s_cselect_b64 s[4:5], -1, 0
	s_and_b64 vcc, exec, s[4:5]
	s_mov_b32 s4, s2
	s_cbranch_vccnz .LBB98_40
; %bb.36:
	s_mov_b32 s5, 0
	s_mov_b32 s3, s5
	s_lshl_b64 s[6:7], s[2:3], 3
	v_mov_b32_e32 v1, s7
	v_add_co_u32_e32 v0, vcc, s6, v56
	v_addc_co_u32_e32 v1, vcc, v57, v1, vcc
	global_load_dwordx2 v[2:3], v[0:1], off
	s_cmp_le_i32 s12, s2
	s_waitcnt vmcnt(0)
	v_mul_f64 v[2:3], s[0:1], v[2:3]
	s_cbranch_scc1 .LBB98_39
; %bb.37:
	s_mul_i32 s3, s22, 0xe0
	s_lshl_b32 s4, s2, 3
	s_add_i32 s3, s3, s4
	s_addk_i32 s3, 0xff20
	s_mov_b32 s4, s12
.LBB98_38:                              ; =>This Inner Loop Header: Depth=1
	s_lshl_b64 s[6:7], s[4:5], 3
	v_mov_b32_e32 v5, s7
	v_add_co_u32_e32 v4, vcc, s6, v56
	v_addc_co_u32_e32 v5, vcc, v57, v5, vcc
	global_load_dwordx2 v[4:5], v[4:5], off
	v_mov_b32_e32 v6, s3
	ds_read_b64 v[6:7], v6
	s_add_i32 s4, s4, -1
	s_addk_i32 s3, 0xff20
	s_cmp_gt_i32 s4, s2
	s_waitcnt vmcnt(0) lgkmcnt(0)
	v_fma_f64 v[2:3], -v[4:5], v[6:7], v[2:3]
	s_cbranch_scc1 .LBB98_38
.LBB98_39:
	s_mul_i32 s3, s2, 0xe8
	v_mov_b32_e32 v4, s3
	ds_read_b64 v[4:5], v4
	s_add_i32 s4, s2, -1
	s_waitcnt lgkmcnt(0)
	v_mul_f64 v[2:3], v[4:5], v[2:3]
	global_store_dwordx2 v[0:1], v[2:3], off
.LBB98_40:
	s_cmp_eq_u32 s2, 0
	s_mov_b32 s3, 0
	s_cbranch_scc1 .LBB98_47
; %bb.41:
	s_mul_i32 s2, s22, 0xe0
	s_lshl_b32 s5, s4, 3
	s_add_i32 s2, s2, s5
	s_add_i32 s6, s2, 0xffffff20
	;; [unrolled: 1-line block ×3, first 2 shown]
	s_branch .LBB98_43
.LBB98_42:                              ;   in Loop: Header=BB98_43 Depth=1
	s_add_i32 s2, s5, 0xffffff18
	v_mov_b32_e32 v0, s2
	ds_read_b64 v[0:1], v0
	s_add_i32 s2, s4, -2
	s_add_i32 s6, s6, -16
	s_add_i32 s7, s7, -16
	s_cmp_lt_i32 s4, 2
	s_waitcnt lgkmcnt(0)
	v_mul_f64 v[0:1], v[0:1], v[4:5]
	s_mov_b32 s4, s2
	global_store_dwordx2 v[2:3], v[0:1], off
	s_cbranch_scc1 .LBB98_47
.LBB98_43:                              ; =>This Loop Header: Depth=1
                                        ;     Child Loop BB98_44 Depth 2
                                        ;     Child Loop BB98_46 Depth 2
	s_mov_b32 s5, s3
	s_lshl_b64 s[8:9], s[4:5], 3
	v_mov_b32_e32 v1, s9
	v_add_co_u32_e32 v0, vcc, s8, v56
	v_addc_co_u32_e32 v1, vcc, v57, v1, vcc
	global_load_dwordx2 v[2:3], v[0:1], off
	s_cmp_le_i32 s12, s4
	s_mov_b32 s5, s6
	s_mov_b32 s2, s12
	s_waitcnt vmcnt(0)
	v_mul_f64 v[4:5], s[0:1], v[2:3]
	s_cbranch_scc1 .LBB98_45
.LBB98_44:                              ;   Parent Loop BB98_43 Depth=1
                                        ; =>  This Inner Loop Header: Depth=2
	s_lshl_b64 s[8:9], s[2:3], 3
	v_mov_b32_e32 v3, s9
	v_add_co_u32_e32 v2, vcc, s8, v56
	v_addc_co_u32_e32 v3, vcc, v57, v3, vcc
	global_load_dwordx2 v[2:3], v[2:3], off
	v_mov_b32_e32 v6, s5
	ds_read_b64 v[6:7], v6
	s_add_i32 s2, s2, -1
	s_addk_i32 s5, 0xff20
	s_cmp_gt_i32 s2, s4
	s_waitcnt vmcnt(0) lgkmcnt(0)
	v_fma_f64 v[4:5], -v[2:3], v[6:7], v[4:5]
	s_cbranch_scc1 .LBB98_44
.LBB98_45:                              ;   in Loop: Header=BB98_43 Depth=1
	s_add_i32 s2, s4, -1
	s_lshl_b64 s[8:9], s[2:3], 3
	v_mov_b32_e32 v3, s9
	v_add_co_u32_e32 v2, vcc, s8, v56
	v_addc_co_u32_e32 v3, vcc, v57, v3, vcc
	global_load_dwordx2 v[6:7], v[2:3], off
	s_mul_i32 s5, s4, 0xe8
	v_mov_b32_e32 v8, s5
	ds_read_b64 v[8:9], v8
	s_cmp_le_i32 s22, s4
	s_mov_b32 s8, s7
	s_mov_b32 s2, s22
	s_waitcnt lgkmcnt(0)
	v_mul_f64 v[8:9], v[8:9], v[4:5]
	global_store_dwordx2 v[0:1], v[8:9], off
	s_waitcnt vmcnt(1)
	v_mul_f64 v[4:5], s[0:1], v[6:7]
	s_cbranch_scc1 .LBB98_42
.LBB98_46:                              ;   Parent Loop BB98_43 Depth=1
                                        ; =>  This Inner Loop Header: Depth=2
	s_add_i32 s2, s2, -1
	s_lshl_b64 s[10:11], s[2:3], 3
	v_mov_b32_e32 v1, s11
	v_add_co_u32_e32 v0, vcc, s10, v56
	v_addc_co_u32_e32 v1, vcc, v57, v1, vcc
	global_load_dwordx2 v[0:1], v[0:1], off
	v_mov_b32_e32 v6, s8
	ds_read_b64 v[6:7], v6
	s_addk_i32 s8, 0xff20
	s_cmp_gt_i32 s2, s4
	s_waitcnt vmcnt(0) lgkmcnt(0)
	v_fma_f64 v[4:5], -v[0:1], v[6:7], v[4:5]
	s_cbranch_scc1 .LBB98_46
	s_branch .LBB98_42
.LBB98_47:
	s_endpgm
	.section	.rodata,"a",@progbits
	.p2align	6, 0x0
	.amdhsa_kernel _ZL30rocblas_trsm_small_left_deviceILi28ELi28ELb0EddPKdPdEv13rocblas_fill_18rocblas_operation_17rocblas_diagonal_iiT3_T4_lilT5_lili
		.amdhsa_group_segment_fixed_size 6272
		.amdhsa_private_segment_fixed_size 0
		.amdhsa_kernarg_size 360
		.amdhsa_user_sgpr_count 6
		.amdhsa_user_sgpr_private_segment_buffer 1
		.amdhsa_user_sgpr_dispatch_ptr 0
		.amdhsa_user_sgpr_queue_ptr 0
		.amdhsa_user_sgpr_kernarg_segment_ptr 1
		.amdhsa_user_sgpr_dispatch_id 0
		.amdhsa_user_sgpr_flat_scratch_init 0
		.amdhsa_user_sgpr_private_segment_size 0
		.amdhsa_uses_dynamic_stack 0
		.amdhsa_system_sgpr_private_segment_wavefront_offset 0
		.amdhsa_system_sgpr_workgroup_id_x 1
		.amdhsa_system_sgpr_workgroup_id_y 0
		.amdhsa_system_sgpr_workgroup_id_z 1
		.amdhsa_system_sgpr_workgroup_info 0
		.amdhsa_system_vgpr_workitem_id 0
		.amdhsa_next_free_vgpr 82
		.amdhsa_next_free_sgpr 98
		.amdhsa_reserve_vcc 1
		.amdhsa_reserve_flat_scratch 0
		.amdhsa_float_round_mode_32 0
		.amdhsa_float_round_mode_16_64 0
		.amdhsa_float_denorm_mode_32 3
		.amdhsa_float_denorm_mode_16_64 3
		.amdhsa_dx10_clamp 1
		.amdhsa_ieee_mode 1
		.amdhsa_fp16_overflow 0
		.amdhsa_exception_fp_ieee_invalid_op 0
		.amdhsa_exception_fp_denorm_src 0
		.amdhsa_exception_fp_ieee_div_zero 0
		.amdhsa_exception_fp_ieee_overflow 0
		.amdhsa_exception_fp_ieee_underflow 0
		.amdhsa_exception_fp_ieee_inexact 0
		.amdhsa_exception_int_div_zero 0
	.end_amdhsa_kernel
	.section	.text._ZL30rocblas_trsm_small_left_deviceILi28ELi28ELb0EddPKdPdEv13rocblas_fill_18rocblas_operation_17rocblas_diagonal_iiT3_T4_lilT5_lili,"axG",@progbits,_ZL30rocblas_trsm_small_left_deviceILi28ELi28ELb0EddPKdPdEv13rocblas_fill_18rocblas_operation_17rocblas_diagonal_iiT3_T4_lilT5_lili,comdat
.Lfunc_end98:
	.size	_ZL30rocblas_trsm_small_left_deviceILi28ELi28ELb0EddPKdPdEv13rocblas_fill_18rocblas_operation_17rocblas_diagonal_iiT3_T4_lilT5_lili, .Lfunc_end98-_ZL30rocblas_trsm_small_left_deviceILi28ELi28ELb0EddPKdPdEv13rocblas_fill_18rocblas_operation_17rocblas_diagonal_iiT3_T4_lilT5_lili
                                        ; -- End function
	.set _ZL30rocblas_trsm_small_left_deviceILi28ELi28ELb0EddPKdPdEv13rocblas_fill_18rocblas_operation_17rocblas_diagonal_iiT3_T4_lilT5_lili.num_vgpr, 82
	.set _ZL30rocblas_trsm_small_left_deviceILi28ELi28ELb0EddPKdPdEv13rocblas_fill_18rocblas_operation_17rocblas_diagonal_iiT3_T4_lilT5_lili.num_agpr, 0
	.set _ZL30rocblas_trsm_small_left_deviceILi28ELi28ELb0EddPKdPdEv13rocblas_fill_18rocblas_operation_17rocblas_diagonal_iiT3_T4_lilT5_lili.numbered_sgpr, 36
	.set _ZL30rocblas_trsm_small_left_deviceILi28ELi28ELb0EddPKdPdEv13rocblas_fill_18rocblas_operation_17rocblas_diagonal_iiT3_T4_lilT5_lili.num_named_barrier, 0
	.set _ZL30rocblas_trsm_small_left_deviceILi28ELi28ELb0EddPKdPdEv13rocblas_fill_18rocblas_operation_17rocblas_diagonal_iiT3_T4_lilT5_lili.private_seg_size, 0
	.set _ZL30rocblas_trsm_small_left_deviceILi28ELi28ELb0EddPKdPdEv13rocblas_fill_18rocblas_operation_17rocblas_diagonal_iiT3_T4_lilT5_lili.uses_vcc, 1
	.set _ZL30rocblas_trsm_small_left_deviceILi28ELi28ELb0EddPKdPdEv13rocblas_fill_18rocblas_operation_17rocblas_diagonal_iiT3_T4_lilT5_lili.uses_flat_scratch, 0
	.set _ZL30rocblas_trsm_small_left_deviceILi28ELi28ELb0EddPKdPdEv13rocblas_fill_18rocblas_operation_17rocblas_diagonal_iiT3_T4_lilT5_lili.has_dyn_sized_stack, 0
	.set _ZL30rocblas_trsm_small_left_deviceILi28ELi28ELb0EddPKdPdEv13rocblas_fill_18rocblas_operation_17rocblas_diagonal_iiT3_T4_lilT5_lili.has_recursion, 0
	.set _ZL30rocblas_trsm_small_left_deviceILi28ELi28ELb0EddPKdPdEv13rocblas_fill_18rocblas_operation_17rocblas_diagonal_iiT3_T4_lilT5_lili.has_indirect_call, 0
	.section	.AMDGPU.csdata,"",@progbits
; Kernel info:
; codeLenInByte = 25744
; TotalNumSgprs: 40
; NumVgprs: 82
; ScratchSize: 0
; MemoryBound: 1
; FloatMode: 240
; IeeeMode: 1
; LDSByteSize: 6272 bytes/workgroup (compile time only)
; SGPRBlocks: 12
; VGPRBlocks: 20
; NumSGPRsForWavesPerEU: 102
; NumVGPRsForWavesPerEU: 82
; Occupancy: 3
; WaveLimiterHint : 1
; COMPUTE_PGM_RSRC2:SCRATCH_EN: 0
; COMPUTE_PGM_RSRC2:USER_SGPR: 6
; COMPUTE_PGM_RSRC2:TRAP_HANDLER: 0
; COMPUTE_PGM_RSRC2:TGID_X_EN: 1
; COMPUTE_PGM_RSRC2:TGID_Y_EN: 0
; COMPUTE_PGM_RSRC2:TGID_Z_EN: 1
; COMPUTE_PGM_RSRC2:TIDIG_COMP_CNT: 0
	.section	.text._ZL38rocblas_trsm_small_left_device_sharedBILi28ELi28ELb1EddPKdPdEv13rocblas_fill_18rocblas_operation_17rocblas_diagonal_iiT3_T4_lilT5_lili,"axG",@progbits,_ZL38rocblas_trsm_small_left_device_sharedBILi28ELi28ELb1EddPKdPdEv13rocblas_fill_18rocblas_operation_17rocblas_diagonal_iiT3_T4_lilT5_lili,comdat
	.globl	_ZL38rocblas_trsm_small_left_device_sharedBILi28ELi28ELb1EddPKdPdEv13rocblas_fill_18rocblas_operation_17rocblas_diagonal_iiT3_T4_lilT5_lili ; -- Begin function _ZL38rocblas_trsm_small_left_device_sharedBILi28ELi28ELb1EddPKdPdEv13rocblas_fill_18rocblas_operation_17rocblas_diagonal_iiT3_T4_lilT5_lili
	.p2align	8
	.type	_ZL38rocblas_trsm_small_left_device_sharedBILi28ELi28ELb1EddPKdPdEv13rocblas_fill_18rocblas_operation_17rocblas_diagonal_iiT3_T4_lilT5_lili,@function
_ZL38rocblas_trsm_small_left_device_sharedBILi28ELi28ELb1EddPKdPdEv13rocblas_fill_18rocblas_operation_17rocblas_diagonal_iiT3_T4_lilT5_lili: ; @_ZL38rocblas_trsm_small_left_device_sharedBILi28ELi28ELb1EddPKdPdEv13rocblas_fill_18rocblas_operation_17rocblas_diagonal_iiT3_T4_lilT5_lili
; %bb.0:
	s_load_dwordx4 s[8:11], s[4:5], 0x4
	s_load_dwordx4 s[12:15], s[4:5], 0x18
	s_load_dwordx2 s[20:21], s[4:5], 0x28
	s_load_dwordx4 s[0:3], s[4:5], 0x38
	s_load_dwordx2 s[16:17], s[4:5], 0x48
	s_waitcnt lgkmcnt(0)
	s_min_i32 s22, s10, 28
	v_cmp_gt_i32_e32 vcc, s22, v0
	s_and_saveexec_b64 s[18:19], vcc
	s_cbranch_execz .LBB99_6
; %bb.1:
	s_load_dword s24, s[4:5], 0x30
	s_mul_i32 s1, s1, s7
	s_mul_hi_u32 s23, s0, s7
	s_mul_i32 s0, s0, s7
	s_add_i32 s1, s23, s1
	s_waitcnt lgkmcnt(0)
	s_ashr_i32 s25, s24, 31
	s_lshl_b64 s[0:1], s[0:1], 3
	s_add_u32 s14, s14, s0
	s_addc_u32 s15, s15, s1
	s_lshl_b64 s[0:1], s[20:21], 3
	s_add_u32 s0, s14, s0
	s_addc_u32 s1, s15, s1
	v_lshlrev_b32_e32 v3, 3, v0
	v_mov_b32_e32 v2, s1
	v_add_co_u32_e32 v1, vcc, s0, v3
	s_lshl_b64 s[0:1], s[24:25], 3
	v_addc_co_u32_e32 v2, vcc, 0, v2, vcc
	v_mov_b32_e32 v4, s1
	v_mov_b32_e32 v5, v3
	s_mov_b32 s1, s22
.LBB99_2:                               ; =>This Inner Loop Header: Depth=1
	global_load_dwordx2 v[6:7], v[1:2], off
	v_add_co_u32_e32 v1, vcc, s0, v1
	s_add_i32 s1, s1, -1
	v_addc_co_u32_e32 v2, vcc, v2, v4, vcc
	s_cmp_eq_u32 s1, 0
	s_waitcnt vmcnt(0)
	ds_write_b64 v5, v[6:7]
	v_add_u32_e32 v5, 0xe0, v5
	s_cbranch_scc0 .LBB99_2
; %bb.3:
	v_mul_u32_u24_e32 v4, 0xe0, v0
	v_mov_b32_e32 v1, 0
	s_cmpk_lg_i32 s9, 0x84
	v_mov_b32_e32 v2, 0x3ff00000
	v_add_u32_e32 v3, v3, v4
	s_cbranch_scc0 .LBB99_5
; %bb.4:
	ds_read_b64 v[1:2], v3
	s_waitcnt lgkmcnt(0)
	v_div_scale_f64 v[4:5], s[0:1], v[1:2], v[1:2], 1.0
	v_div_scale_f64 v[10:11], vcc, 1.0, v[1:2], 1.0
	v_rcp_f64_e32 v[6:7], v[4:5]
	v_fma_f64 v[8:9], -v[4:5], v[6:7], 1.0
	v_fma_f64 v[6:7], v[6:7], v[8:9], v[6:7]
	v_fma_f64 v[8:9], -v[4:5], v[6:7], 1.0
	v_fma_f64 v[6:7], v[6:7], v[8:9], v[6:7]
	v_mul_f64 v[8:9], v[10:11], v[6:7]
	v_fma_f64 v[4:5], -v[4:5], v[8:9], v[10:11]
	v_div_fmas_f64 v[4:5], v[4:5], v[6:7], v[8:9]
	v_div_fixup_f64 v[1:2], v[4:5], v[1:2], 1.0
.LBB99_5:
	ds_write_b64 v3, v[1:2]
.LBB99_6:
	s_or_b64 exec, exec, s[18:19]
	s_load_dword s0, s[4:5], 0x68
	s_load_dwordx2 s[14:15], s[4:5], 0x58
	s_load_dword s9, s[4:5], 0x50
	s_waitcnt lgkmcnt(0)
	s_mul_i32 s1, s15, s7
	s_mul_hi_u32 s5, s14, s7
	s_mul_i32 s4, s14, s7
	s_add_i32 s5, s5, s1
	s_lshl_b64 s[4:5], s[4:5], 3
	s_add_u32 s1, s2, s4
	s_addc_u32 s4, s3, s5
	s_lshl_b64 s[2:3], s[16:17], 3
	s_add_u32 s2, s1, s2
	s_mul_i32 s1, s6, 0xffffffe4
	s_addc_u32 s3, s4, s3
	s_add_i32 s0, s0, -1
	s_add_i32 s1, s11, s1
	s_cmp_ge_u32 s6, s0
	s_mul_i32 s6, s6, 28
	s_cselect_b32 s4, s1, 28
	s_mul_hi_i32 s1, s9, s6
	s_mul_i32 s0, s9, s6
	s_lshl_b64 s[0:1], s[0:1], 3
	s_add_u32 s6, s2, s0
	s_addc_u32 s7, s3, s1
	s_cmp_gt_i32 s10, 0
	v_cmp_gt_i32_e64 s[0:1], s4, v0
	s_cselect_b64 s[2:3], -1, 0
	s_and_b64 s[14:15], s[0:1], s[2:3]
	s_and_saveexec_b64 s[4:5], s[14:15]
	s_cbranch_execz .LBB99_9
; %bb.7:
	v_mad_i64_i32 v[1:2], s[14:15], s9, v0, 0
	v_mov_b32_e32 v3, s7
	s_mov_b32 s11, s22
	v_lshlrev_b64 v[1:2], 3, v[1:2]
	v_add_co_u32_e32 v1, vcc, s6, v1
	v_addc_co_u32_e32 v2, vcc, v3, v2, vcc
	v_mov_b32_e32 v3, 0x1880
	v_lshl_add_u32 v3, v0, 3, v3
.LBB99_8:                               ; =>This Inner Loop Header: Depth=1
	global_load_dwordx2 v[4:5], v[1:2], off
	s_add_i32 s11, s11, -1
	v_add_co_u32_e32 v1, vcc, 8, v1
	v_addc_co_u32_e32 v2, vcc, 0, v2, vcc
	s_cmp_lg_u32 s11, 0
	s_waitcnt vmcnt(0)
	v_mul_f64 v[4:5], s[12:13], v[4:5]
	ds_write_b64 v3, v[4:5]
	v_add_u32_e32 v3, 0xe0, v3
	s_cbranch_scc1 .LBB99_8
.LBB99_9:
	s_or_b64 exec, exec, s[4:5]
	v_mov_b32_e32 v1, 0x1880
	s_cmpk_eq_i32 s8, 0x6f
	v_lshl_add_u32 v87, v0, 3, v1
	s_mov_b64 s[4:5], -1
	s_waitcnt lgkmcnt(0)
	; wave barrier
	s_cbranch_scc1 .LBB99_32
; %bb.10:
	s_add_i32 s4, s22, -1
	s_cmp_gt_i32 s10, 27
	s_mov_b32 s5, s4
	s_cbranch_scc0 .LBB99_12
; %bb.11:
	s_movk_i32 s5, 0x1400
	v_add_u32_e32 v41, 0x1000, v87
	v_add_u32_e64 v1, s5, 0
	ds_read2_b64 v[3:6], v41 offset0:216 offset1:244
	ds_read2_b64 v[7:10], v1 offset0:87 offset1:143
	v_mov_b32_e32 v42, 0
	ds_read2_b64 v[17:20], v41 offset0:160 offset1:188
	s_movk_i32 s11, 0x1000
	v_add_u32_e64 v25, s11, 0
	s_waitcnt lgkmcnt(1)
	v_mul_f64 v[1:2], v[9:10], v[5:6]
	ds_read_b128 v[9:12], v42 offset:6032
	v_mov_b32_e32 v5, 0x16a8
	ds_read2_b64 v[13:16], v5 offset1:1
	v_mov_b32_e32 v27, 0x14e8
	v_mov_b32_e32 v35, 0x14d8
	v_add_u32_e32 v44, 0xc00, v87
	v_mov_b32_e32 v39, 0x1328
	s_waitcnt lgkmcnt(1)
	v_fma_f64 v[3:4], -v[1:2], v[11:12], v[3:4]
	v_fma_f64 v[23:24], -v[1:2], v[7:8], v[19:20]
	ds_read_b128 v[5:8], v42 offset:5584
	v_mov_b32_e32 v40, 0x1318
	s_movk_i32 s8, 0xc00
	v_mov_b32_e32 v57, 0x1308
	v_mov_b32_e32 v58, 0x1168
	s_waitcnt lgkmcnt(0)
	v_fma_f64 v[7:8], -v[1:2], v[7:8], v[17:18]
	v_mul_f64 v[3:4], v[9:10], v[3:4]
	ds_read2_b64 v[9:12], v41 offset0:104 offset1:132
	ds_read_b128 v[19:22], v42 offset:5568
	v_add_u32_e32 v43, 0x800, v87
	v_mov_b32_e32 v61, 0x1158
	v_mov_b32_e32 v62, 0x1148
	;; [unrolled: 1-line block ×5, first 2 shown]
	v_fma_f64 v[23:24], -v[3:4], v[15:16], v[23:24]
	ds_read2_b64 v[15:18], v25 offset0:103 offset1:159
	v_fma_f64 v[7:8], -v[3:4], v[5:6], v[7:8]
	s_movk_i32 s5, 0x800
	s_waitcnt lgkmcnt(0)
	v_fma_f64 v[17:18], -v[1:2], v[17:18], v[11:12]
	v_mul_f64 v[5:6], v[13:14], v[23:24]
	ds_read_b128 v[11:14], v42 offset:5120
	ds_read_b128 v[23:26], v42 offset:5136
	ds_read2_b64 v[27:30], v27 offset1:1
	ds_read2_b64 v[31:34], v41 offset0:48 offset1:76
	ds_read2_b64 v[35:38], v35 offset1:1
	ds_read2_b64 v[45:48], v44 offset0:120 offset1:148
	ds_read_b128 v[49:52], v42 offset:5104
	ds_read_b128 v[53:56], v42 offset:4688
	s_waitcnt lgkmcnt(6)
	v_fma_f64 v[9:10], -v[1:2], v[25:26], v[9:10]
	s_waitcnt lgkmcnt(5)
	v_fma_f64 v[17:18], -v[3:4], v[29:30], v[17:18]
	;; [unrolled: 2-line block ×3, first 2 shown]
	v_fma_f64 v[7:8], -v[5:6], v[21:22], v[7:8]
	s_waitcnt lgkmcnt(0)
	v_fma_f64 v[59:60], -v[1:2], v[55:56], v[31:32]
	v_fma_f64 v[9:10], -v[3:4], v[23:24], v[9:10]
	;; [unrolled: 1-line block ×3, first 2 shown]
	v_add_u32_e64 v23, s8, 0
	v_mul_f64 v[7:8], v[19:20], v[7:8]
	ds_read2_b64 v[15:18], v39 offset1:1
	ds_read2_b64 v[19:22], v40 offset1:1
	ds_read2_b64 v[23:26], v23 offset0:119 offset1:175
	s_waitcnt lgkmcnt(2)
	v_fma_f64 v[17:18], -v[3:4], v[17:18], v[29:30]
	v_fma_f64 v[9:10], -v[5:6], v[13:14], v[9:10]
	s_waitcnt lgkmcnt(0)
	v_fma_f64 v[25:26], -v[1:2], v[25:26], v[47:48]
	v_fma_f64 v[13:14], -v[7:8], v[37:38], v[27:28]
	;; [unrolled: 1-line block ×3, first 2 shown]
	ds_read2_b64 v[27:30], v57 offset1:1
	ds_read2_b64 v[31:34], v58 offset1:1
	ds_read_b128 v[37:40], v42 offset:4640
	ds_read_b128 v[55:58], v42 offset:4240
	v_fma_f64 v[53:54], -v[5:6], v[15:16], v[17:18]
	v_fma_f64 v[59:60], -v[7:8], v[11:12], v[9:10]
	ds_read_b128 v[15:18], v42 offset:4656
	v_mul_f64 v[9:10], v[35:36], v[13:14]
	ds_read_b128 v[11:14], v42 offset:4672
	s_waitcnt lgkmcnt(2)
	v_fma_f64 v[57:58], -v[1:2], v[57:58], v[45:46]
	v_fma_f64 v[25:26], -v[3:4], v[33:34], v[25:26]
	;; [unrolled: 1-line block ×3, first 2 shown]
	s_waitcnt lgkmcnt(0)
	v_fma_f64 v[13:14], -v[5:6], v[13:14], v[47:48]
	v_fma_f64 v[59:60], -v[9:10], v[51:52], v[59:60]
	ds_read2_b64 v[33:36], v43 offset0:192 offset1:220
	ds_read_b128 v[45:48], v42 offset:4208
	ds_read_b128 v[51:54], v42 offset:4224
	v_fma_f64 v[67:68], -v[3:4], v[55:56], v[57:58]
	v_fma_f64 v[25:26], -v[5:6], v[31:32], v[25:26]
	s_waitcnt lgkmcnt(2)
	v_fma_f64 v[35:36], -v[1:2], v[23:24], v[35:36]
	v_fma_f64 v[31:32], -v[9:10], v[19:20], v[21:22]
	;; [unrolled: 1-line block ×3, first 2 shown]
	v_mul_f64 v[11:12], v[49:50], v[59:60]
	ds_read2_b64 v[19:22], v61 offset1:1
	ds_read2_b64 v[55:58], v62 offset1:1
	;; [unrolled: 1-line block ×4, first 2 shown]
	s_waitcnt lgkmcnt(4)
	v_fma_f64 v[49:50], -v[5:6], v[53:54], v[67:68]
	s_waitcnt lgkmcnt(3)
	v_fma_f64 v[25:26], -v[7:8], v[21:22], v[25:26]
	ds_read_b128 v[21:24], v42 offset:3792
	v_mov_b32_e32 v53, 0xf88
	v_fma_f64 v[13:14], -v[9:10], v[17:18], v[13:14]
	v_mov_b32_e32 v67, 0xde8
	v_fma_f64 v[17:18], -v[11:12], v[29:30], v[31:32]
	s_waitcnt lgkmcnt(1)
	v_fma_f64 v[29:30], -v[3:4], v[65:66], v[35:36]
	v_fma_f64 v[35:36], -v[7:8], v[51:52], v[49:50]
	;; [unrolled: 1-line block ×3, first 2 shown]
	s_waitcnt lgkmcnt(0)
	v_fma_f64 v[23:24], -v[1:2], v[23:24], v[33:34]
	v_fma_f64 v[15:16], -v[11:12], v[15:16], v[13:14]
	v_mul_f64 v[13:14], v[27:28], v[17:18]
	v_fma_f64 v[51:52], -v[5:6], v[63:64], v[29:30]
	ds_read2_b64 v[25:28], v43 offset0:136 offset1:164
	ds_read_b128 v[17:20], v42 offset:3776
	ds_read2_b64 v[29:32], v69 offset1:1
	v_fma_f64 v[47:48], -v[9:10], v[47:48], v[35:36]
	v_fma_f64 v[49:50], -v[11:12], v[57:58], v[49:50]
	ds_read2_b64 v[33:36], v53 offset1:1
	v_fma_f64 v[53:54], -v[3:4], v[21:22], v[23:24]
	v_fma_f64 v[15:16], -v[13:14], v[39:40], v[15:16]
	s_waitcnt lgkmcnt(1)
	v_fma_f64 v[31:32], -v[7:8], v[31:32], v[51:52]
	v_add_u32_e64 v69, s5, 0
	ds_read2_b64 v[21:24], v69 offset0:135 offset1:191
	v_fma_f64 v[51:52], -v[11:12], v[45:46], v[47:48]
	v_fma_f64 v[49:50], -v[13:14], v[55:56], v[49:50]
	s_mov_b32 s5, -1
	v_fma_f64 v[19:20], -v[5:6], v[19:20], v[53:54]
	v_mul_f64 v[15:16], v[37:38], v[15:16]
	ds_read_b128 v[37:40], v42 offset:4176
	ds_read_b128 v[45:48], v42 offset:4192
	v_fma_f64 v[31:32], -v[9:10], v[29:30], v[31:32]
	s_waitcnt lgkmcnt(2)
	v_fma_f64 v[23:24], -v[1:2], v[23:24], v[27:28]
	v_mov_b32_e32 v53, 0xdd8
	s_waitcnt lgkmcnt(0)
	v_fma_f64 v[55:56], -v[13:14], v[47:48], v[51:52]
	v_fma_f64 v[19:20], -v[7:8], v[17:18], v[19:20]
	;; [unrolled: 1-line block ×3, first 2 shown]
	ds_read2_b64 v[27:30], v67 offset1:1
	ds_read_b128 v[47:50], v42 offset:3760
	v_fma_f64 v[35:36], -v[11:12], v[35:36], v[31:32]
	ds_read2_b64 v[51:54], v53 offset1:1
	s_waitcnt lgkmcnt(2)
	v_fma_f64 v[23:24], -v[3:4], v[29:30], v[23:24]
	v_fma_f64 v[45:46], -v[15:16], v[45:46], v[55:56]
	s_waitcnt lgkmcnt(1)
	v_fma_f64 v[19:20], -v[9:10], v[49:50], v[19:20]
	v_mul_f64 v[17:18], v[59:60], v[57:58]
	v_mov_b32_e32 v55, 0xf78
	v_fma_f64 v[49:50], -v[13:14], v[33:34], v[35:36]
	v_mov_b32_e32 v59, 0xf68
	ds_read2_b64 v[33:36], v55 offset1:1
	v_fma_f64 v[23:24], -v[5:6], v[27:28], v[23:24]
	ds_read_b128 v[29:32], v42 offset:3744
	ds_read_b128 v[55:58], v42 offset:3344
	ds_read2_b64 v[59:62], v59 offset1:1
	v_fma_f64 v[27:28], -v[17:18], v[39:40], v[45:46]
	v_fma_f64 v[39:40], -v[11:12], v[47:48], v[19:20]
	s_waitcnt lgkmcnt(3)
	v_fma_f64 v[35:36], -v[15:16], v[35:36], v[49:50]
	s_waitcnt lgkmcnt(1)
	v_fma_f64 v[25:26], -v[1:2], v[57:58], v[25:26]
	ds_read_b128 v[45:48], v42 offset:3328
	v_fma_f64 v[49:50], -v[7:8], v[53:54], v[23:24]
	v_mul_f64 v[19:20], v[37:38], v[27:28]
	v_fma_f64 v[27:28], -v[13:14], v[31:32], v[39:40]
	v_fma_f64 v[31:32], -v[17:18], v[33:34], v[35:36]
	;; [unrolled: 1-line block ×3, first 2 shown]
	ds_read2_b64 v[23:26], v43 offset0:80 offset1:108
	v_fma_f64 v[39:40], -v[9:10], v[51:52], v[49:50]
	v_mov_b32_e32 v35, 0xdc8
	v_fma_f64 v[65:66], -v[15:16], v[29:30], v[27:28]
	ds_read2_b64 v[27:30], v35 offset1:1
	s_waitcnt lgkmcnt(2)
	v_fma_f64 v[55:56], -v[5:6], v[47:48], v[33:34]
	s_waitcnt lgkmcnt(1)
	v_fma_f64 v[21:22], -v[1:2], v[21:22], v[25:26]
	v_fma_f64 v[67:68], -v[19:20], v[61:62], v[31:32]
	ds_read_b128 v[31:34], v42 offset:3728
	ds_read_b128 v[35:38], v42 offset:3712
	s_waitcnt lgkmcnt(2)
	v_fma_f64 v[25:26], -v[11:12], v[29:30], v[39:40]
	v_mov_b32_e32 v29, 0xc28
	ds_read2_b64 v[51:54], v29 offset1:1
	v_mov_b32_e32 v39, 0xc18
	ds_read2_b64 v[61:64], v39 offset1:1
	v_fma_f64 v[29:30], -v[7:8], v[45:46], v[55:56]
	v_mov_b32_e32 v47, 0xdb8
	s_waitcnt lgkmcnt(1)
	v_fma_f64 v[39:40], -v[3:4], v[53:54], v[21:22]
	ds_read2_b64 v[47:50], v47 offset1:1
	ds_read_b128 v[55:58], v42 offset:3312
	v_fma_f64 v[45:46], -v[13:14], v[27:28], v[25:26]
	v_fma_f64 v[33:34], -v[17:18], v[33:34], v[65:66]
	ds_read_b128 v[25:28], v42 offset:3296
	v_mul_f64 v[21:22], v[59:60], v[67:68]
	s_waitcnt lgkmcnt(1)
	v_fma_f64 v[29:30], -v[9:10], v[57:58], v[29:30]
	v_fma_f64 v[39:40], -v[5:6], v[51:52], v[39:40]
	;; [unrolled: 1-line block ×6, first 2 shown]
	ds_read_b128 v[29:32], v42 offset:2896
	v_mov_b32_e32 v55, 0xd98
	v_fma_f64 v[57:58], -v[17:18], v[47:48], v[45:46]
	v_fma_f64 v[65:66], -v[21:22], v[37:38], v[33:34]
	v_mov_b32_e32 v37, 0xc08
	s_waitcnt lgkmcnt(0)
	v_fma_f64 v[23:24], -v[1:2], v[31:32], v[23:24]
	v_fma_f64 v[27:28], -v[13:14], v[27:28], v[49:50]
	;; [unrolled: 1-line block ×3, first 2 shown]
	v_mov_b32_e32 v31, 0xda8
	ds_read2_b64 v[31:34], v31 offset1:1
	ds_read2_b64 v[37:40], v37 offset1:1
	v_fma_f64 v[53:54], -v[3:4], v[29:30], v[23:24]
	v_fma_f64 v[59:60], -v[15:16], v[25:26], v[27:28]
	s_waitcnt lgkmcnt(0)
	v_fma_f64 v[39:40], -v[11:12], v[39:40], v[45:46]
	v_mov_b32_e32 v27, 0xbf8
	ds_read_b128 v[23:26], v42 offset:2880
	ds_read2_b64 v[27:30], v27 offset1:1
	ds_read_b128 v[45:48], v42 offset:3280
	ds_read_b128 v[49:52], v42 offset:2864
	v_fma_f64 v[33:34], -v[19:20], v[33:34], v[57:58]
	s_waitcnt lgkmcnt(3)
	v_fma_f64 v[25:26], -v[5:6], v[25:26], v[53:54]
	s_waitcnt lgkmcnt(1)
	v_fma_f64 v[47:48], -v[17:18], v[47:48], v[59:60]
	v_fma_f64 v[67:68], -v[13:14], v[37:38], v[39:40]
	ds_read2_b64 v[53:56], v55 offset1:1
	ds_read_b128 v[57:60], v42 offset:3264
	ds_read2_b64 v[37:40], v43 offset0:24 offset1:52
	ds_read2_b64 v[61:64], v69 offset0:23 offset1:79
	v_fma_f64 v[33:34], -v[21:22], v[31:32], v[33:34]
	v_fma_f64 v[25:26], -v[7:8], v[23:24], v[25:26]
	v_mul_f64 v[23:24], v[35:36], v[65:66]
	v_fma_f64 v[35:36], -v[19:20], v[45:46], v[47:48]
	v_fma_f64 v[45:46], -v[15:16], v[29:30], v[67:68]
	s_waitcnt lgkmcnt(0)
	v_fma_f64 v[39:40], -v[1:2], v[63:64], v[39:40]
	v_mov_b32_e32 v29, 0xa68
	ds_read2_b64 v[29:32], v29 offset1:1
	v_fma_f64 v[25:26], -v[9:10], v[51:52], v[25:26]
	v_fma_f64 v[55:56], -v[23:24], v[55:56], v[33:34]
	;; [unrolled: 1-line block ×4, first 2 shown]
	v_mov_b32_e32 v27, 0xbe8
	ds_read2_b64 v[45:48], v27 offset1:1
	s_waitcnt lgkmcnt(1)
	v_fma_f64 v[35:36], -v[3:4], v[31:32], v[39:40]
	ds_read_b128 v[31:34], v42 offset:2448
	v_fma_f64 v[49:50], -v[11:12], v[49:50], v[25:26]
	ds_read_b128 v[25:28], v42 offset:2848
	s_waitcnt lgkmcnt(2)
	v_fma_f64 v[47:48], -v[19:20], v[47:48], v[67:68]
	s_waitcnt lgkmcnt(1)
	v_fma_f64 v[51:52], -v[1:2], v[33:34], v[37:38]
	ds_read_b128 v[67:70], v42 offset:2416
	v_fma_f64 v[63:64], -v[5:6], v[29:30], v[35:36]
	v_mov_b32_e32 v29, 0xa58
	ds_read2_b64 v[37:40], v29 offset1:1
	s_waitcnt lgkmcnt(2)
	v_fma_f64 v[71:72], -v[13:14], v[27:28], v[49:50]
	v_mov_b32_e32 v27, 0xa48
	ds_read_b128 v[33:36], v42 offset:2832
	v_fma_f64 v[31:32], -v[3:4], v[31:32], v[51:52]
	ds_read_b128 v[49:52], v42 offset:2432
	s_waitcnt lgkmcnt(2)
	v_fma_f64 v[39:40], -v[7:8], v[39:40], v[63:64]
	ds_read2_b64 v[27:30], v27 offset1:1
	v_mov_b32_e32 v63, 0xbd8
	ds_read2_b64 v[63:66], v63 offset1:1
	s_waitcnt lgkmcnt(2)
	v_fma_f64 v[31:32], -v[5:6], v[51:52], v[31:32]
	v_fma_f64 v[51:52], -v[15:16], v[25:26], v[71:72]
	;; [unrolled: 1-line block ×3, first 2 shown]
	v_mul_f64 v[25:26], v[53:54], v[55:56]
	v_fma_f64 v[53:54], -v[23:24], v[57:58], v[59:60]
	v_fma_f64 v[55:56], -v[21:22], v[45:46], v[47:48]
	ds_read_b128 v[37:40], v42 offset:3248
	v_mov_b32_e32 v45, 0xbc8
	v_fma_f64 v[57:58], -v[7:8], v[49:50], v[31:32]
	v_fma_f64 v[35:36], -v[17:18], v[35:36], v[51:52]
	s_waitcnt lgkmcnt(2)
	v_fma_f64 v[59:60], -v[11:12], v[29:30], v[71:72]
	ds_read2_b64 v[29:32], v45 offset1:1
	ds_read_b128 v[45:48], v42 offset:2784
	ds_read2_b64 v[49:52], v87 offset0:224 offset1:252
	s_waitcnt lgkmcnt(3)
	v_fma_f64 v[39:40], -v[25:26], v[39:40], v[53:54]
	v_fma_f64 v[73:74], -v[23:24], v[65:66], v[55:56]
	v_fma_f64 v[55:56], -v[9:10], v[69:70], v[57:58]
	s_waitcnt lgkmcnt(0)
	v_fma_f64 v[65:66], -v[1:2], v[61:62], v[51:52]
	v_fma_f64 v[75:76], -v[19:20], v[33:34], v[35:36]
	;; [unrolled: 1-line block ×3, first 2 shown]
	v_mov_b32_e32 v33, 0xa38
	v_mov_b32_e32 v51, 0x8a8
	ds_read2_b64 v[33:36], v33 offset1:1
	ds_read2_b64 v[51:54], v51 offset1:1
	v_fma_f64 v[77:78], -v[11:12], v[67:68], v[55:56]
	v_mov_b32_e32 v55, 0xa28
	ds_read2_b64 v[55:58], v55 offset1:1
	ds_read_b128 v[59:62], v42 offset:2400
	s_waitcnt lgkmcnt(3)
	v_fma_f64 v[35:36], -v[15:16], v[35:36], v[27:28]
	s_waitcnt lgkmcnt(2)
	v_fma_f64 v[53:54], -v[3:4], v[53:54], v[65:66]
	ds_read_b128 v[65:68], v42 offset:2816
	ds_read_b128 v[69:72], v42 offset:2384
	v_fma_f64 v[63:64], -v[25:26], v[63:64], v[73:74]
	v_mul_f64 v[27:28], v[37:38], v[39:40]
	s_waitcnt lgkmcnt(2)
	v_fma_f64 v[61:62], -v[13:14], v[61:62], v[77:78]
	s_waitcnt lgkmcnt(1)
	v_fma_f64 v[67:68], -v[21:22], v[67:68], v[75:76]
	v_mov_b32_e32 v37, 0x888
	v_fma_f64 v[75:76], -v[17:18], v[33:34], v[35:36]
	v_fma_f64 v[73:74], -v[5:6], v[51:52], v[53:54]
	v_mov_b32_e32 v33, 0x898
	ds_read2_b64 v[33:36], v33 offset1:1
	ds_read2_b64 v[37:40], v37 offset1:1
	ds_read_b128 v[51:54], v42 offset:2000
	v_fma_f64 v[77:78], -v[15:16], v[59:60], v[61:62]
	v_fma_f64 v[31:32], -v[27:28], v[31:32], v[63:64]
	;; [unrolled: 1-line block ×3, first 2 shown]
	ds_read_b128 v[59:62], v42 offset:1984
	ds_read_b128 v[63:66], v42 offset:2800
	s_waitcnt lgkmcnt(4)
	v_fma_f64 v[35:36], -v[7:8], v[35:36], v[73:74]
	s_waitcnt lgkmcnt(2)
	v_fma_f64 v[49:50], -v[1:2], v[53:54], v[49:50]
	v_fma_f64 v[53:54], -v[19:20], v[57:58], v[75:76]
	;; [unrolled: 1-line block ×3, first 2 shown]
	v_mul_f64 v[29:30], v[29:30], v[31:32]
	s_waitcnt lgkmcnt(0)
	v_fma_f64 v[31:32], -v[25:26], v[65:66], v[67:68]
	v_mov_b32_e32 v67, 0xa08
	v_fma_f64 v[71:72], -v[9:10], v[33:34], v[35:36]
	v_fma_f64 v[65:66], -v[3:4], v[51:52], v[49:50]
	;; [unrolled: 1-line block ×4, first 2 shown]
	v_mov_b32_e32 v49, 0xa18
	ds_read2_b64 v[33:36], v87 offset0:168 offset1:196
	ds_read2_b64 v[49:52], v49 offset1:1
	ds_read_b128 v[53:56], v42 offset:2368
	v_fma_f64 v[31:32], -v[27:28], v[63:64], v[31:32]
	v_fma_f64 v[39:40], -v[11:12], v[39:40], v[71:72]
	;; [unrolled: 1-line block ×3, first 2 shown]
	s_waitcnt lgkmcnt(1)
	v_fma_f64 v[51:52], -v[23:24], v[51:52], v[73:74]
	ds_read2_b64 v[65:68], v67 offset1:1
	s_waitcnt lgkmcnt(1)
	v_fma_f64 v[83:84], -v[21:22], v[55:56], v[57:58]
	v_fma_f64 v[31:32], -v[29:30], v[47:48], v[31:32]
	;; [unrolled: 1-line block ×3, first 2 shown]
	v_mov_b32_e32 v37, 0x878
	ds_read2_b64 v[37:40], v37 offset1:1
	ds_read2_b64 v[55:58], v42 offset0:167 offset1:223
	v_fma_f64 v[81:82], -v[7:8], v[59:60], v[61:62]
	v_mov_b32_e32 v59, 0x868
	ds_read2_b64 v[59:62], v59 offset1:1
	ds_read_b128 v[69:72], v42 offset:1968
	v_fma_f64 v[63:64], -v[25:26], v[49:50], v[51:52]
	s_waitcnt lgkmcnt(2)
	v_fma_f64 v[35:36], -v[1:2], v[57:58], v[35:36]
	v_fma_f64 v[39:40], -v[15:16], v[39:40], v[73:74]
	ds_read_b128 v[73:76], v42 offset:1952
	ds_read2_b64 v[77:80], v42 offset0:221 offset1:222
	v_fma_f64 v[53:54], -v[23:24], v[53:54], v[83:84]
	s_waitcnt lgkmcnt(2)
	v_fma_f64 v[57:58], -v[9:10], v[71:72], v[81:82]
	ds_read2_b64 v[49:52], v42 offset0:219 offset1:220
	v_mul_f64 v[31:32], v[45:46], v[31:32]
	v_fma_f64 v[47:48], -v[27:28], v[67:68], v[63:64]
	s_waitcnt lgkmcnt(1)
	v_fma_f64 v[35:36], -v[3:4], v[79:80], v[35:36]
	v_fma_f64 v[39:40], -v[17:18], v[37:38], v[39:40]
	ds_read_b128 v[79:82], v42 offset:2352
	v_mov_b32_e32 v37, 0x9f8
	v_fma_f64 v[57:58], -v[11:12], v[69:70], v[57:58]
	s_waitcnt lgkmcnt(0)
	v_fma_f64 v[67:68], -v[25:26], v[81:82], v[53:54]
	v_fma_f64 v[63:64], -v[5:6], v[77:78], v[35:36]
	;; [unrolled: 1-line block ×4, first 2 shown]
	ds_read_b128 v[45:48], v42 offset:2336
	v_fma_f64 v[57:58], -v[13:14], v[75:76], v[57:58]
	ds_read2_b64 v[35:38], v37 offset1:1
	v_fma_f64 v[79:80], -v[27:28], v[79:80], v[67:68]
	v_fma_f64 v[65:66], -v[7:8], v[51:52], v[63:64]
	ds_read_b128 v[51:54], v42 offset:1552
	ds_read_b128 v[61:64], v42 offset:1936
	v_fma_f64 v[81:82], -v[21:22], v[59:60], v[39:40]
	v_fma_f64 v[39:40], -v[15:16], v[73:74], v[57:58]
	ds_read_b128 v[57:60], v42 offset:1536
	s_waitcnt lgkmcnt(2)
	v_fma_f64 v[33:34], -v[1:2], v[53:54], v[33:34]
	v_fma_f64 v[47:48], -v[29:30], v[47:48], v[79:80]
	;; [unrolled: 1-line block ×3, first 2 shown]
	v_mov_b32_e32 v49, 0x858
	ds_read2_b64 v[65:68], v49 offset1:1
	ds_read2_b64 v[69:72], v42 offset0:217 offset1:218
	ds_read_b128 v[73:76], v42 offset:1920
	s_waitcnt lgkmcnt(4)
	v_fma_f64 v[63:64], -v[17:18], v[63:64], v[39:40]
	s_waitcnt lgkmcnt(2)
	v_fma_f64 v[67:68], -v[23:24], v[67:68], v[81:82]
	v_fma_f64 v[33:34], -v[3:4], v[51:52], v[33:34]
	ds_read2_b64 v[49:52], v42 offset0:215 offset1:216
	s_waitcnt lgkmcnt(2)
	v_fma_f64 v[53:54], -v[11:12], v[71:72], v[53:54]
	v_fma_f64 v[71:72], -v[31:32], v[37:38], v[77:78]
	v_mov_b32_e32 v37, 0x848
	ds_read2_b64 v[37:40], v37 offset1:1
	v_fma_f64 v[63:64], -v[19:20], v[61:62], v[63:64]
	v_fma_f64 v[65:66], -v[25:26], v[65:66], v[67:68]
	;; [unrolled: 1-line block ×3, first 2 shown]
	ds_read_b128 v[59:62], v42 offset:2320
	v_fma_f64 v[53:54], -v[13:14], v[69:70], v[53:54]
	v_mul_f64 v[33:34], v[35:36], v[71:72]
	v_fma_f64 v[35:36], -v[31:32], v[45:46], v[47:48]
	ds_read2_b64 v[45:48], v87 offset0:112 offset1:140
	s_waitcnt lgkmcnt(4)
	v_fma_f64 v[69:70], -v[21:22], v[75:76], v[63:64]
	v_fma_f64 v[67:68], -v[7:8], v[57:58], v[77:78]
	s_waitcnt lgkmcnt(0)
	v_fma_f64 v[47:48], -v[1:2], v[55:56], v[47:48]
	v_fma_f64 v[71:72], -v[15:16], v[51:52], v[53:54]
	ds_read_b128 v[51:54], v42 offset:1520
	v_fma_f64 v[75:76], -v[33:34], v[61:62], v[35:36]
	ds_read_b128 v[55:58], v42 offset:1504
	ds_read2_b64 v[61:64], v42 offset0:165 offset1:166
	v_fma_f64 v[39:40], -v[27:28], v[39:40], v[65:66]
	v_fma_f64 v[73:74], -v[23:24], v[73:74], v[69:70]
	s_waitcnt lgkmcnt(2)
	v_fma_f64 v[35:36], -v[9:10], v[53:54], v[67:68]
	s_waitcnt lgkmcnt(0)
	v_fma_f64 v[77:78], -v[3:4], v[63:64], v[47:48]
	v_fma_f64 v[71:72], -v[17:18], v[49:50], v[71:72]
	ds_read2_b64 v[47:50], v42 offset0:213 offset1:214
	ds_read_b128 v[63:66], v42 offset:1888
	ds_read_b128 v[67:70], v42 offset:1904
	v_fma_f64 v[81:82], -v[29:30], v[37:38], v[39:40]
	v_fma_f64 v[79:80], -v[11:12], v[51:52], v[35:36]
	ds_read2_b64 v[35:38], v42 offset0:163 offset1:164
	v_fma_f64 v[39:40], -v[5:6], v[61:62], v[77:78]
	s_waitcnt lgkmcnt(1)
	v_fma_f64 v[61:62], -v[25:26], v[69:70], v[73:74]
	v_fma_f64 v[49:50], -v[19:20], v[49:50], v[71:72]
	ds_read2_b64 v[51:54], v42 offset0:211 offset1:212
	v_mov_b32_e32 v71, 0x838
	ds_read2_b64 v[69:72], v71 offset1:1
	v_fma_f64 v[57:58], -v[13:14], v[57:58], v[79:80]
	v_fma_f64 v[61:62], -v[27:28], v[67:68], v[61:62]
	;; [unrolled: 1-line block ×3, first 2 shown]
	ds_read2_b64 v[47:50], v42 offset0:161 offset1:162
	v_fma_f64 v[57:58], -v[15:16], v[55:56], v[57:58]
	v_fma_f64 v[61:62], -v[29:30], v[65:66], v[61:62]
	ds_read_b128 v[65:68], v42 offset:1472
	s_waitcnt lgkmcnt(4)
	v_fma_f64 v[77:78], -v[7:8], v[37:38], v[39:40]
	s_waitcnt lgkmcnt(3)
	v_fma_f64 v[73:74], -v[23:24], v[53:54], v[73:74]
	ds_read_b128 v[53:56], v42 offset:1488
	s_waitcnt lgkmcnt(3)
	v_fma_f64 v[71:72], -v[31:32], v[71:72], v[81:82]
	v_mov_b32_e32 v37, 0x828
	ds_read2_b64 v[37:40], v37 offset1:1
	v_fma_f64 v[63:64], -v[31:32], v[63:64], v[61:62]
	s_waitcnt lgkmcnt(1)
	v_fma_f64 v[79:80], -v[17:18], v[55:56], v[57:58]
	v_fma_f64 v[77:78], -v[9:10], v[35:36], v[77:78]
	v_mul_f64 v[35:36], v[59:60], v[75:76]
	v_fma_f64 v[73:74], -v[25:26], v[51:52], v[73:74]
	v_fma_f64 v[81:82], -v[33:34], v[69:70], v[71:72]
	;; [unrolled: 1-line block ×4, first 2 shown]
	ds_read_b128 v[49:52], v42 offset:1872
	ds_read2_b64 v[55:58], v42 offset0:209 offset1:210
	ds_read2_b64 v[59:62], v42 offset0:207 offset1:208
	ds_read_b128 v[69:72], v42 offset:1104
	s_waitcnt lgkmcnt(4)
	v_fma_f64 v[39:40], -v[35:36], v[39:40], v[81:82]
	s_waitcnt lgkmcnt(3)
	v_fma_f64 v[63:64], -v[33:34], v[51:52], v[63:64]
	;; [unrolled: 2-line block ×4, first 2 shown]
	v_fma_f64 v[83:84], -v[13:14], v[47:48], v[75:76]
	ds_read2_b64 v[73:76], v42 offset0:159 offset1:160
	ds_read_b128 v[77:80], v42 offset:1088
	v_fma_f64 v[67:68], -v[21:22], v[67:68], v[53:54]
	v_mul_f64 v[37:38], v[37:38], v[39:40]
	ds_read2_b64 v[45:48], v42 offset0:157 offset1:158
	v_fma_f64 v[39:40], -v[35:36], v[49:50], v[63:64]
	v_fma_f64 v[81:82], -v[29:30], v[55:56], v[57:58]
	;; [unrolled: 1-line block ×3, first 2 shown]
	s_waitcnt lgkmcnt(2)
	v_fma_f64 v[75:76], -v[15:16], v[75:76], v[83:84]
	ds_read_b128 v[51:54], v42 offset:1856
	ds_read_b128 v[55:58], v42 offset:1456
	v_fma_f64 v[65:66], -v[23:24], v[65:66], v[67:68]
	v_fma_f64 v[71:72], -v[31:32], v[61:62], v[81:82]
	s_waitcnt lgkmcnt(3)
	v_fma_f64 v[69:70], -v[5:6], v[79:80], v[69:70]
	v_fma_f64 v[49:50], -v[17:18], v[73:74], v[75:76]
	ds_read_b128 v[61:64], v42 offset:1440
	s_waitcnt lgkmcnt(2)
	v_fma_f64 v[39:40], -v[37:38], v[53:54], v[39:40]
	s_waitcnt lgkmcnt(1)
	v_fma_f64 v[57:58], -v[25:26], v[57:58], v[65:66]
	ds_read2_b64 v[65:68], v87 offset0:56 offset1:84
	v_fma_f64 v[81:82], -v[33:34], v[59:60], v[71:72]
	v_fma_f64 v[77:78], -v[7:8], v[77:78], v[69:70]
	;; [unrolled: 1-line block ×3, first 2 shown]
	v_mul_f64 v[39:40], v[51:52], v[39:40]
	v_fma_f64 v[83:84], -v[27:28], v[55:56], v[57:58]
	ds_read_b128 v[47:50], v42 offset:1072
	ds_read2_b64 v[53:56], v42 offset0:205 offset1:206
	ds_read2_b64 v[57:60], v42 offset0:203 offset1:204
	s_waitcnt lgkmcnt(2)
	v_fma_f64 v[49:50], -v[9:10], v[49:50], v[77:78]
	v_fma_f64 v[45:46], -v[21:22], v[45:46], v[73:74]
	ds_read_b128 v[69:72], v42 offset:1056
	ds_read2_b64 v[73:76], v42 offset0:55 offset1:111
	ds_read2_b64 v[77:80], v42 offset0:155 offset1:156
	s_waitcnt lgkmcnt(4)
	v_fma_f64 v[55:56], -v[35:36], v[55:56], v[81:82]
	v_fma_f64 v[63:64], -v[29:30], v[63:64], v[83:84]
	ds_read2_b64 v[81:84], v42 offset0:153 offset1:154
	s_waitcnt lgkmcnt(2)
	v_fma_f64 v[67:68], -v[1:2], v[75:76], v[67:68]
	ds_read2_b64 v[88:91], v42 offset0:109 offset1:110
	s_waitcnt lgkmcnt(2)
	v_fma_f64 v[75:76], -v[23:24], v[79:80], v[45:46]
	v_fma_f64 v[79:80], -v[11:12], v[47:48], v[49:50]
	ds_read_b128 v[45:48], v42 offset:1392
	ds_read2_b64 v[49:52], v42 offset0:107 offset1:108
	v_fma_f64 v[85:86], -v[37:38], v[53:54], v[55:56]
	v_fma_f64 v[92:93], -v[31:32], v[61:62], v[63:64]
	s_waitcnt lgkmcnt(2)
	v_fma_f64 v[67:68], -v[3:4], v[90:91], v[67:68]
	v_fma_f64 v[94:95], -v[25:26], v[77:78], v[75:76]
	ds_read_b128 v[53:56], v42 offset:656
	ds_read_b128 v[61:64], v42 offset:1408
	;; [unrolled: 1-line block ×3, first 2 shown]
	v_fma_f64 v[71:72], -v[13:14], v[71:72], v[79:80]
	s_waitcnt lgkmcnt(2)
	v_fma_f64 v[55:56], -v[1:2], v[55:56], v[65:66]
	v_fma_f64 v[59:60], -v[39:40], v[59:60], v[85:86]
	;; [unrolled: 1-line block ×3, first 2 shown]
	ds_read2_b64 v[65:68], v87 offset1:28
	s_waitcnt lgkmcnt(1)
	v_fma_f64 v[77:78], -v[33:34], v[77:78], v[92:93]
	ds_read_b128 v[88:91], v42 offset:640
	v_fma_f64 v[96:97], -v[15:16], v[69:70], v[71:72]
	ds_read_b128 v[69:72], v42 offset:1040
	v_fma_f64 v[55:56], -v[3:4], v[53:54], v[55:56]
	s_waitcnt lgkmcnt(2)
	v_fma_f64 v[67:68], -v[1:2], v[73:74], v[67:68]
	v_fma_f64 v[79:80], -v[7:8], v[51:52], v[79:80]
	ds_read_b128 v[51:54], v42 offset:1024
	v_fma_f64 v[98:99], -v[35:36], v[75:76], v[77:78]
	ds_read_b128 v[75:78], v42 offset:208
	s_waitcnt lgkmcnt(2)
	v_fma_f64 v[85:86], -v[17:18], v[71:72], v[96:97]
	ds_read2_b64 v[71:74], v42 offset0:53 offset1:54
	v_fma_f64 v[55:56], -v[5:6], v[90:91], v[55:56]
	v_fma_f64 v[83:84], -v[27:28], v[83:84], v[94:95]
	;; [unrolled: 1-line block ×3, first 2 shown]
	s_waitcnt lgkmcnt(1)
	v_fma_f64 v[65:66], -v[1:2], v[77:78], v[65:66]
	s_waitcnt lgkmcnt(0)
	v_fma_f64 v[73:74], -v[3:4], v[73:74], v[67:68]
	v_fma_f64 v[92:93], -v[19:20], v[69:70], v[85:86]
	;; [unrolled: 1-line block ×4, first 2 shown]
	ds_read2_b64 v[67:70], v42 offset0:105 offset1:106
	ds_read_b128 v[79:82], v42 offset:192
	ds_read_b128 v[88:91], v42 offset:624
	v_fma_f64 v[73:74], -v[5:6], v[71:72], v[73:74]
	v_fma_f64 v[100:101], -v[3:4], v[75:76], v[65:66]
	s_waitcnt lgkmcnt(2)
	v_fma_f64 v[49:50], -v[11:12], v[69:70], v[49:50]
	v_fma_f64 v[96:97], -v[21:22], v[53:54], v[92:93]
	ds_read2_b64 v[53:56], v42 offset0:51 offset1:52
	ds_read_b128 v[69:72], v42 offset:608
	s_waitcnt lgkmcnt(2)
	v_fma_f64 v[77:78], -v[9:10], v[90:91], v[77:78]
	ds_read2_b64 v[83:86], v42 offset0:103 offset1:104
	v_fma_f64 v[81:82], -v[5:6], v[81:82], v[100:101]
	v_fma_f64 v[102:103], -v[13:14], v[67:68], v[49:50]
	ds_read2_b64 v[65:68], v42 offset0:49 offset1:50
	s_waitcnt lgkmcnt(3)
	v_fma_f64 v[55:56], -v[7:8], v[55:56], v[73:74]
	ds_read2_b64 v[73:76], v42 offset0:151 offset1:152
	ds_read2_b64 v[90:93], v42 offset0:149 offset1:150
	v_fma_f64 v[77:78], -v[11:12], v[88:89], v[77:78]
	v_fma_f64 v[96:97], -v[23:24], v[51:52], v[96:97]
	ds_read_b128 v[49:52], v42 offset:1008
	s_waitcnt lgkmcnt(2)
	v_fma_f64 v[88:89], -v[31:32], v[75:76], v[94:95]
	v_fma_f64 v[85:86], -v[15:16], v[85:86], v[102:103]
	;; [unrolled: 1-line block ×4, first 2 shown]
	ds_read_b128 v[53:56], v42 offset:992
	v_fma_f64 v[71:72], -v[13:14], v[71:72], v[77:78]
	ds_read_b128 v[75:78], v42 offset:176
	s_waitcnt lgkmcnt(2)
	v_fma_f64 v[51:52], -v[25:26], v[51:52], v[96:97]
	ds_read2_b64 v[79:82], v42 offset0:101 offset1:102
	v_fma_f64 v[96:97], -v[17:18], v[83:84], v[85:86]
	ds_read_b128 v[83:86], v42 offset:160
	v_fma_f64 v[94:95], -v[11:12], v[67:68], v[94:95]
	s_waitcnt lgkmcnt(2)
	v_fma_f64 v[77:78], -v[9:10], v[77:78], v[100:101]
	v_fma_f64 v[71:72], -v[15:16], v[69:70], v[71:72]
	ds_read_b128 v[67:70], v42 offset:592
	v_fma_f64 v[100:101], -v[27:28], v[49:50], v[51:52]
	ds_read2_b64 v[49:52], v42 offset0:99 offset1:100
	s_waitcnt lgkmcnt(3)
	v_fma_f64 v[81:82], -v[19:20], v[81:82], v[96:97]
	v_fma_f64 v[73:74], -v[33:34], v[73:74], v[88:89]
	;; [unrolled: 1-line block ×4, first 2 shown]
	ds_read2_b64 v[75:78], v42 offset0:47 offset1:48
	ds_read_b128 v[94:97], v42 offset:576
	s_waitcnt lgkmcnt(3)
	v_fma_f64 v[69:70], -v[17:18], v[69:70], v[71:72]
	v_fma_f64 v[71:72], -v[37:38], v[63:64], v[98:99]
	;; [unrolled: 1-line block ×3, first 2 shown]
	ds_read2_b64 v[63:66], v42 offset0:45 offset1:46
	s_waitcnt lgkmcnt(2)
	v_fma_f64 v[77:78], -v[15:16], v[77:78], v[102:103]
	v_fma_f64 v[81:82], -v[13:14], v[85:86], v[104:105]
	;; [unrolled: 1-line block ×3, first 2 shown]
	v_mul_f64 v[85:86], v[57:58], v[59:60]
	v_fma_f64 v[67:68], -v[19:20], v[67:68], v[69:70]
	v_fma_f64 v[98:99], -v[39:40], v[61:62], v[71:72]
	;; [unrolled: 1-line block ×7, first 2 shown]
	ds_read_b128 v[51:54], v42 offset:144
	s_waitcnt lgkmcnt(2)
	v_fma_f64 v[73:74], -v[21:22], v[96:97], v[67:68]
	v_fma_f64 v[49:50], -v[25:26], v[49:50], v[57:58]
	ds_read2_b64 v[55:58], v42 offset0:97 offset1:98
	s_waitcnt lgkmcnt(2)
	v_fma_f64 v[81:82], -v[19:20], v[65:66], v[59:60]
	ds_read_b128 v[59:62], v42 offset:128
	s_waitcnt lgkmcnt(2)
	v_fma_f64 v[53:54], -v[17:18], v[53:54], v[69:70]
	ds_read_b128 v[65:68], v42 offset:960
	ds_read_b128 v[69:72], v42 offset:976
	v_fma_f64 v[92:93], -v[23:24], v[94:95], v[73:74]
	ds_read2_b64 v[73:76], v42 offset0:95 offset1:96
	ds_read_b128 v[77:80], v42 offset:560
	s_waitcnt lgkmcnt(5)
	v_fma_f64 v[57:58], -v[27:28], v[57:58], v[49:50]
	v_fma_f64 v[63:64], -v[21:22], v[63:64], v[81:82]
	ds_read_b128 v[81:84], v42 offset:544
	v_fma_f64 v[53:54], -v[19:20], v[51:52], v[53:54]
	ds_read2_b64 v[49:52], v42 offset0:43 offset1:44
	s_waitcnt lgkmcnt(2)
	v_fma_f64 v[79:80], -v[25:26], v[79:80], v[92:93]
	v_fma_f64 v[71:72], -v[33:34], v[71:72], v[100:101]
	;; [unrolled: 1-line block ×4, first 2 shown]
	s_waitcnt lgkmcnt(0)
	v_fma_f64 v[63:64], -v[23:24], v[51:52], v[63:64]
	ds_read2_b64 v[88:91], v42 offset0:147 offset1:148
	ds_read2_b64 v[92:95], v42 offset0:41 offset1:42
	v_fma_f64 v[61:62], -v[21:22], v[61:62], v[53:54]
	ds_read2_b64 v[51:54], v42 offset0:145 offset1:146
	v_fma_f64 v[57:58], -v[27:28], v[77:78], v[79:80]
	v_fma_f64 v[77:78], -v[85:86], v[47:48], v[98:99]
	;; [unrolled: 1-line block ×3, first 2 shown]
	s_waitcnt lgkmcnt(2)
	v_fma_f64 v[79:80], -v[39:40], v[90:91], v[96:97]
	v_fma_f64 v[63:64], -v[25:26], v[49:50], v[63:64]
	ds_read_b128 v[47:50], v42 offset:112
	v_fma_f64 v[59:60], -v[23:24], v[59:60], v[61:62]
	v_fma_f64 v[61:62], -v[31:32], v[75:76], v[55:56]
	;; [unrolled: 1-line block ×3, first 2 shown]
	v_mul_f64 v[77:78], v[45:46], v[77:78]
	ds_read_b128 v[55:58], v42 offset:96
	v_fma_f64 v[83:84], -v[37:38], v[67:68], v[69:70]
	s_waitcnt lgkmcnt(3)
	v_fma_f64 v[45:46], -v[27:28], v[94:95], v[63:64]
	v_fma_f64 v[79:80], -v[85:86], v[88:89], v[79:80]
	s_waitcnt lgkmcnt(1)
	v_fma_f64 v[49:50], -v[25:26], v[49:50], v[59:60]
	v_fma_f64 v[63:64], -v[33:34], v[73:74], v[61:62]
	;; [unrolled: 1-line block ×3, first 2 shown]
	ds_read2_b64 v[59:62], v42 offset0:93 offset1:94
	ds_read2_b64 v[67:70], v42 offset0:91 offset1:92
	ds_read_b128 v[71:74], v42 offset:528
	v_fma_f64 v[65:66], -v[39:40], v[65:66], v[83:84]
	v_fma_f64 v[81:82], -v[29:30], v[92:93], v[45:46]
	;; [unrolled: 1-line block ×4, first 2 shown]
	ds_read2_b64 v[45:48], v42 offset0:39 offset1:40
	s_waitcnt lgkmcnt(3)
	v_fma_f64 v[88:89], -v[35:36], v[61:62], v[63:64]
	ds_read_b128 v[61:64], v42 offset:512
	s_waitcnt lgkmcnt(2)
	v_fma_f64 v[90:91], -v[33:34], v[73:74], v[75:76]
	ds_read2_b64 v[73:76], v42 offset0:37 offset1:38
	s_waitcnt lgkmcnt(2)
	v_fma_f64 v[81:82], -v[31:32], v[47:48], v[81:82]
	v_mul_f64 v[79:80], v[51:52], v[79:80]
	v_fma_f64 v[57:58], -v[29:30], v[57:58], v[49:50]
	ds_read_b128 v[47:50], v42 offset:944
	v_fma_f64 v[59:60], -v[37:38], v[59:60], v[88:89]
	v_fma_f64 v[71:72], -v[35:36], v[71:72], v[90:91]
	;; [unrolled: 1-line block ×3, first 2 shown]
	s_waitcnt lgkmcnt(0)
	v_fma_f64 v[65:66], -v[85:86], v[49:50], v[65:66]
	v_fma_f64 v[57:58], -v[31:32], v[55:56], v[57:58]
	ds_read_b128 v[53:56], v42 offset:80
	ds_read_b128 v[49:52], v42 offset:64
	v_fma_f64 v[59:60], -v[39:40], v[69:70], v[59:60]
	v_fma_f64 v[63:64], -v[37:38], v[63:64], v[71:72]
	;; [unrolled: 1-line block ×4, first 2 shown]
	s_waitcnt lgkmcnt(1)
	v_fma_f64 v[71:72], -v[33:34], v[55:56], v[57:58]
	ds_read_b128 v[45:48], v42 offset:928
	ds_read2_b64 v[55:58], v42 offset0:89 offset1:90
	v_fma_f64 v[75:76], -v[85:86], v[67:68], v[59:60]
	v_fma_f64 v[81:82], -v[39:40], v[61:62], v[63:64]
	ds_read_b128 v[59:62], v42 offset:496
	v_fma_f64 v[83:84], -v[37:38], v[73:74], v[69:70]
	s_waitcnt lgkmcnt(2)
	v_fma_f64 v[47:48], -v[79:80], v[47:48], v[65:66]
	v_fma_f64 v[53:54], -v[35:36], v[53:54], v[71:72]
	ds_read2_b64 v[63:66], v42 offset0:35 offset1:36
	ds_read2_b64 v[67:70], v42 offset0:87 offset1:88
	;; [unrolled: 1-line block ×3, first 2 shown]
	s_waitcnt lgkmcnt(4)
	v_fma_f64 v[57:58], -v[77:78], v[57:58], v[75:76]
	s_waitcnt lgkmcnt(3)
	v_fma_f64 v[61:62], -v[85:86], v[61:62], v[81:82]
	;; [unrolled: 2-line block ×3, first 2 shown]
	v_mul_f64 v[75:76], v[45:46], v[47:48]
	v_fma_f64 v[51:52], -v[37:38], v[51:52], v[53:54]
	ds_read_b128 v[45:48], v42 offset:480
	v_fma_f64 v[53:54], -v[79:80], v[55:56], v[57:58]
	v_fma_f64 v[55:56], -v[77:78], v[59:60], v[61:62]
	;; [unrolled: 1-line block ×4, first 2 shown]
	ds_read_b128 v[49:52], v42 offset:48
	s_waitcnt lgkmcnt(3)
	v_fma_f64 v[53:54], -v[75:76], v[69:70], v[53:54]
	s_waitcnt lgkmcnt(1)
	v_fma_f64 v[47:48], -v[79:80], v[47:48], v[55:56]
	v_fma_f64 v[55:56], -v[77:78], v[73:74], v[57:58]
	s_waitcnt lgkmcnt(0)
	v_fma_f64 v[51:52], -v[85:86], v[51:52], v[59:60]
	v_mul_f64 v[61:62], v[67:68], v[53:54]
	v_fma_f64 v[57:58], -v[75:76], v[45:46], v[47:48]
	ds_read_b128 v[45:48], v42 offset:464
	v_fma_f64 v[63:64], -v[79:80], v[71:72], v[55:56]
	v_fma_f64 v[65:66], -v[77:78], v[49:50], v[51:52]
	ds_read2_b64 v[49:52], v42 offset0:31 offset1:32
	ds_read_b128 v[53:56], v42 offset:32
	s_waitcnt lgkmcnt(2)
	v_fma_f64 v[47:48], -v[61:62], v[47:48], v[57:58]
	ds_read2_b64 v[57:60], v42 offset0:29 offset1:30
	s_waitcnt lgkmcnt(2)
	v_fma_f64 v[51:52], -v[75:76], v[51:52], v[63:64]
	s_waitcnt lgkmcnt(1)
	v_fma_f64 v[55:56], -v[79:80], v[55:56], v[65:66]
	v_mul_f64 v[63:64], v[45:46], v[47:48]
	ds_read_b128 v[45:48], v42 offset:16
	v_fma_f64 v[49:50], -v[61:62], v[49:50], v[51:52]
	v_fma_f64 v[51:52], -v[75:76], v[53:54], v[55:56]
	s_waitcnt lgkmcnt(0)
	v_fma_f64 v[47:48], -v[61:62], v[47:48], v[51:52]
	v_fma_f64 v[51:52], -v[63:64], v[45:46], v[47:48]
	ds_read_b128 v[45:48], v42
	v_fma_f64 v[49:50], -v[63:64], v[59:60], v[49:50]
	ds_write2_b64 v41, v[3:4], v[1:2] offset0:216 offset1:244
	ds_write2_b64 v41, v[7:8], v[5:6] offset0:160 offset1:188
	ds_write2_b64 v41, v[11:12], v[9:10] offset0:104 offset1:132
	ds_write2_b64 v41, v[15:16], v[13:14] offset0:48 offset1:76
	ds_write2_b64 v44, v[19:20], v[17:18] offset0:120 offset1:148
	ds_write2_b64 v43, v[23:24], v[21:22] offset0:192 offset1:220
	v_mul_f64 v[49:50], v[57:58], v[49:50]
	s_waitcnt lgkmcnt(6)
	v_fma_f64 v[47:48], -v[49:50], v[47:48], v[51:52]
	v_mul_f64 v[1:2], v[45:46], v[47:48]
	ds_write2_b64 v43, v[27:28], v[25:26] offset0:136 offset1:164
	ds_write2_b64 v43, v[31:32], v[29:30] offset0:80 offset1:108
	ds_write2_b64 v43, v[35:36], v[33:34] offset0:24 offset1:52
	ds_write2_b64 v87, v[39:40], v[37:38] offset0:224 offset1:252
	ds_write2_b64 v87, v[77:78], v[85:86] offset0:168 offset1:196
	ds_write2_b64 v87, v[75:76], v[79:80] offset0:112 offset1:140
	ds_write2_b64 v87, v[63:64], v[61:62] offset0:56 offset1:84
	ds_write2_b64 v87, v[1:2], v[49:50] offset1:28
.LBB99_12:
	s_cmp_gt_i32 s5, -1
	s_cbranch_scc0 .LBB99_31
; %bb.13:
	s_cmp_lt_u32 s5, 23
	s_cbranch_scc1 .LBB99_18
; %bb.14:
	s_mul_i32 s11, s5, 0xe0
	v_add_u32_e32 v49, s11, v87
	v_add_u32_e32 v1, 0xffffff20, v49
	v_add_u32_e32 v2, 0xfffffe40, v49
	v_add_u32_e32 v3, 0xfffffd60, v49
	ds_read_b64 v[5:6], v49
	ds_read_b64 v[47:48], v1
	ds_read_b64 v[13:14], v2
	ds_read_b64 v[15:16], v3
	v_add_u32_e32 v1, 0xfffffc80, v49
	v_add_u32_e32 v2, 0xfffffba0, v49
	v_add_u32_e32 v3, 0xfffffac0, v49
	v_add_u32_e32 v4, 0xfffff9e0, v49
	ds_read_b64 v[45:46], v1
	ds_read_b64 v[9:10], v2
	ds_read_b64 v[21:22], v3
	ds_read_b64 v[11:12], v4
	;; [unrolled: 8-line block ×6, first 2 shown]
	s_cmp_le_i32 s4, s5
	s_cbranch_scc1 .LBB99_17
; %bb.15:
	s_mul_i32 s8, s22, 0xe0
	v_lshl_add_u32 v50, v0, 3, s8
	s_lshl_b32 s8, s22, 3
	s_add_i32 s8, s11, s8
	v_add_u32_e32 v50, 0x17a0, v50
	s_addk_i32 s8, 0xebd8
	s_mov_b32 s12, s4
.LBB99_16:                              ; =>This Inner Loop Header: Depth=1
	v_mov_b32_e32 v67, s8
	v_add_u32_e32 v75, 0x1000, v67
	v_add_u32_e32 v79, 0xc00, v67
	;; [unrolled: 1-line block ×3, first 2 shown]
	ds_read_b64 v[100:101], v50
	ds_read2_b64 v[51:54], v67 offset0:224 offset1:252
	ds_read2_b64 v[55:58], v67 offset0:168 offset1:196
	;; [unrolled: 1-line block ×4, first 2 shown]
	ds_read2_b64 v[67:70], v67 offset1:28
	ds_read2_b64 v[71:74], v75 offset0:104 offset1:132
	ds_read2_b64 v[75:78], v75 offset0:48 offset1:76
	;; [unrolled: 1-line block ×7, first 2 shown]
	s_add_i32 s12, s12, -1
	s_add_i32 s8, s8, -8
	s_cmp_gt_i32 s12, s5
	s_waitcnt lgkmcnt(11)
	v_fma_f64 v[35:36], -v[100:101], v[53:54], v[35:36]
	v_fma_f64 v[41:42], -v[100:101], v[51:52], v[41:42]
	s_waitcnt lgkmcnt(10)
	v_fma_f64 v[39:40], -v[100:101], v[57:58], v[39:40]
	v_fma_f64 v[37:38], -v[100:101], v[55:56], v[37:38]
	;; [unrolled: 3-line block ×12, first 2 shown]
	v_add_u32_e32 v50, 0xffffff20, v50
	s_cbranch_scc1 .LBB99_16
.LBB99_17:
	s_mul_i32 s8, s5, 0xe8
	v_mov_b32_e32 v50, s8
	ds_read_b64 v[54:55], v50
	s_addk_i32 s11, 0xff20
	s_lshl_b32 s8, s5, 3
	s_add_i32 s8, s11, s8
	s_add_i32 s12, s8, -8
	s_waitcnt lgkmcnt(0)
	v_mul_f64 v[5:6], v[54:55], v[5:6]
	v_mov_b32_e32 v50, s12
	ds_read2_b64 v[50:53], v50 offset1:1
	s_add_i32 s12, s8, 0xffffff20
	s_add_i32 s13, s8, 0xffffff10
	;; [unrolled: 1-line block ×5, first 2 shown]
	s_waitcnt lgkmcnt(0)
	v_fma_f64 v[47:48], -v[5:6], v[52:53], v[47:48]
	v_mov_b32_e32 v52, s12
	ds_read_b64 v[56:57], v52
	v_mov_b32_e32 v52, s13
	ds_read2_b64 v[52:55], v52 offset1:1
	s_add_i32 s12, s8, 0xfffffd50
	s_add_i32 s13, s8, 0xfffffc78
	s_waitcnt lgkmcnt(1)
	v_fma_f64 v[64:65], -v[5:6], v[56:57], v[13:14]
	v_mul_f64 v[13:14], v[50:51], v[47:48]
	v_mov_b32_e32 v47, s14
	ds_read2_b64 v[56:59], v47 offset1:1
	v_mov_b32_e32 v50, s16
	ds_read_b64 v[50:51], v50
	v_mov_b32_e32 v47, s15
	ds_read2_b64 v[60:63], v47 offset1:1
	s_waitcnt lgkmcnt(2)
	v_fma_f64 v[15:16], -v[5:6], v[58:59], v[15:16]
	v_fma_f64 v[47:48], -v[13:14], v[54:55], v[64:65]
	v_mov_b32_e32 v54, s12
	v_mov_b32_e32 v55, s13
	ds_read2_b64 v[64:67], v54 offset1:1
	ds_read2_b64 v[68:71], v55 offset1:1
	s_waitcnt lgkmcnt(3)
	v_fma_f64 v[50:51], -v[5:6], v[50:51], v[45:46]
	s_add_i32 s17, s8, 0xfffffd40
	s_add_i32 s12, s8, 0xfffffc68
	v_fma_f64 v[54:55], -v[13:14], v[56:57], v[15:16]
	v_mul_f64 v[15:16], v[52:53], v[47:48]
	s_waitcnt lgkmcnt(0)
	v_fma_f64 v[9:10], -v[5:6], v[70:71], v[9:10]
	s_add_i32 s13, s8, 0xfffffc58
	s_add_i32 s14, s8, 0xfffffba0
	v_fma_f64 v[58:59], -v[13:14], v[66:67], v[50:51]
	v_mov_b32_e32 v45, s17
	v_mov_b32_e32 v50, s12
	ds_read2_b64 v[45:48], v45 offset1:1
	v_fma_f64 v[62:63], -v[15:16], v[62:63], v[54:55]
	v_fma_f64 v[66:67], -v[13:14], v[68:69], v[9:10]
	v_mov_b32_e32 v9, s13
	v_mov_b32_e32 v68, s14
	ds_read2_b64 v[50:53], v50 offset1:1
	ds_read2_b64 v[54:57], v9 offset1:1
	v_fma_f64 v[64:65], -v[15:16], v[64:65], v[58:59]
	s_add_i32 s12, s8, 0xfffffb90
	v_mov_b32_e32 v58, s12
	v_mul_f64 v[9:10], v[60:61], v[62:63]
	ds_read_b64 v[62:63], v68
	s_waitcnt lgkmcnt(2)
	v_fma_f64 v[52:53], -v[15:16], v[52:53], v[66:67]
	ds_read2_b64 v[58:61], v58 offset1:1
	s_add_i32 s12, s8, 0xfffffab8
	s_add_i32 s13, s8, 0xfffffb70
	s_waitcnt lgkmcnt(1)
	v_fma_f64 v[21:22], -v[5:6], v[62:63], v[21:22]
	s_add_i32 s14, s8, 0xfffff3b8
	v_fma_f64 v[47:48], -v[9:10], v[47:48], v[64:65]
	v_add_u32_e32 v79, s11, v87
	v_fma_f64 v[64:65], -v[9:10], v[50:51], v[52:53]
	v_mov_b32_e32 v50, s12
	ds_read2_b64 v[50:53], v50 offset1:1
	s_add_i32 s12, s8, 0xfffffaa8
	s_waitcnt lgkmcnt(1)
	v_fma_f64 v[21:22], -v[13:14], v[60:61], v[21:22]
	v_mov_b32_e32 v60, s12
	s_add_i32 s12, s8, 0xfffffb80
	s_waitcnt lgkmcnt(0)
	v_fma_f64 v[52:53], -v[5:6], v[52:53], v[11:12]
	v_mul_f64 v[11:12], v[45:46], v[47:48]
	v_mov_b32_e32 v45, s12
	ds_read2_b64 v[45:48], v45 offset1:1
	s_add_i32 s12, s8, 0xfffff9e0
	v_fma_f64 v[21:22], -v[15:16], v[58:59], v[21:22]
	ds_read2_b64 v[60:63], v60 offset1:1
	s_add_i32 s11, s8, 0xffffefb8
	v_fma_f64 v[58:59], -v[13:14], v[50:51], v[52:53]
	v_mov_b32_e32 v50, s13
	ds_read2_b64 v[50:53], v50 offset1:1
	v_fma_f64 v[64:65], -v[11:12], v[56:57], v[64:65]
	s_add_i32 s13, s8, 0xfffff7f0
	s_waitcnt lgkmcnt(2)
	v_fma_f64 v[21:22], -v[9:10], v[47:48], v[21:22]
	v_mov_b32_e32 v47, s12
	ds_read_b64 v[47:48], v47
	s_add_i32 s12, s8, 0xfffff9d0
	v_mov_b32_e32 v56, s12
	s_waitcnt lgkmcnt(2)
	v_fma_f64 v[62:63], -v[15:16], v[62:63], v[58:59]
	ds_read2_b64 v[56:59], v56 offset1:1
	s_waitcnt lgkmcnt(1)
	v_fma_f64 v[47:48], -v[5:6], v[47:48], v[17:18]
	v_mul_f64 v[17:18], v[54:55], v[64:65]
	v_fma_f64 v[21:22], -v[11:12], v[45:46], v[21:22]
	s_add_i32 s12, s8, 0xfffffa98
	v_mov_b32_e32 v45, s12
	s_add_i32 s12, s8, 0xfffffa88
	v_fma_f64 v[60:61], -v[9:10], v[60:61], v[62:63]
	s_sub_i32 s5, s5, 24
	s_waitcnt lgkmcnt(0)
	v_fma_f64 v[58:59], -v[13:14], v[58:59], v[47:48]
	ds_read2_b64 v[45:48], v45 offset1:1
	v_fma_f64 v[21:22], -v[17:18], v[52:53], v[21:22]
	v_mov_b32_e32 v52, s12
	s_add_i32 s12, s8, 0xfffff9c0
	ds_read2_b64 v[52:55], v52 offset1:1
	s_waitcnt lgkmcnt(1)
	v_fma_f64 v[47:48], -v[11:12], v[47:48], v[60:61]
	v_fma_f64 v[68:69], -v[15:16], v[56:57], v[58:59]
	v_mov_b32_e32 v56, s12
	s_add_i32 s12, s8, 0xfffff9b0
	v_mov_b32_e32 v60, s12
	ds_read2_b64 v[56:59], v56 offset1:1
	ds_read2_b64 v[60:63], v60 offset1:1
	s_add_i32 s12, s8, 0xfffff8f8
	v_mov_b32_e32 v64, s12
	ds_read2_b64 v[64:67], v64 offset1:1
	s_waitcnt lgkmcnt(2)
	v_fma_f64 v[58:59], -v[9:10], v[58:59], v[68:69]
	s_add_i32 s12, s8, 0xfffff8e8
	v_mov_b32_e32 v68, s12
	ds_read2_b64 v[68:71], v68 offset1:1
	s_waitcnt lgkmcnt(1)
	v_fma_f64 v[66:67], -v[5:6], v[66:67], v[19:20]
	v_mul_f64 v[19:20], v[50:51], v[21:22]
	v_fma_f64 v[21:22], -v[17:18], v[45:46], v[47:48]
	s_add_i32 s12, s8, 0xfffff8d8
	v_fma_f64 v[45:46], -v[11:12], v[56:57], v[58:59]
	v_fma_f64 v[47:48], -v[13:14], v[64:65], v[66:67]
	v_fma_f64 v[21:22], -v[19:20], v[54:55], v[21:22]
	v_fma_f64 v[45:46], -v[17:18], v[62:63], v[45:46]
	v_mul_f64 v[21:22], v[52:53], v[21:22]
	v_fma_f64 v[66:67], -v[19:20], v[60:61], v[45:46]
	v_mov_b32_e32 v45, s12
	s_add_i32 s12, s8, 0xfffff820
	v_mov_b32_e32 v46, s12
	ds_read_b64 v[54:55], v46
	s_waitcnt lgkmcnt(1)
	v_fma_f64 v[47:48], -v[15:16], v[70:71], v[47:48]
	s_add_i32 s12, s8, 0xfffff8c8
	v_mov_b32_e32 v50, s12
	s_add_i32 s12, s8, 0xfffff810
	s_waitcnt lgkmcnt(0)
	v_fma_f64 v[43:44], -v[5:6], v[54:55], v[43:44]
	v_mov_b32_e32 v54, s12
	s_add_i32 s12, s8, 0xfffff800
	v_fma_f64 v[58:59], -v[9:10], v[68:69], v[47:48]
	ds_read2_b64 v[45:48], v45 offset1:1
	ds_read2_b64 v[50:53], v50 offset1:1
	;; [unrolled: 1-line block ×3, first 2 shown]
	s_waitcnt lgkmcnt(2)
	v_fma_f64 v[47:48], -v[11:12], v[47:48], v[58:59]
	v_mov_b32_e32 v58, s12
	ds_read2_b64 v[58:61], v58 offset1:1
	s_waitcnt lgkmcnt(1)
	v_fma_f64 v[56:57], -v[13:14], v[56:57], v[43:44]
	s_add_i32 s12, s8, 0xfffff9a0
	v_mov_b32_e32 v43, s12
	s_add_i32 s12, s8, 0xfffff738
	ds_read2_b64 v[62:65], v43 offset1:1
	v_mov_b32_e32 v43, s12
	v_fma_f64 v[47:48], -v[17:18], v[45:46], v[47:48]
	ds_read2_b64 v[43:46], v43 offset1:1
	v_fma_f64 v[68:69], -v[15:16], v[54:55], v[56:57]
	s_add_i32 s12, s8, 0xfffff728
	v_mov_b32_e32 v54, s12
	ds_read2_b64 v[54:57], v54 offset1:1
	s_waitcnt lgkmcnt(1)
	v_fma_f64 v[25:26], -v[5:6], v[45:46], v[25:26]
	v_fma_f64 v[45:46], -v[21:22], v[64:65], v[66:67]
	;; [unrolled: 1-line block ×3, first 2 shown]
	s_add_i32 s12, s8, 0xfffff8b8
	v_fma_f64 v[52:53], -v[9:10], v[60:61], v[68:69]
	v_mov_b32_e32 v68, s12
	s_add_i32 s12, s8, 0xfffff7e0
	v_fma_f64 v[43:44], -v[13:14], v[43:44], v[25:26]
	v_mul_f64 v[25:26], v[62:63], v[45:46]
	v_fma_f64 v[70:71], -v[21:22], v[50:51], v[47:48]
	v_mov_b32_e32 v50, s12
	v_fma_f64 v[47:48], -v[11:12], v[58:59], v[52:53]
	s_add_i32 s12, s8, 0xfffff718
	ds_read2_b64 v[50:53], v50 offset1:1
	s_waitcnt lgkmcnt(1)
	v_fma_f64 v[56:57], -v[15:16], v[56:57], v[43:44]
	v_mov_b32_e32 v43, s13
	ds_read2_b64 v[43:46], v43 offset1:1
	s_add_i32 s13, s8, 0xfffff568
	s_waitcnt lgkmcnt(0)
	v_fma_f64 v[66:67], -v[17:18], v[45:46], v[47:48]
	v_mov_b32_e32 v45, s12
	s_add_i32 s12, s8, 0xfffff660
	v_fma_f64 v[62:63], -v[9:10], v[54:55], v[56:57]
	v_mov_b32_e32 v46, s12
	ds_read_b64 v[58:59], v46
	s_add_i32 s12, s8, 0xfffff708
	v_mov_b32_e32 v54, s12
	ds_read2_b64 v[45:48], v45 offset1:1
	ds_read2_b64 v[54:57], v54 offset1:1
	s_add_i32 s12, s8, 0xfffff650
	s_waitcnt lgkmcnt(2)
	v_fma_f64 v[29:30], -v[5:6], v[58:59], v[29:30]
	v_mov_b32_e32 v58, s12
	s_waitcnt lgkmcnt(1)
	v_fma_f64 v[47:48], -v[11:12], v[47:48], v[62:63]
	ds_read2_b64 v[58:61], v58 offset1:1
	s_add_i32 s12, s8, 0xfffff640
	v_mov_b32_e32 v62, s12
	v_fma_f64 v[43:44], -v[19:20], v[43:44], v[66:67]
	ds_read2_b64 v[62:65], v62 offset1:1
	s_waitcnt lgkmcnt(1)
	v_fma_f64 v[29:30], -v[13:14], v[60:61], v[29:30]
	ds_read2_b64 v[66:69], v68 offset1:1
	v_fma_f64 v[45:46], -v[17:18], v[45:46], v[47:48]
	s_add_i32 s12, s8, 0xfffff7d0
	v_fma_f64 v[43:44], -v[21:22], v[52:53], v[43:44]
	s_waitcnt lgkmcnt(0)
	v_fma_f64 v[47:48], -v[25:26], v[68:69], v[70:71]
	v_fma_f64 v[58:59], -v[15:16], v[58:59], v[29:30]
	;; [unrolled: 1-line block ×4, first 2 shown]
	v_mov_b32_e32 v43, s12
	s_add_i32 s12, s8, 0xfffff6f8
	v_mul_f64 v[29:30], v[66:67], v[47:48]
	v_fma_f64 v[47:48], -v[9:10], v[64:65], v[58:59]
	v_mov_b32_e32 v64, s12
	s_add_i32 s12, s8, 0xfffff578
	v_mov_b32_e32 v50, s12
	v_fma_f64 v[72:73], -v[21:22], v[54:55], v[52:53]
	ds_read2_b64 v[50:53], v50 offset1:1
	v_mov_b32_e32 v54, s13
	ds_read2_b64 v[54:57], v54 offset1:1
	v_fma_f64 v[47:48], -v[11:12], v[62:63], v[47:48]
	s_add_i32 s12, s8, 0xfffff630
	s_waitcnt lgkmcnt(1)
	v_fma_f64 v[33:34], -v[5:6], v[52:53], v[33:34]
	v_mov_b32_e32 v52, s12
	ds_read2_b64 v[43:46], v43 offset1:1
	ds_read2_b64 v[58:61], v52 offset1:1
	;; [unrolled: 1-line block ×3, first 2 shown]
	s_add_i32 s12, s8, 0xfffff620
	v_mov_b32_e32 v52, s12
	ds_read2_b64 v[66:69], v52 offset1:1
	s_waitcnt lgkmcnt(2)
	v_fma_f64 v[47:48], -v[17:18], v[60:61], v[47:48]
	v_fma_f64 v[33:34], -v[13:14], v[50:51], v[33:34]
	s_waitcnt lgkmcnt(1)
	v_fma_f64 v[50:51], -v[25:26], v[64:65], v[72:73]
	v_fma_f64 v[45:46], -v[29:30], v[45:46], v[70:71]
	s_add_i32 s12, s8, 0xfffff6e8
	s_add_i32 s13, s8, 0xfffff538
	v_fma_f64 v[47:48], -v[19:20], v[58:59], v[47:48]
	v_fma_f64 v[52:53], -v[15:16], v[56:57], v[33:34]
	;; [unrolled: 1-line block ×3, first 2 shown]
	v_mov_b32_e32 v50, s12
	s_add_i32 s12, s8, 0xfffff558
	v_mul_f64 v[33:34], v[43:44], v[45:46]
	v_mov_b32_e32 v43, s12
	s_add_i32 s12, s8, 0xfffff548
	s_waitcnt lgkmcnt(0)
	v_fma_f64 v[47:48], -v[21:22], v[68:69], v[47:48]
	v_fma_f64 v[60:61], -v[9:10], v[54:55], v[52:53]
	ds_read2_b64 v[43:46], v43 offset1:1
	ds_read2_b64 v[50:53], v50 offset1:1
	v_mov_b32_e32 v54, s12
	s_add_i32 s12, s8, 0xfffff610
	ds_read2_b64 v[54:57], v54 offset1:1
	s_waitcnt lgkmcnt(1)
	v_fma_f64 v[52:53], -v[33:34], v[52:53], v[58:59]
	v_fma_f64 v[62:63], -v[25:26], v[66:67], v[47:48]
	;; [unrolled: 1-line block ×3, first 2 shown]
	v_mov_b32_e32 v45, s12
	s_add_i32 s12, s8, 0xfffff4a0
	v_mov_b32_e32 v64, s12
	ds_read_b64 v[64:65], v64
	s_add_i32 s12, s8, 0xfffff490
	v_mov_b32_e32 v58, s12
	ds_read2_b64 v[45:48], v45 offset1:1
	v_fma_f64 v[43:44], -v[17:18], v[43:44], v[60:61]
	s_waitcnt lgkmcnt(1)
	v_fma_f64 v[35:36], -v[5:6], v[64:65], v[35:36]
	ds_read2_b64 v[58:61], v58 offset1:1
	s_add_i32 s12, s8, 0xfffff480
	s_waitcnt lgkmcnt(1)
	v_fma_f64 v[47:48], -v[29:30], v[47:48], v[62:63]
	v_fma_f64 v[43:44], -v[19:20], v[56:57], v[43:44]
	v_mov_b32_e32 v56, s12
	ds_read2_b64 v[62:65], v56 offset1:1
	s_waitcnt lgkmcnt(1)
	v_fma_f64 v[56:57], -v[13:14], v[60:61], v[35:36]
	v_fma_f64 v[66:67], -v[33:34], v[45:46], v[47:48]
	v_mul_f64 v[35:36], v[50:51], v[52:53]
	v_mov_b32_e32 v50, s14
	ds_read2_b64 v[50:53], v50 offset1:1
	v_fma_f64 v[47:48], -v[21:22], v[54:55], v[43:44]
	s_add_i32 s14, s8, 0xfffff3a8
	v_mov_b32_e32 v43, s13
	v_fma_f64 v[54:55], -v[15:16], v[58:59], v[56:57]
	ds_read2_b64 v[43:46], v43 offset1:1
	s_add_i32 s12, s8, 0xfffff600
	s_add_i32 s13, s8, 0xfffff528
	s_waitcnt lgkmcnt(0)
	v_fma_f64 v[68:69], -v[25:26], v[45:46], v[47:48]
	v_mov_b32_e32 v45, s12
	v_fma_f64 v[64:65], -v[9:10], v[64:65], v[54:55]
	v_mov_b32_e32 v54, s14
	ds_read2_b64 v[54:57], v54 offset1:1
	v_fma_f64 v[41:42], -v[5:6], v[52:53], v[41:42]
	s_add_i32 s12, s8, 0xfffff470
	v_mov_b32_e32 v52, s13
	ds_read2_b64 v[58:61], v52 offset1:1
	v_fma_f64 v[43:44], -v[29:30], v[43:44], v[68:69]
	v_fma_f64 v[70:71], -v[11:12], v[62:63], v[64:65]
	ds_read2_b64 v[45:48], v45 offset1:1
	s_add_i32 s13, s8, 0xfffff450
	v_fma_f64 v[41:42], -v[13:14], v[50:51], v[41:42]
	v_mov_b32_e32 v50, s12
	ds_read2_b64 v[50:53], v50 offset1:1
	s_add_i32 s12, s8, 0xfffff460
	v_mov_b32_e32 v62, s12
	ds_read2_b64 v[62:65], v62 offset1:1
	s_add_i32 s12, s8, 0xfffff398
	s_waitcnt lgkmcnt(1)
	v_fma_f64 v[52:53], -v[17:18], v[52:53], v[70:71]
	v_fma_f64 v[41:42], -v[15:16], v[56:57], v[41:42]
	;; [unrolled: 1-line block ×4, first 2 shown]
	s_add_i32 s14, s8, 0xffffeff8
	v_fma_f64 v[60:61], -v[19:20], v[50:51], v[52:53]
	v_fma_f64 v[41:42], -v[9:10], v[54:55], v[41:42]
	v_mov_b32_e32 v50, s12
	s_add_i32 s12, s8, 0xfffff388
	v_mov_b32_e32 v54, s12
	s_add_i32 s12, s8, 0xfffff2e0
	v_mov_b32_e32 v66, s12
	ds_read2_b64 v[50:53], v50 offset1:1
	ds_read2_b64 v[54:57], v54 offset1:1
	ds_read_b64 v[66:67], v66
	s_add_i32 s12, s8, 0xfffff2d0
	v_fma_f64 v[72:73], -v[35:36], v[58:59], v[43:44]
	s_waitcnt lgkmcnt(2)
	v_fma_f64 v[52:53], -v[11:12], v[52:53], v[41:42]
	v_mov_b32_e32 v43, s12
	s_waitcnt lgkmcnt(0)
	v_fma_f64 v[39:40], -v[5:6], v[66:67], v[39:40]
	v_mul_f64 v[41:42], v[45:46], v[47:48]
	ds_read2_b64 v[43:46], v43 offset1:1
	s_add_i32 s12, s8, 0xfffff2c0
	v_fma_f64 v[47:48], -v[21:22], v[64:65], v[60:61]
	v_fma_f64 v[58:59], -v[17:18], v[50:51], v[52:53]
	v_mov_b32_e32 v50, s12
	ds_read2_b64 v[50:53], v50 offset1:1
	s_waitcnt lgkmcnt(1)
	v_fma_f64 v[39:40], -v[13:14], v[45:46], v[39:40]
	v_mov_b32_e32 v45, s13
	s_add_i32 s13, s8, 0xfffff440
	v_fma_f64 v[60:61], -v[25:26], v[62:63], v[47:48]
	ds_read2_b64 v[45:48], v45 offset1:1
	v_fma_f64 v[64:65], -v[19:20], v[56:57], v[58:59]
	s_add_i32 s12, s8, 0xfffff518
	v_fma_f64 v[39:40], -v[15:16], v[43:44], v[39:40]
	v_mov_b32_e32 v43, s13
	ds_read2_b64 v[56:59], v43 offset1:1
	s_waitcnt lgkmcnt(1)
	v_fma_f64 v[43:44], -v[29:30], v[47:48], v[60:61]
	v_mov_b32_e32 v47, s12
	ds_read2_b64 v[60:63], v47 offset1:1
	v_fma_f64 v[47:48], -v[21:22], v[54:55], v[64:65]
	s_add_i32 s12, s8, 0xfffff378
	v_fma_f64 v[39:40], -v[9:10], v[52:53], v[39:40]
	v_mov_b32_e32 v52, s12
	ds_read2_b64 v[52:55], v52 offset1:1
	s_add_i32 s12, s8, 0xfffff368
	v_fma_f64 v[74:75], -v[33:34], v[45:46], v[43:44]
	v_mov_b32_e32 v43, s12
	s_add_i32 s12, s8, 0xfffff1f8
	s_waitcnt lgkmcnt(0)
	v_fma_f64 v[47:48], -v[25:26], v[54:55], v[47:48]
	v_fma_f64 v[54:55], -v[11:12], v[50:51], v[39:40]
	v_mov_b32_e32 v39, s12
	ds_read2_b64 v[64:67], v39 offset1:1
	s_add_i32 s12, s8, 0xfffff2b0
	s_add_i32 s13, s8, 0xfffff1e8
	v_mov_b32_e32 v39, s13
	ds_read2_b64 v[68:71], v39 offset1:1
	s_waitcnt lgkmcnt(1)
	v_fma_f64 v[66:67], -v[5:6], v[66:67], v[37:38]
	v_mov_b32_e32 v37, s12
	ds_read2_b64 v[37:40], v37 offset1:1
	v_fma_f64 v[47:48], -v[29:30], v[52:53], v[47:48]
	s_add_i32 s12, s8, 0xfffff2a0
	v_fma_f64 v[62:63], -v[41:42], v[62:63], v[72:73]
	v_mov_b32_e32 v50, s12
	s_waitcnt lgkmcnt(0)
	v_fma_f64 v[39:40], -v[17:18], v[39:40], v[54:55]
	v_fma_f64 v[54:55], -v[13:14], v[64:65], v[66:67]
	ds_read2_b64 v[50:53], v50 offset1:1
	ds_read2_b64 v[43:46], v43 offset1:1
	v_fma_f64 v[58:59], -v[35:36], v[58:59], v[74:75]
	s_add_i32 s12, s8, 0xfffff430
	s_add_i32 s13, s8, 0xfffff1c8
	v_fma_f64 v[39:40], -v[19:20], v[37:38], v[39:40]
	v_fma_f64 v[54:55], -v[15:16], v[70:71], v[54:55]
	s_waitcnt lgkmcnt(0)
	v_fma_f64 v[64:65], -v[33:34], v[45:46], v[47:48]
	v_mul_f64 v[37:38], v[60:61], v[62:63]
	v_mov_b32_e32 v45, s12
	s_add_i32 s12, s8, 0xfffff1d8
	v_fma_f64 v[76:77], -v[41:42], v[56:57], v[58:59]
	v_mov_b32_e32 v56, s13
	v_fma_f64 v[39:40], -v[21:22], v[52:53], v[39:40]
	v_fma_f64 v[60:61], -v[9:10], v[68:69], v[54:55]
	v_mov_b32_e32 v52, s12
	ds_read2_b64 v[52:55], v52 offset1:1
	s_add_i32 s13, s8, 0xfffff120
	v_fma_f64 v[43:44], -v[35:36], v[43:44], v[64:65]
	ds_read2_b64 v[56:59], v56 offset1:1
	s_add_i32 s12, s8, 0xfffff358
	v_fma_f64 v[39:40], -v[25:26], v[50:51], v[39:40]
	v_mov_b32_e32 v50, s13
	ds_read_b64 v[64:65], v50
	s_waitcnt lgkmcnt(2)
	v_fma_f64 v[54:55], -v[11:12], v[54:55], v[60:61]
	s_add_i32 s13, s8, 0xfffff110
	v_mov_b32_e32 v60, s12
	s_add_i32 s12, s8, 0xfffff290
	s_waitcnt lgkmcnt(0)
	v_fma_f64 v[31:32], -v[5:6], v[64:65], v[31:32]
	v_mov_b32_e32 v64, s13
	ds_read2_b64 v[64:67], v64 offset1:1
	v_mov_b32_e32 v50, s12
	v_fma_f64 v[54:55], -v[17:18], v[52:53], v[54:55]
	ds_read2_b64 v[50:53], v50 offset1:1
	ds_read2_b64 v[60:63], v60 offset1:1
	s_add_i32 s13, s8, 0xfffff100
	s_waitcnt lgkmcnt(2)
	v_fma_f64 v[31:32], -v[13:14], v[66:67], v[31:32]
	s_add_i32 s12, s8, 0xfffff280
	s_waitcnt lgkmcnt(1)
	v_fma_f64 v[39:40], -v[29:30], v[52:53], v[39:40]
	s_waitcnt lgkmcnt(0)
	v_fma_f64 v[43:44], -v[41:42], v[62:63], v[43:44]
	v_fma_f64 v[54:55], -v[19:20], v[58:59], v[54:55]
	v_mov_b32_e32 v58, s13
	ds_read2_b64 v[68:71], v58 offset1:1
	v_mov_b32_e32 v58, s12
	v_fma_f64 v[31:32], -v[15:16], v[64:65], v[31:32]
	s_add_i32 s12, s8, 0xfffff1b8
	v_mov_b32_e32 v52, s12
	s_add_i32 s12, s8, 0xfffff1a8
	v_fma_f64 v[62:63], -v[21:22], v[56:57], v[54:55]
	ds_read2_b64 v[52:55], v52 offset1:1
	ds_read2_b64 v[45:48], v45 offset1:1
	v_fma_f64 v[39:40], -v[33:34], v[50:51], v[39:40]
	v_mov_b32_e32 v50, s12
	ds_read2_b64 v[72:75], v58 offset1:1
	ds_read2_b64 v[56:59], v50 offset1:1
	s_waitcnt lgkmcnt(2)
	v_fma_f64 v[47:48], -v[37:38], v[47:48], v[76:77]
	v_fma_f64 v[50:51], -v[25:26], v[54:55], v[62:63]
	;; [unrolled: 1-line block ×3, first 2 shown]
	s_add_i32 s12, s8, 0xfffff348
	v_fma_f64 v[64:65], -v[37:38], v[60:61], v[43:44]
	v_mov_b32_e32 v60, s12
	s_add_i32 s12, s8, 0xfffff0f0
	v_mov_b32_e32 v43, s12
	v_mul_f64 v[31:32], v[45:46], v[47:48]
	s_waitcnt lgkmcnt(1)
	v_fma_f64 v[39:40], -v[35:36], v[74:75], v[39:40]
	v_fma_f64 v[54:55], -v[11:12], v[68:69], v[54:55]
	;; [unrolled: 1-line block ×3, first 2 shown]
	ds_read2_b64 v[43:46], v43 offset1:1
	ds_read2_b64 v[50:53], v60 offset1:1
	s_add_i32 s12, s8, 0xfffff0e0
	v_mov_b32_e32 v60, s12
	s_add_i32 s12, s8, 0xfffff270
	s_add_i32 s13, s8, 0xfffff038
	v_fma_f64 v[39:40], -v[41:42], v[72:73], v[39:40]
	s_waitcnt lgkmcnt(1)
	v_fma_f64 v[54:55], -v[17:18], v[45:46], v[54:55]
	v_fma_f64 v[58:59], -v[33:34], v[58:59], v[47:48]
	v_mov_b32_e32 v45, s12
	ds_read2_b64 v[45:48], v45 offset1:1
	s_waitcnt lgkmcnt(1)
	v_fma_f64 v[74:75], -v[31:32], v[52:53], v[64:65]
	v_mov_b32_e32 v52, s13
	ds_read2_b64 v[60:63], v60 offset1:1
	s_add_i32 s13, s8, 0xfffff028
	v_fma_f64 v[43:44], -v[19:20], v[43:44], v[54:55]
	ds_read2_b64 v[52:55], v52 offset1:1
	s_waitcnt lgkmcnt(2)
	v_fma_f64 v[39:40], -v[37:38], v[47:48], v[39:40]
	v_fma_f64 v[47:48], -v[35:36], v[56:57], v[58:59]
	v_mov_b32_e32 v56, s13
	ds_read2_b64 v[56:59], v56 offset1:1
	s_waitcnt lgkmcnt(1)
	v_fma_f64 v[27:28], -v[5:6], v[54:55], v[27:28]
	s_add_i32 s12, s8, 0xfffff198
	v_fma_f64 v[43:44], -v[21:22], v[62:63], v[43:44]
	v_mov_b32_e32 v54, s12
	s_add_i32 s12, s8, 0xfffff188
	v_mov_b32_e32 v55, s12
	s_add_i32 s12, s8, 0xfffff0d0
	ds_read2_b64 v[62:65], v54 offset1:1
	ds_read2_b64 v[66:69], v55 offset1:1
	v_fma_f64 v[27:28], -v[13:14], v[52:53], v[27:28]
	v_mov_b32_e32 v52, s12
	v_fma_f64 v[43:44], -v[25:26], v[60:61], v[43:44]
	ds_read2_b64 v[52:55], v52 offset1:1
	s_add_i32 s12, s8, 0xfffff0c0
	v_mov_b32_e32 v60, s12
	ds_read2_b64 v[70:73], v60 offset1:1
	s_add_i32 s12, s8, 0xfffff260
	s_waitcnt lgkmcnt(4)
	v_fma_f64 v[58:59], -v[15:16], v[58:59], v[27:28]
	s_waitcnt lgkmcnt(3)
	v_fma_f64 v[47:48], -v[41:42], v[64:65], v[47:48]
	;; [unrolled: 2-line block ×3, first 2 shown]
	v_mov_b32_e32 v43, s12
	s_add_i32 s12, s8, 0xfffff018
	v_mul_f64 v[27:28], v[50:51], v[74:75]
	v_mov_b32_e32 v50, s12
	s_add_i32 s12, s8, 0xfffff008
	v_fma_f64 v[58:59], -v[9:10], v[56:57], v[58:59]
	v_fma_f64 v[39:40], -v[31:32], v[45:46], v[39:40]
	;; [unrolled: 1-line block ×3, first 2 shown]
	v_mov_b32_e32 v54, s12
	ds_read2_b64 v[43:46], v43 offset1:1
	ds_read2_b64 v[50:53], v50 offset1:1
	;; [unrolled: 1-line block ×3, first 2 shown]
	s_add_i32 s12, s8, 0xffffef60
	v_fma_f64 v[47:48], -v[37:38], v[62:63], v[47:48]
	v_mov_b32_e32 v62, s12
	s_waitcnt lgkmcnt(1)
	v_fma_f64 v[52:53], -v[11:12], v[52:53], v[58:59]
	ds_read_b64 v[62:63], v62
	s_add_i32 s12, s8, 0xffffef50
	v_fma_f64 v[39:40], -v[27:28], v[45:46], v[39:40]
	v_mov_b32_e32 v45, s12
	s_add_i32 s12, s8, 0xffffef40
	s_waitcnt lgkmcnt(0)
	v_fma_f64 v[23:24], -v[5:6], v[62:63], v[23:24]
	v_fma_f64 v[58:59], -v[31:32], v[68:69], v[47:48]
	;; [unrolled: 1-line block ×3, first 2 shown]
	ds_read2_b64 v[45:48], v45 offset1:1
	v_mov_b32_e32 v50, s12
	ds_read2_b64 v[50:53], v50 offset1:1
	v_fma_f64 v[60:61], -v[35:36], v[72:73], v[60:61]
	s_add_i32 s13, s8, 0xfffff0b0
	s_waitcnt lgkmcnt(1)
	v_fma_f64 v[47:48], -v[13:14], v[47:48], v[23:24]
	v_mul_f64 v[23:24], v[43:44], v[39:40]
	v_fma_f64 v[56:57], -v[19:20], v[56:57], v[62:63]
	v_fma_f64 v[39:40], -v[27:28], v[66:67], v[58:59]
	v_mov_b32_e32 v43, s13
	s_add_i32 s13, s8, 0xfffff0a0
	v_fma_f64 v[66:67], -v[41:42], v[70:71], v[60:61]
	s_add_i32 s12, s8, 0xfffff178
	v_fma_f64 v[47:48], -v[15:16], v[45:46], v[47:48]
	ds_read2_b64 v[43:46], v43 offset1:1
	v_fma_f64 v[62:63], -v[21:22], v[54:55], v[56:57]
	v_mov_b32_e32 v54, s14
	ds_read2_b64 v[54:57], v54 offset1:1
	s_add_i32 s14, s8, 0xffffefe8
	s_waitcnt lgkmcnt(1)
	v_fma_f64 v[66:67], -v[37:38], v[45:46], v[66:67]
	v_fma_f64 v[47:48], -v[9:10], v[52:53], v[47:48]
	v_mov_b32_e32 v52, s14
	ds_read2_b64 v[58:61], v52 offset1:1
	s_waitcnt lgkmcnt(1)
	v_fma_f64 v[52:53], -v[25:26], v[56:57], v[62:63]
	v_mov_b32_e32 v56, s13
	ds_read2_b64 v[62:65], v56 offset1:1
	s_add_i32 s13, s8, 0xffffef30
	v_mov_b32_e32 v45, s13
	v_fma_f64 v[56:57], -v[11:12], v[50:51], v[47:48]
	ds_read2_b64 v[45:48], v45 offset1:1
	v_fma_f64 v[70:71], -v[31:32], v[43:44], v[66:67]
	v_fma_f64 v[68:69], -v[29:30], v[54:55], v[52:53]
	v_mov_b32_e32 v54, s12
	s_add_i32 s12, s8, 0xffffee78
	v_mov_b32_e32 v43, s12
	s_add_i32 s13, s8, 0xffffef20
	v_mov_b32_e32 v50, s13
	ds_read2_b64 v[50:53], v50 offset1:1
	s_waitcnt lgkmcnt(1)
	v_fma_f64 v[47:48], -v[17:18], v[47:48], v[56:57]
	v_fma_f64 v[60:61], -v[33:34], v[60:61], v[68:69]
	ds_read2_b64 v[66:69], v43 offset1:1
	s_add_i32 s12, s8, 0xffffee68
	v_mov_b32_e32 v43, s12
	ds_read2_b64 v[54:57], v54 offset1:1
	s_add_i32 s12, s8, 0xffffefd8
	s_waitcnt lgkmcnt(1)
	v_fma_f64 v[7:8], -v[5:6], v[68:69], v[7:8]
	v_fma_f64 v[47:48], -v[19:20], v[45:46], v[47:48]
	ds_read2_b64 v[43:46], v43 offset1:1
	v_fma_f64 v[60:61], -v[35:36], v[58:59], v[60:61]
	s_waitcnt lgkmcnt(1)
	v_fma_f64 v[39:40], -v[23:24], v[56:57], v[39:40]
	v_fma_f64 v[72:73], -v[27:28], v[64:65], v[70:71]
	v_fma_f64 v[7:8], -v[13:14], v[66:67], v[7:8]
	v_fma_f64 v[47:48], -v[21:22], v[52:53], v[47:48]
	v_mov_b32_e32 v52, s12
	s_add_i32 s12, s8, 0xffffefc8
	v_mov_b32_e32 v53, s12
	ds_read2_b64 v[56:59], v52 offset1:1
	ds_read2_b64 v[64:67], v53 offset1:1
	s_add_i32 s12, s8, 0xffffef10
	v_mul_f64 v[39:40], v[54:55], v[39:40]
	s_waitcnt lgkmcnt(2)
	v_fma_f64 v[7:8], -v[15:16], v[45:46], v[7:8]
	v_fma_f64 v[68:69], -v[25:26], v[50:51], v[47:48]
	v_mov_b32_e32 v45, s12
	s_add_i32 s12, s8, 0xffffef00
	v_mov_b32_e32 v50, s12
	s_add_i32 s12, s8, 0xffffee58
	ds_read2_b64 v[45:48], v45 offset1:1
	ds_read2_b64 v[50:53], v50 offset1:1
	v_fma_f64 v[7:8], -v[9:10], v[43:44], v[7:8]
	v_mov_b32_e32 v43, s12
	s_waitcnt lgkmcnt(3)
	v_fma_f64 v[70:71], -v[41:42], v[58:59], v[60:61]
	ds_read2_b64 v[58:61], v43 offset1:1
	s_waitcnt lgkmcnt(2)
	v_fma_f64 v[47:48], -v[29:30], v[47:48], v[68:69]
	s_add_i32 s12, s8, 0xffffee48
	v_fma_f64 v[54:55], -v[23:24], v[62:63], v[72:73]
	ds_write_b64 v49, v[5:6]
	s_waitcnt lgkmcnt(1)
	v_fma_f64 v[7:8], -v[11:12], v[60:61], v[7:8]
	ds_write_b64 v79, v[13:14]
	v_fma_f64 v[43:44], -v[37:38], v[56:57], v[70:71]
	v_mov_b32_e32 v56, s12
	v_fma_f64 v[47:48], -v[33:34], v[45:46], v[47:48]
	ds_read2_b64 v[68:71], v56 offset1:1
	s_add_i32 s12, s8, 0xfffff090
	v_mov_b32_e32 v45, s12
	v_fma_f64 v[7:8], -v[17:18], v[58:59], v[7:8]
	s_add_i32 s12, s8, 0xffffee38
	v_fma_f64 v[56:57], -v[31:32], v[66:67], v[43:44]
	ds_read2_b64 v[43:46], v45 offset1:1
	v_fma_f64 v[52:53], -v[35:36], v[52:53], v[47:48]
	s_waitcnt lgkmcnt(1)
	v_fma_f64 v[7:8], -v[19:20], v[70:71], v[7:8]
	s_waitcnt lgkmcnt(0)
	v_fma_f64 v[73:74], -v[39:40], v[45:46], v[54:55]
	v_mov_b32_e32 v45, s11
	s_add_i32 s11, s8, 0xffffeef0
	v_fma_f64 v[77:78], -v[41:42], v[50:51], v[52:53]
	v_mov_b32_e32 v53, s12
	s_add_i32 s12, s8, 0xffffeda0
	v_mov_b32_e32 v54, s12
	v_fma_f64 v[7:8], -v[21:22], v[68:69], v[7:8]
	ds_read_b64 v[61:62], v54
	s_add_i32 s12, s8, 0xffffee28
	v_fma_f64 v[75:76], -v[27:28], v[64:65], v[56:57]
	v_mov_b32_e32 v49, s11
	v_mov_b32_e32 v57, s12
	ds_read2_b64 v[45:48], v45 offset1:1
	ds_read2_b64 v[49:52], v49 offset1:1
	;; [unrolled: 1-line block ×4, first 2 shown]
	s_waitcnt lgkmcnt(4)
	v_fma_f64 v[3:4], -v[5:6], v[61:62], v[3:4]
	s_add_i32 s12, s8, 0xffffed90
	v_mov_b32_e32 v61, s12
	s_waitcnt lgkmcnt(1)
	v_fma_f64 v[7:8], -v[25:26], v[55:56], v[7:8]
	ds_read2_b64 v[61:64], v61 offset1:1
	s_add_i32 s12, s8, 0xffffed80
	s_add_i32 s11, s8, 0xffffeee0
	v_mov_b32_e32 v55, s12
	ds_read2_b64 v[65:68], v55 offset1:1
	s_waitcnt lgkmcnt(1)
	v_fma_f64 v[3:4], -v[13:14], v[63:64], v[3:4]
	v_mov_b32_e32 v55, s11
	s_add_i32 s11, s8, 0xffffecb8
	ds_read2_b64 v[69:72], v55 offset1:1
	v_fma_f64 v[55:56], -v[37:38], v[51:52], v[77:78]
	v_mov_b32_e32 v51, s11
	v_fma_f64 v[7:8], -v[29:30], v[53:54], v[7:8]
	ds_read2_b64 v[51:54], v51 offset1:1
	v_fma_f64 v[3:4], -v[15:16], v[61:62], v[3:4]
	s_add_i32 s11, s8, 0xffffeca8
	v_mov_b32_e32 v61, s11
	ds_read2_b64 v[61:64], v61 offset1:1
	s_waitcnt lgkmcnt(1)
	v_fma_f64 v[1:2], -v[5:6], v[53:54], v[1:2]
	v_fma_f64 v[5:6], -v[31:32], v[49:50], v[55:56]
	v_add_u32_e32 v49, 0xffffff20, v79
	ds_write_b64 v49, v[15:16]
	v_fma_f64 v[3:4], -v[9:10], v[67:68], v[3:4]
	v_fma_f64 v[7:8], -v[33:34], v[59:60], v[7:8]
	v_mul_f64 v[59:60], v[43:44], v[73:74]
	v_fma_f64 v[43:44], -v[23:24], v[47:48], v[75:76]
	v_fma_f64 v[13:14], -v[13:14], v[51:52], v[1:2]
	s_add_i32 s12, s8, 0xffffed70
	v_mov_b32_e32 v1, s12
	s_add_i32 s12, s8, 0xffffed60
	v_fma_f64 v[47:48], -v[11:12], v[65:66], v[3:4]
	ds_read2_b64 v[1:4], v1 offset1:1
	v_fma_f64 v[53:54], -v[27:28], v[71:72], v[5:6]
	v_mov_b32_e32 v5, s12
	s_waitcnt lgkmcnt(2)
	v_fma_f64 v[49:50], -v[15:16], v[63:64], v[13:14]
	v_fma_f64 v[55:56], -v[35:36], v[57:58], v[7:8]
	ds_read2_b64 v[5:8], v5 offset1:1
	s_add_i32 s12, s8, 0xffffec98
	s_waitcnt lgkmcnt(1)
	v_fma_f64 v[3:4], -v[17:18], v[3:4], v[47:48]
	v_mov_b32_e32 v47, s12
	s_add_i32 s11, s8, 0xffffee18
	v_mov_b32_e32 v13, s11
	v_fma_f64 v[51:52], -v[9:10], v[61:62], v[49:50]
	ds_read2_b64 v[47:50], v47 offset1:1
	ds_read2_b64 v[13:16], v13 offset1:1
	s_add_i32 s12, s8, 0xffffec88
	v_fma_f64 v[57:58], -v[19:20], v[1:2], v[3:4]
	v_mov_b32_e32 v1, s12
	ds_read2_b64 v[1:4], v1 offset1:1
	s_waitcnt lgkmcnt(1)
	v_fma_f64 v[15:16], -v[41:42], v[15:16], v[55:56]
	v_fma_f64 v[61:62], -v[11:12], v[49:50], v[51:52]
	s_add_i32 s11, s8, 0xffffee08
	v_mov_b32_e32 v49, s11
	s_add_i32 s11, s8, 0xffffefa8
	v_fma_f64 v[7:8], -v[21:22], v[7:8], v[57:58]
	v_fma_f64 v[57:58], -v[23:24], v[69:70], v[53:54]
	;; [unrolled: 1-line block ×5, first 2 shown]
	v_mov_b32_e32 v43, s11
	s_add_i32 s11, s8, 0xffffed50
	ds_read2_b64 v[49:52], v49 offset1:1
	v_fma_f64 v[61:62], -v[25:26], v[5:6], v[7:8]
	v_mov_b32_e32 v5, s11
	ds_read2_b64 v[5:8], v5 offset1:1
	s_add_i32 s11, s8, 0xffffed40
	s_waitcnt lgkmcnt(2)
	v_fma_f64 v[3:4], -v[19:20], v[3:4], v[47:48]
	v_mov_b32_e32 v13, s11
	s_add_i32 s11, s8, 0xffffeed0
	s_waitcnt lgkmcnt(1)
	v_fma_f64 v[47:48], -v[31:32], v[51:52], v[53:54]
	ds_read2_b64 v[13:16], v13 offset1:1
	s_waitcnt lgkmcnt(1)
	v_fma_f64 v[7:8], -v[29:30], v[7:8], v[61:62]
	v_mov_b32_e32 v63, s11
	s_add_i32 s11, s8, 0xffffec78
	v_fma_f64 v[51:52], -v[21:22], v[1:2], v[3:4]
	v_mov_b32_e32 v1, s11
	ds_read2_b64 v[1:4], v1 offset1:1
	s_add_i32 s11, s8, 0xffffec68
	ds_read2_b64 v[43:46], v43 offset1:1
	v_fma_f64 v[61:62], -v[33:34], v[5:6], v[7:8]
	v_mov_b32_e32 v5, s11
	ds_read2_b64 v[5:8], v5 offset1:1
	s_waitcnt lgkmcnt(2)
	v_fma_f64 v[3:4], -v[25:26], v[3:4], v[51:52]
	ds_read2_b64 v[51:54], v63 offset1:1
	v_add_u32_e32 v63, 0xfffffe40, v79
	ds_write_b64 v63, v[9:10]
	s_waitcnt lgkmcnt(3)
	v_fma_f64 v[63:64], -v[59:60], v[45:46], v[55:56]
	v_fma_f64 v[9:10], -v[35:36], v[15:16], v[61:62]
	s_waitcnt lgkmcnt(1)
	v_fma_f64 v[57:58], -v[39:40], v[53:54], v[57:58]
	s_add_i32 s11, s8, 0xffffedf8
	v_fma_f64 v[1:2], -v[29:30], v[1:2], v[3:4]
	v_mov_b32_e32 v15, s11
	s_add_i32 s11, s8, 0xffffede8
	v_mov_b32_e32 v16, s11
	s_add_i32 s11, s8, 0xffffed30
	v_fma_f64 v[53:54], -v[41:42], v[13:14], v[9:10]
	v_mov_b32_e32 v3, s11
	s_add_i32 s11, s8, 0xffffed20
	v_fma_f64 v[55:56], -v[33:34], v[7:8], v[1:2]
	ds_read2_b64 v[1:4], v3 offset1:1
	ds_read2_b64 v[7:10], v15 offset1:1
	;; [unrolled: 1-line block ×3, first 2 shown]
	v_fma_f64 v[49:50], -v[27:28], v[49:50], v[47:48]
	v_mov_b32_e32 v45, s11
	s_add_i32 s11, s8, 0xffffec58
	s_waitcnt lgkmcnt(2)
	v_fma_f64 v[61:62], -v[37:38], v[3:4], v[53:54]
	v_mov_b32_e32 v3, s11
	ds_read2_b64 v[45:48], v45 offset1:1
	v_fma_f64 v[65:66], -v[35:36], v[5:6], v[55:56]
	ds_read2_b64 v[3:6], v3 offset1:1
	s_waitcnt lgkmcnt(3)
	v_fma_f64 v[9:10], -v[23:24], v[9:10], v[49:50]
	s_add_i32 s11, s8, 0xffffec48
	v_mul_f64 v[43:44], v[43:44], v[63:64]
	v_fma_f64 v[1:2], -v[31:32], v[1:2], v[61:62]
	v_fma_f64 v[57:58], -v[59:60], v[51:52], v[57:58]
	v_mov_b32_e32 v49, s11
	s_waitcnt lgkmcnt(0)
	v_fma_f64 v[5:6], -v[41:42], v[5:6], v[65:66]
	s_add_i32 s11, s8, 0xffffeec0
	v_fma_f64 v[7:8], -v[39:40], v[7:8], v[9:10]
	ds_read2_b64 v[53:56], v49 offset1:1
	v_mov_b32_e32 v49, s11
	v_fma_f64 v[1:2], -v[27:28], v[47:48], v[1:2]
	ds_read2_b64 v[49:52], v49 offset1:1
	s_add_i32 s11, s8, 0xffffed10
	v_fma_f64 v[3:4], -v[37:38], v[3:4], v[5:6]
	v_add_u32_e32 v5, 0xfffffd60, v79
	ds_write_b64 v5, v[11:12]
	s_waitcnt lgkmcnt(1)
	v_fma_f64 v[47:48], -v[43:44], v[51:52], v[57:58]
	v_fma_f64 v[51:52], -v[59:60], v[15:16], v[7:8]
	;; [unrolled: 1-line block ×3, first 2 shown]
	v_add_u32_e32 v5, 0xfffffc80, v79
	v_mov_b32_e32 v1, s11
	v_fma_f64 v[9:10], -v[31:32], v[55:56], v[3:4]
	s_add_i32 s11, s8, 0xffffed00
	ds_write_b64 v5, v[17:18]
	v_mov_b32_e32 v5, s11
	ds_read2_b64 v[1:4], v1 offset1:1
	ds_read2_b64 v[5:8], v5 offset1:1
	s_add_i32 s11, s8, 0xffffec38
	v_fma_f64 v[13:14], -v[43:44], v[13:14], v[51:52]
	v_fma_f64 v[45:46], -v[27:28], v[53:54], v[9:10]
	s_waitcnt lgkmcnt(1)
	v_fma_f64 v[3:4], -v[39:40], v[3:4], v[15:16]
	v_mov_b32_e32 v9, s11
	ds_read2_b64 v[9:12], v9 offset1:1
	s_add_i32 s11, s8, 0xffffec28
	v_mov_b32_e32 v15, s11
	s_add_i32 s11, s8, 0xffffedd8
	ds_read2_b64 v[15:18], v15 offset1:1
	s_waitcnt lgkmcnt(1)
	v_fma_f64 v[11:12], -v[23:24], v[11:12], v[45:46]
	v_mul_f64 v[45:46], v[49:50], v[47:48]
	v_fma_f64 v[47:48], -v[59:60], v[1:2], v[3:4]
	v_mov_b32_e32 v1, s11
	ds_read2_b64 v[1:4], v1 offset1:1
	s_add_i32 s11, s8, 0xffffecf0
	v_add_u32_e32 v49, 0xfffffba0, v79
	ds_write_b64 v49, v[19:20]
	v_fma_f64 v[9:10], -v[39:40], v[9:10], v[11:12]
	s_waitcnt lgkmcnt(1)
	v_fma_f64 v[3:4], -v[45:46], v[3:4], v[13:14]
	v_fma_f64 v[7:8], -v[43:44], v[7:8], v[47:48]
	v_add_u32_e32 v11, 0xfffffac0, v79
	ds_write_b64 v11, v[21:22]
	v_add_u32_e32 v11, 0xfffff9e0, v79
	ds_write_b64 v11, v[25:26]
	;; [unrolled: 2-line block ×3, first 2 shown]
	v_mul_f64 v[11:12], v[1:2], v[3:4]
	v_mov_b32_e32 v1, s11
	s_add_i32 s11, s8, 0xffffec18
	v_fma_f64 v[13:14], -v[45:46], v[5:6], v[7:8]
	v_mov_b32_e32 v5, s11
	ds_read2_b64 v[5:8], v5 offset1:1
	v_fma_f64 v[9:10], -v[59:60], v[17:18], v[9:10]
	ds_read2_b64 v[1:4], v1 offset1:1
	s_addk_i32 s8, 0xec08
	s_waitcnt lgkmcnt(0)
	v_fma_f64 v[3:4], -v[11:12], v[3:4], v[13:14]
	v_add_u32_e32 v13, 0xfffff4a0, v79
	v_fma_f64 v[9:10], -v[43:44], v[15:16], v[9:10]
	v_add_u32_e32 v15, 0xfffff820, v79
	ds_write_b64 v15, v[33:34]
	v_add_u32_e32 v15, 0xfffff740, v79
	ds_write_b64 v15, v[35:36]
	v_fma_f64 v[7:8], -v[45:46], v[7:8], v[9:10]
	v_add_u32_e32 v9, 0xfffff660, v79
	ds_write_b64 v9, v[41:42]
	v_add_u32_e32 v9, 0xfffff580, v79
	ds_write_b64 v9, v[37:38]
	v_mul_f64 v[9:10], v[1:2], v[3:4]
	v_mov_b32_e32 v1, s8
	ds_read2_b64 v[1:4], v1 offset1:1
	v_fma_f64 v[5:6], -v[11:12], v[5:6], v[7:8]
	v_add_u32_e32 v7, 0xfffff3c0, v79
	ds_write_b64 v13, v[31:32]
	ds_write_b64 v7, v[27:28]
	v_add_u32_e32 v7, 0xfffff2e0, v79
	ds_write_b64 v7, v[23:24]
	s_waitcnt lgkmcnt(3)
	v_fma_f64 v[3:4], -v[9:10], v[3:4], v[5:6]
	v_add_u32_e32 v5, 0xfffff200, v79
	ds_write_b64 v5, v[39:40]
	v_add_u32_e32 v5, 0xfffff120, v79
	ds_write_b64 v5, v[59:60]
	;; [unrolled: 2-line block ×3, first 2 shown]
	v_mul_f64 v[1:2], v[1:2], v[3:4]
	v_add_u32_e32 v3, 0xffffef60, v79
	ds_write_b64 v3, v[45:46]
	v_add_u32_e32 v3, 0xffffee80, v79
	ds_write_b64 v3, v[11:12]
	;; [unrolled: 2-line block ×4, first 2 shown]
.LBB99_18:
	s_cmp_lt_i32 s5, 0
	s_cbranch_scc1 .LBB99_31
; %bb.19:
	s_bitcmp1_b32 s5, 0
	s_cselect_b64 s[12:13], -1, 0
	s_and_b64 vcc, exec, s[12:13]
	s_mov_b32 s8, s5
	s_cbranch_vccnz .LBB99_24
; %bb.20:
	s_mul_i32 s8, s5, 0xe0
	v_add_u32_e32 v3, s8, v87
	ds_read_b64 v[1:2], v3
	s_cmp_le_i32 s4, s5
	s_cbranch_scc1 .LBB99_23
; %bb.21:
	s_lshl_b32 s11, s22, 3
	s_add_i32 s8, s8, s11
	s_mul_i32 s11, s22, 0xe0
	v_lshl_add_u32 v4, v0, 3, s11
	s_add_i32 s8, s8, -8
	v_add_u32_e32 v4, 0x17a0, v4
	s_mov_b32 s11, s4
.LBB99_22:                              ; =>This Inner Loop Header: Depth=1
	v_mov_b32_e32 v7, s8
	ds_read_b64 v[5:6], v4
	ds_read_b64 v[7:8], v7
	s_add_i32 s11, s11, -1
	s_add_i32 s8, s8, -8
	s_cmp_gt_i32 s11, s5
	v_add_u32_e32 v4, 0xffffff20, v4
	s_waitcnt lgkmcnt(0)
	v_fma_f64 v[1:2], -v[5:6], v[7:8], v[1:2]
	s_cbranch_scc1 .LBB99_22
.LBB99_23:
	s_mul_i32 s8, s5, 0xe8
	v_mov_b32_e32 v4, s8
	ds_read_b64 v[4:5], v4
	s_add_i32 s8, s5, -1
	s_waitcnt lgkmcnt(0)
	v_mul_f64 v[1:2], v[4:5], v[1:2]
	ds_write_b64 v3, v[1:2]
.LBB99_24:
	s_cmp_eq_u32 s5, 0
	s_cbranch_scc1 .LBB99_31
; %bb.25:
	s_mul_i32 s5, s8, 0xe0
	s_lshl_b32 s11, s22, 3
	s_mul_i32 s12, s22, 0xe0
	s_add_i32 s11, s5, s11
	v_lshl_add_u32 v1, v0, 3, s12
	s_add_i32 s5, s11, -8
	v_add_u32_e32 v5, 0x17a0, v1
	s_addk_i32 s11, 0xff18
	s_branch .LBB99_27
.LBB99_26:                              ;   in Loop: Header=BB99_27 Depth=1
	s_addk_i32 s12, 0xff18
	v_mov_b32_e32 v1, s12
	ds_read_b64 v[1:2], v1
	s_add_i32 s12, s8, -2
	s_addk_i32 s5, 0xfe40
	s_addk_i32 s11, 0xfe40
	s_cmp_lt_i32 s8, 2
	s_waitcnt lgkmcnt(0)
	v_mul_f64 v[1:2], v[1:2], v[3:4]
	s_mov_b32 s8, s12
	ds_write_b64 v7, v[1:2]
	s_cbranch_scc1 .LBB99_31
.LBB99_27:                              ; =>This Loop Header: Depth=1
                                        ;     Child Loop BB99_28 Depth 2
                                        ;     Child Loop BB99_30 Depth 2
	s_mul_i32 s13, s8, 0xe0
	v_add_u32_e32 v6, s13, v87
	ds_read_b64 v[1:2], v6
	s_cmp_le_i32 s4, s8
	v_mov_b32_e32 v3, v5
	s_mov_b32 s12, s5
	s_mov_b32 s14, s4
	s_cbranch_scc1 .LBB99_29
.LBB99_28:                              ;   Parent Loop BB99_27 Depth=1
                                        ; =>  This Inner Loop Header: Depth=2
	v_mov_b32_e32 v4, s12
	ds_read_b64 v[7:8], v3
	ds_read_b64 v[9:10], v4
	s_add_i32 s14, s14, -1
	s_add_i32 s12, s12, -8
	s_cmp_gt_i32 s14, s8
	v_add_u32_e32 v3, 0xffffff20, v3
	s_waitcnt lgkmcnt(0)
	v_fma_f64 v[1:2], -v[7:8], v[9:10], v[1:2]
	s_cbranch_scc1 .LBB99_28
.LBB99_29:                              ;   in Loop: Header=BB99_27 Depth=1
	s_mul_i32 s12, s8, 0xe8
	v_mov_b32_e32 v3, s12
	ds_read_b64 v[8:9], v3
	s_addk_i32 s13, 0xff20
	v_add_u32_e32 v7, s13, v87
	ds_read_b64 v[3:4], v7
	s_mov_b32 s13, s11
	s_waitcnt lgkmcnt(1)
	v_mul_f64 v[8:9], v[8:9], v[1:2]
	v_mov_b32_e32 v1, v5
	s_cmp_le_i32 s22, s8
	s_mov_b32 s14, s22
	ds_write_b64 v6, v[8:9]
	s_cbranch_scc1 .LBB99_26
.LBB99_30:                              ;   Parent Loop BB99_27 Depth=1
                                        ; =>  This Inner Loop Header: Depth=2
	v_mov_b32_e32 v2, s13
	ds_read_b64 v[8:9], v1
	ds_read_b64 v[10:11], v2
	s_add_i32 s14, s14, -1
	s_add_i32 s13, s13, -8
	s_cmp_gt_i32 s14, s8
	v_add_u32_e32 v1, 0xffffff20, v1
	s_waitcnt lgkmcnt(0)
	v_fma_f64 v[3:4], -v[8:9], v[10:11], v[3:4]
	s_cbranch_scc1 .LBB99_30
	s_branch .LBB99_26
.LBB99_31:
	s_mov_b64 s[4:5], 0
.LBB99_32:
	s_and_b64 vcc, exec, s[4:5]
	s_cbranch_vccz .LBB99_46
; %bb.33:
	s_cmp_gt_i32 s10, 27
	s_cselect_b64 s[4:5], -1, 0
	s_mov_b32 s11, 0
	s_and_b64 vcc, exec, s[4:5]
	s_cbranch_vccz .LBB99_35
; %bb.34:
	v_add_u32_e32 v26, 0x800, v87
	v_add_u32_e32 v25, 0xc00, v87
	;; [unrolled: 1-line block ×3, first 2 shown]
	v_mov_b32_e32 v89, 0
	ds_read2_b64 v[27:30], v87 offset1:28
	ds_read2_b64 v[39:42], v87 offset0:56 offset1:84
	ds_read2_b64 v[43:46], v87 offset0:112 offset1:140
	ds_read2_b64 v[49:52], v87 offset0:168 offset1:196
	ds_read2_b64 v[55:58], v87 offset0:224 offset1:252
	ds_read2_b64 v[59:62], v26 offset0:24 offset1:52
	ds_read2_b64 v[63:66], v26 offset0:80 offset1:108
	ds_read2_b64 v[21:24], v26 offset0:136 offset1:164
	ds_read2_b64 v[17:20], v26 offset0:192 offset1:220
	ds_read2_b64 v[13:16], v25 offset0:120 offset1:148
	ds_read2_b64 v[9:12], v88 offset0:48 offset1:76
	ds_read2_b64 v[5:8], v88 offset0:104 offset1:132
	ds_read2_b64 v[33:36], v88 offset0:160 offset1:188
	ds_read2_b64 v[1:4], v88 offset0:216 offset1:244
	ds_read_b128 v[67:70], v89
	s_movk_i32 s11, 0x800
	s_movk_i32 s10, 0xc00
	;; [unrolled: 1-line block ×3, first 2 shown]
	s_waitcnt lgkmcnt(0)
	v_mul_f64 v[53:54], v[67:68], v[27:28]
	v_fma_f64 v[31:32], -v[53:54], v[69:70], v[29:30]
	ds_read2_b64 v[27:30], v89 offset0:29 offset1:30
	s_waitcnt lgkmcnt(0)
	v_mul_f64 v[37:38], v[27:28], v[31:32]
	ds_write2_b64 v87, v[53:54], v[37:38] offset1:28
	ds_read_b128 v[67:70], v89 offset:16
	ds_read_b128 v[71:74], v89 offset:32
	s_waitcnt lgkmcnt(1)
	v_fma_f64 v[27:28], -v[53:54], v[67:68], v[39:40]
	v_fma_f64 v[31:32], -v[37:38], v[29:30], v[27:28]
	ds_read_b128 v[27:30], v89 offset:464
	s_waitcnt lgkmcnt(0)
	v_mul_f64 v[39:40], v[27:28], v[31:32]
	v_fma_f64 v[27:28], -v[53:54], v[69:70], v[41:42]
	ds_read2_b64 v[67:70], v89 offset0:31 offset1:32
	s_waitcnt lgkmcnt(0)
	v_fma_f64 v[27:28], -v[37:38], v[67:68], v[27:28]
	v_fma_f64 v[31:32], -v[39:40], v[29:30], v[27:28]
	ds_read2_b64 v[27:30], v89 offset0:87 offset1:88
	s_waitcnt lgkmcnt(0)
	v_mul_f64 v[41:42], v[27:28], v[31:32]
	v_fma_f64 v[27:28], -v[53:54], v[71:72], v[43:44]
	ds_write2_b64 v87, v[39:40], v[41:42] offset0:56 offset1:84
	v_fma_f64 v[27:28], -v[37:38], v[69:70], v[27:28]
	ds_read_b128 v[67:70], v89 offset:480
	s_waitcnt lgkmcnt(0)
	v_fma_f64 v[27:28], -v[39:40], v[67:68], v[27:28]
	v_fma_f64 v[31:32], -v[41:42], v[29:30], v[27:28]
	ds_read_b128 v[27:30], v89 offset:928
	s_waitcnt lgkmcnt(0)
	v_mul_f64 v[43:44], v[27:28], v[31:32]
	v_fma_f64 v[27:28], -v[53:54], v[73:74], v[45:46]
	ds_read2_b64 v[45:48], v89 offset0:33 offset1:34
	s_waitcnt lgkmcnt(0)
	v_fma_f64 v[27:28], -v[37:38], v[45:46], v[27:28]
	v_fma_f64 v[27:28], -v[39:40], v[69:70], v[27:28]
	ds_read2_b64 v[67:70], v89 offset0:89 offset1:90
	s_waitcnt lgkmcnt(0)
	v_fma_f64 v[27:28], -v[41:42], v[67:68], v[27:28]
	v_fma_f64 v[31:32], -v[43:44], v[29:30], v[27:28]
	ds_read2_b64 v[27:30], v89 offset0:145 offset1:146
	s_waitcnt lgkmcnt(0)
	v_mul_f64 v[45:46], v[27:28], v[31:32]
	ds_write2_b64 v87, v[43:44], v[45:46] offset0:112 offset1:140
	ds_read_b128 v[71:74], v89 offset:48
	ds_read_b128 v[75:78], v89 offset:64
	;; [unrolled: 1-line block ×3, first 2 shown]
	s_waitcnt lgkmcnt(2)
	v_fma_f64 v[27:28], -v[53:54], v[71:72], v[49:50]
	v_fma_f64 v[27:28], -v[37:38], v[47:48], v[27:28]
	s_waitcnt lgkmcnt(0)
	v_fma_f64 v[27:28], -v[39:40], v[79:80], v[27:28]
	v_fma_f64 v[27:28], -v[41:42], v[69:70], v[27:28]
	ds_read_b128 v[67:70], v89 offset:944
	s_waitcnt lgkmcnt(0)
	v_fma_f64 v[27:28], -v[43:44], v[67:68], v[27:28]
	v_fma_f64 v[31:32], -v[45:46], v[29:30], v[27:28]
	ds_read_b128 v[27:30], v89 offset:1392
	s_waitcnt lgkmcnt(0)
	v_mul_f64 v[49:50], v[27:28], v[31:32]
	v_fma_f64 v[27:28], -v[53:54], v[73:74], v[51:52]
	ds_read2_b64 v[71:74], v89 offset0:35 offset1:36
	s_waitcnt lgkmcnt(0)
	v_fma_f64 v[27:28], -v[37:38], v[71:72], v[27:28]
	v_fma_f64 v[27:28], -v[39:40], v[81:82], v[27:28]
	ds_read2_b64 v[79:82], v89 offset0:91 offset1:92
	s_waitcnt lgkmcnt(0)
	v_fma_f64 v[27:28], -v[41:42], v[79:80], v[27:28]
	;; [unrolled: 4-line block ×3, first 2 shown]
	v_fma_f64 v[31:32], -v[49:50], v[29:30], v[27:28]
	ds_read2_b64 v[27:30], v89 offset0:203 offset1:204
	s_waitcnt lgkmcnt(0)
	v_mul_f64 v[47:48], v[27:28], v[31:32]
	v_fma_f64 v[27:28], -v[53:54], v[75:76], v[55:56]
	ds_write2_b64 v87, v[49:50], v[47:48] offset0:168 offset1:196
	v_fma_f64 v[27:28], -v[37:38], v[73:74], v[27:28]
	ds_read_b128 v[71:74], v89 offset:512
	s_waitcnt lgkmcnt(0)
	v_fma_f64 v[27:28], -v[39:40], v[71:72], v[27:28]
	v_fma_f64 v[27:28], -v[41:42], v[81:82], v[27:28]
	ds_read_b128 v[79:82], v89 offset:960
	s_waitcnt lgkmcnt(0)
	v_fma_f64 v[27:28], -v[43:44], v[79:80], v[27:28]
	;; [unrolled: 4-line block ×3, first 2 shown]
	v_fma_f64 v[31:32], -v[47:48], v[29:30], v[27:28]
	ds_read_b128 v[27:30], v89 offset:1856
	s_waitcnt lgkmcnt(0)
	v_mul_f64 v[51:52], v[27:28], v[31:32]
	v_fma_f64 v[27:28], -v[53:54], v[77:78], v[57:58]
	ds_read2_b64 v[55:58], v89 offset0:37 offset1:38
	ds_read2_b64 v[75:78], v89 offset0:149 offset1:150
	s_waitcnt lgkmcnt(1)
	v_fma_f64 v[27:28], -v[37:38], v[55:56], v[27:28]
	v_fma_f64 v[27:28], -v[39:40], v[73:74], v[27:28]
	ds_read2_b64 v[71:74], v89 offset0:93 offset1:94
	s_waitcnt lgkmcnt(0)
	v_fma_f64 v[27:28], -v[41:42], v[71:72], v[27:28]
	v_fma_f64 v[27:28], -v[43:44], v[81:82], v[27:28]
	;; [unrolled: 1-line block ×4, first 2 shown]
	ds_read2_b64 v[67:70], v89 offset0:205 offset1:206
	s_waitcnt lgkmcnt(0)
	v_fma_f64 v[27:28], -v[47:48], v[67:68], v[27:28]
	v_fma_f64 v[31:32], -v[51:52], v[29:30], v[27:28]
	v_mov_b32_e32 v27, 0x828
	ds_read2_b64 v[27:30], v27 offset1:1
	s_waitcnt lgkmcnt(0)
	v_mul_f64 v[55:56], v[27:28], v[31:32]
	ds_write2_b64 v87, v[51:52], v[55:56] offset0:224 offset1:252
	ds_read_b128 v[79:82], v89 offset:80
	ds_read_b128 v[83:86], v89 offset:96
	;; [unrolled: 1-line block ×5, first 2 shown]
	s_waitcnt lgkmcnt(4)
	v_fma_f64 v[27:28], -v[53:54], v[79:80], v[59:60]
	ds_read_b128 v[102:105], v89 offset:3296
	s_waitcnt lgkmcnt(3)
	v_fma_f64 v[17:18], -v[53:54], v[90:91], v[17:18]
	s_waitcnt lgkmcnt(2)
	v_fma_f64 v[13:14], -v[53:54], v[94:95], v[13:14]
	ds_read_b128 v[118:121], v89 offset:192
	ds_read_b128 v[138:141], v89 offset:208
	v_fma_f64 v[27:28], -v[37:38], v[57:58], v[27:28]
	ds_read_b128 v[57:60], v89 offset:528
	s_waitcnt lgkmcnt(1)
	v_fma_f64 v[1:2], -v[53:54], v[138:139], v[1:2]
	s_waitcnt lgkmcnt(0)
	v_fma_f64 v[27:28], -v[39:40], v[57:58], v[27:28]
	v_fma_f64 v[27:28], -v[41:42], v[73:74], v[27:28]
	ds_read_b128 v[71:74], v89 offset:976
	s_waitcnt lgkmcnt(0)
	v_fma_f64 v[27:28], -v[43:44], v[71:72], v[27:28]
	v_fma_f64 v[27:28], -v[45:46], v[77:78], v[27:28]
	ds_read_b128 v[75:78], v89 offset:1424
	;; [unrolled: 4-line block ×4, first 2 shown]
	s_waitcnt lgkmcnt(0)
	v_mul_f64 v[57:58], v[27:28], v[31:32]
	v_fma_f64 v[27:28], -v[53:54], v[81:82], v[61:62]
	ds_read2_b64 v[79:82], v89 offset0:39 offset1:40
	v_mov_b32_e32 v31, 0x838
	s_waitcnt lgkmcnt(0)
	v_fma_f64 v[27:28], -v[37:38], v[79:80], v[27:28]
	v_fma_f64 v[27:28], -v[39:40], v[59:60], v[27:28]
	ds_read2_b64 v[59:62], v89 offset0:95 offset1:96
	s_waitcnt lgkmcnt(0)
	v_fma_f64 v[27:28], -v[41:42], v[59:60], v[27:28]
	v_fma_f64 v[27:28], -v[43:44], v[73:74], v[27:28]
	ds_read2_b64 v[71:74], v89 offset0:151 offset1:152
	;; [unrolled: 4-line block ×3, first 2 shown]
	s_waitcnt lgkmcnt(0)
	v_fma_f64 v[27:28], -v[47:48], v[75:76], v[27:28]
	v_fma_f64 v[27:28], -v[51:52], v[69:70], v[27:28]
	ds_read2_b64 v[67:70], v31 offset1:1
	s_waitcnt lgkmcnt(0)
	v_fma_f64 v[27:28], -v[55:56], v[67:68], v[27:28]
	v_fma_f64 v[31:32], -v[57:58], v[29:30], v[27:28]
	v_mov_b32_e32 v27, 0x9f8
	ds_read2_b64 v[27:30], v27 offset1:1
	s_waitcnt lgkmcnt(0)
	v_mul_f64 v[59:60], v[27:28], v[31:32]
	v_fma_f64 v[27:28], -v[53:54], v[83:84], v[63:64]
	ds_write2_b64 v26, v[57:58], v[59:60] offset0:24 offset1:52
	v_fma_f64 v[27:28], -v[37:38], v[81:82], v[27:28]
	ds_read_b128 v[79:82], v89 offset:544
	s_waitcnt lgkmcnt(0)
	v_fma_f64 v[27:28], -v[39:40], v[79:80], v[27:28]
	v_fma_f64 v[27:28], -v[41:42], v[61:62], v[27:28]
	ds_read_b128 v[61:64], v89 offset:992
	s_waitcnt lgkmcnt(0)
	v_fma_f64 v[27:28], -v[43:44], v[61:62], v[27:28]
	;; [unrolled: 4-line block ×5, first 2 shown]
	v_fma_f64 v[31:32], -v[59:60], v[29:30], v[27:28]
	ds_read_b128 v[27:30], v89 offset:2784
	s_waitcnt lgkmcnt(0)
	v_mul_f64 v[61:62], v[27:28], v[31:32]
	v_fma_f64 v[27:28], -v[53:54], v[85:86], v[65:66]
	ds_read2_b64 v[65:68], v89 offset0:41 offset1:42
	v_mov_b32_e32 v31, 0x848
	ds_read_b128 v[83:86], v89 offset:112
	s_waitcnt lgkmcnt(1)
	v_fma_f64 v[27:28], -v[37:38], v[65:66], v[27:28]
	s_waitcnt lgkmcnt(0)
	v_fma_f64 v[21:22], -v[53:54], v[83:84], v[21:22]
	v_fma_f64 v[27:28], -v[39:40], v[81:82], v[27:28]
	ds_read2_b64 v[79:82], v89 offset0:97 offset1:98
	v_fma_f64 v[21:22], -v[37:38], v[67:68], v[21:22]
	s_waitcnt lgkmcnt(0)
	v_fma_f64 v[27:28], -v[41:42], v[79:80], v[27:28]
	v_fma_f64 v[27:28], -v[43:44], v[63:64], v[27:28]
	ds_read2_b64 v[63:66], v89 offset0:153 offset1:154
	s_waitcnt lgkmcnt(0)
	v_fma_f64 v[27:28], -v[45:46], v[63:64], v[27:28]
	v_fma_f64 v[27:28], -v[49:50], v[73:74], v[27:28]
	ds_read2_b64 v[71:74], v89 offset0:209 offset1:210
	s_waitcnt lgkmcnt(0)
	v_fma_f64 v[27:28], -v[47:48], v[71:72], v[27:28]
	v_fma_f64 v[27:28], -v[51:52], v[77:78], v[27:28]
	ds_read2_b64 v[75:78], v31 offset1:1
	v_mov_b32_e32 v31, 0xa08
	s_waitcnt lgkmcnt(0)
	v_fma_f64 v[27:28], -v[55:56], v[75:76], v[27:28]
	v_fma_f64 v[27:28], -v[57:58], v[69:70], v[27:28]
	ds_read2_b64 v[69:72], v31 offset1:1
	s_waitcnt lgkmcnt(0)
	v_fma_f64 v[27:28], -v[59:60], v[69:70], v[27:28]
	ds_read_b128 v[67:70], v89 offset:560
	s_waitcnt lgkmcnt(0)
	v_fma_f64 v[21:22], -v[39:40], v[67:68], v[21:22]
	v_fma_f64 v[31:32], -v[61:62], v[29:30], v[27:28]
	v_mov_b32_e32 v27, 0xbc8
	ds_read2_b64 v[27:30], v27 offset1:1
	v_fma_f64 v[21:22], -v[41:42], v[81:82], v[21:22]
	ds_read_b128 v[79:82], v89 offset:1008
	s_waitcnt lgkmcnt(1)
	v_mul_f64 v[63:64], v[27:28], v[31:32]
	s_waitcnt lgkmcnt(0)
	v_fma_f64 v[21:22], -v[43:44], v[79:80], v[21:22]
	ds_write2_b64 v26, v[61:62], v[63:64] offset0:80 offset1:108
	v_fma_f64 v[21:22], -v[45:46], v[65:66], v[21:22]
	ds_read_b128 v[65:68], v89 offset:1456
	s_waitcnt lgkmcnt(0)
	v_fma_f64 v[21:22], -v[49:50], v[65:66], v[21:22]
	v_fma_f64 v[21:22], -v[47:48], v[73:74], v[21:22]
	ds_read_b128 v[73:76], v89 offset:1904
	s_waitcnt lgkmcnt(0)
	v_fma_f64 v[21:22], -v[51:52], v[73:74], v[21:22]
	v_fma_f64 v[21:22], -v[55:56], v[77:78], v[21:22]
	ds_read_b128 v[77:80], v89 offset:2352
	s_waitcnt lgkmcnt(0)
	v_fma_f64 v[21:22], -v[57:58], v[77:78], v[21:22]
	v_fma_f64 v[21:22], -v[59:60], v[71:72], v[21:22]
	ds_read_b128 v[71:74], v89 offset:2800
	s_waitcnt lgkmcnt(0)
	v_fma_f64 v[21:22], -v[61:62], v[71:72], v[21:22]
	v_fma_f64 v[21:22], -v[63:64], v[29:30], v[21:22]
	ds_read_b128 v[27:30], v89 offset:3248
	s_waitcnt lgkmcnt(0)
	v_mul_f64 v[65:66], v[27:28], v[21:22]
	v_fma_f64 v[27:28], -v[53:54], v[85:86], v[23:24]
	ds_read2_b64 v[21:24], v89 offset0:43 offset1:44
	s_waitcnt lgkmcnt(0)
	v_fma_f64 v[17:18], -v[37:38], v[23:24], v[17:18]
	v_fma_f64 v[21:22], -v[37:38], v[21:22], v[27:28]
	v_mov_b32_e32 v27, 0x858
	v_fma_f64 v[21:22], -v[39:40], v[69:70], v[21:22]
	ds_read2_b64 v[69:72], v89 offset0:99 offset1:100
	s_waitcnt lgkmcnt(0)
	v_fma_f64 v[21:22], -v[41:42], v[69:70], v[21:22]
	v_fma_f64 v[21:22], -v[43:44], v[81:82], v[21:22]
	ds_read2_b64 v[81:84], v89 offset0:155 offset1:156
	s_waitcnt lgkmcnt(0)
	v_fma_f64 v[21:22], -v[45:46], v[81:82], v[21:22]
	;; [unrolled: 4-line block ×3, first 2 shown]
	v_fma_f64 v[21:22], -v[51:52], v[75:76], v[21:22]
	ds_read2_b64 v[75:78], v27 offset1:1
	v_mov_b32_e32 v27, 0xa18
	s_waitcnt lgkmcnt(0)
	v_fma_f64 v[21:22], -v[55:56], v[75:76], v[21:22]
	v_fma_f64 v[21:22], -v[57:58], v[79:80], v[21:22]
	ds_read2_b64 v[79:82], v27 offset1:1
	v_mov_b32_e32 v27, 0xbd8
	s_waitcnt lgkmcnt(0)
	v_fma_f64 v[21:22], -v[59:60], v[79:80], v[21:22]
	;; [unrolled: 5-line block ×3, first 2 shown]
	v_fma_f64 v[21:22], -v[65:66], v[29:30], v[21:22]
	ds_read2_b64 v[27:30], v27 offset1:1
	s_waitcnt lgkmcnt(0)
	v_mul_f64 v[67:68], v[27:28], v[21:22]
	ds_read_b128 v[21:24], v89 offset:576
	s_waitcnt lgkmcnt(0)
	v_fma_f64 v[17:18], -v[39:40], v[21:22], v[17:18]
	v_fma_f64 v[21:22], -v[53:54], v[92:93], v[19:20]
	ds_read2_b64 v[90:93], v89 offset0:213 offset1:214
	ds_write2_b64 v26, v[65:66], v[67:68] offset0:136 offset1:164
	v_fma_f64 v[17:18], -v[41:42], v[71:72], v[17:18]
	ds_read_b128 v[71:74], v89 offset:1024
	s_waitcnt lgkmcnt(0)
	v_fma_f64 v[17:18], -v[43:44], v[71:72], v[17:18]
	v_fma_f64 v[17:18], -v[45:46], v[83:84], v[17:18]
	ds_read_b128 v[83:86], v89 offset:1472
	s_waitcnt lgkmcnt(0)
	v_fma_f64 v[17:18], -v[49:50], v[83:84], v[17:18]
	;; [unrolled: 4-line block ×6, first 2 shown]
	v_fma_f64 v[17:18], -v[67:68], v[29:30], v[17:18]
	ds_read_b128 v[27:30], v89 offset:3712
	s_waitcnt lgkmcnt(0)
	v_mul_f64 v[69:70], v[27:28], v[17:18]
	ds_read2_b64 v[17:20], v89 offset0:45 offset1:46
	s_waitcnt lgkmcnt(0)
	v_fma_f64 v[17:18], -v[37:38], v[17:18], v[21:22]
	v_fma_f64 v[13:14], -v[37:38], v[19:20], v[13:14]
	;; [unrolled: 1-line block ×3, first 2 shown]
	ds_read2_b64 v[21:24], v89 offset0:101 offset1:102
	s_waitcnt lgkmcnt(0)
	v_fma_f64 v[17:18], -v[41:42], v[21:22], v[17:18]
	v_mov_b32_e32 v21, 0x868
	v_fma_f64 v[17:18], -v[43:44], v[73:74], v[17:18]
	ds_read2_b64 v[73:76], v89 offset0:157 offset1:158
	s_waitcnt lgkmcnt(0)
	v_fma_f64 v[17:18], -v[45:46], v[73:74], v[17:18]
	v_fma_f64 v[17:18], -v[49:50], v[85:86], v[17:18]
	v_fma_f64 v[17:18], -v[47:48], v[90:91], v[17:18]
	v_fma_f64 v[17:18], -v[51:52], v[71:72], v[17:18]
	ds_read2_b64 v[71:74], v21 offset1:1
	v_mov_b32_e32 v21, 0xa28
	s_waitcnt lgkmcnt(0)
	v_fma_f64 v[17:18], -v[55:56], v[71:72], v[17:18]
	v_fma_f64 v[17:18], -v[57:58], v[79:80], v[17:18]
	ds_read2_b64 v[79:82], v21 offset1:1
	v_mov_b32_e32 v21, 0xbe8
	s_waitcnt lgkmcnt(0)
	v_fma_f64 v[17:18], -v[59:60], v[79:80], v[17:18]
	v_fma_f64 v[17:18], -v[61:62], v[83:84], v[17:18]
	ds_read2_b64 v[83:86], v21 offset1:1
	v_mov_b32_e32 v21, 0xda8
	s_waitcnt lgkmcnt(0)
	v_fma_f64 v[17:18], -v[63:64], v[83:84], v[17:18]
	v_fma_f64 v[17:18], -v[65:66], v[77:78], v[17:18]
	ds_read2_b64 v[77:80], v21 offset1:1
	v_mov_b32_e32 v21, 0xf68
	s_waitcnt lgkmcnt(0)
	v_fma_f64 v[17:18], -v[67:68], v[77:78], v[17:18]
	v_fma_f64 v[17:18], -v[69:70], v[29:30], v[17:18]
	ds_read2_b64 v[27:30], v21 offset1:1
	s_waitcnt lgkmcnt(0)
	v_mul_f64 v[71:72], v[27:28], v[17:18]
	ds_read_b128 v[17:20], v89 offset:592
	s_waitcnt lgkmcnt(0)
	v_fma_f64 v[13:14], -v[39:40], v[17:18], v[13:14]
	v_fma_f64 v[17:18], -v[53:54], v[96:97], v[15:16]
	ds_write2_b64 v26, v[69:70], v[71:72] offset0:192 offset1:220
	v_fma_f64 v[13:14], -v[41:42], v[23:24], v[13:14]
	ds_read_b128 v[21:24], v89 offset:1040
	s_waitcnt lgkmcnt(0)
	v_fma_f64 v[13:14], -v[43:44], v[21:22], v[13:14]
	v_fma_f64 v[13:14], -v[45:46], v[75:76], v[13:14]
	ds_read_b128 v[75:78], v89 offset:1488
	s_waitcnt lgkmcnt(0)
	v_fma_f64 v[13:14], -v[49:50], v[75:76], v[13:14]
	v_fma_f64 v[13:14], -v[47:48], v[92:93], v[13:14]
	ds_read_b128 v[90:93], v89 offset:1936
	s_waitcnt lgkmcnt(0)
	v_fma_f64 v[13:14], -v[51:52], v[90:91], v[13:14]
	v_fma_f64 v[13:14], -v[55:56], v[73:74], v[13:14]
	ds_read_b128 v[73:76], v89 offset:2384
	s_waitcnt lgkmcnt(0)
	v_fma_f64 v[13:14], -v[57:58], v[73:74], v[13:14]
	v_fma_f64 v[13:14], -v[59:60], v[81:82], v[13:14]
	ds_read_b128 v[81:84], v89 offset:2832
	s_waitcnt lgkmcnt(0)
	v_fma_f64 v[13:14], -v[61:62], v[81:82], v[13:14]
	v_fma_f64 v[13:14], -v[63:64], v[85:86], v[13:14]
	v_fma_f64 v[13:14], -v[65:66], v[98:99], v[13:14]
	;; [unrolled: 1-line block ×3, first 2 shown]
	ds_read_b128 v[79:82], v89 offset:3728
	s_waitcnt lgkmcnt(0)
	v_fma_f64 v[13:14], -v[69:70], v[79:80], v[13:14]
	v_fma_f64 v[13:14], -v[71:72], v[29:30], v[13:14]
	ds_read_b128 v[26:29], v89 offset:4176
	s_waitcnt lgkmcnt(0)
	v_mul_f64 v[73:74], v[26:27], v[13:14]
	ds_read2_b64 v[13:16], v89 offset0:47 offset1:48
	s_waitcnt lgkmcnt(0)
	v_fma_f64 v[13:14], -v[37:38], v[13:14], v[17:18]
	v_fma_f64 v[13:14], -v[39:40], v[19:20], v[13:14]
	ds_read2_b64 v[17:20], v89 offset0:103 offset1:104
	s_waitcnt lgkmcnt(0)
	v_fma_f64 v[13:14], -v[41:42], v[17:18], v[13:14]
	v_mov_b32_e32 v17, 0x878
	v_fma_f64 v[13:14], -v[43:44], v[23:24], v[13:14]
	ds_read2_b64 v[21:24], v89 offset0:159 offset1:160
	s_waitcnt lgkmcnt(0)
	v_fma_f64 v[13:14], -v[45:46], v[21:22], v[13:14]
	v_fma_f64 v[13:14], -v[49:50], v[77:78], v[13:14]
	ds_read2_b64 v[77:80], v89 offset0:215 offset1:216
	s_waitcnt lgkmcnt(0)
	v_fma_f64 v[13:14], -v[47:48], v[77:78], v[13:14]
	v_fma_f64 v[13:14], -v[51:52], v[92:93], v[13:14]
	ds_read2_b64 v[90:93], v17 offset1:1
	v_mov_b32_e32 v17, 0xa38
	s_waitcnt lgkmcnt(0)
	v_fma_f64 v[13:14], -v[55:56], v[90:91], v[13:14]
	v_fma_f64 v[13:14], -v[57:58], v[75:76], v[13:14]
	ds_read2_b64 v[75:78], v17 offset1:1
	v_mov_b32_e32 v17, 0xbf8
	;; [unrolled: 5-line block ×3, first 2 shown]
	ds_read2_b64 v[94:97], v17 offset1:1
	s_waitcnt lgkmcnt(1)
	v_fma_f64 v[13:14], -v[63:64], v[83:84], v[13:14]
	v_fma_f64 v[13:14], -v[65:66], v[100:101], v[13:14]
	ds_read_b128 v[98:101], v89 offset:160
	v_mov_b32_e32 v17, 0xf78
	s_waitcnt lgkmcnt(0)
	v_fma_f64 v[9:10], -v[53:54], v[98:99], v[9:10]
	v_fma_f64 v[13:14], -v[67:68], v[94:95], v[13:14]
	;; [unrolled: 1-line block ×4, first 2 shown]
	ds_read2_b64 v[81:84], v17 offset1:1
	v_mov_b32_e32 v17, 0x1138
	s_waitcnt lgkmcnt(0)
	v_fma_f64 v[13:14], -v[71:72], v[81:82], v[13:14]
	v_fma_f64 v[13:14], -v[73:74], v[28:29], v[13:14]
	ds_read2_b64 v[26:29], v17 offset1:1
	s_waitcnt lgkmcnt(0)
	v_mul_f64 v[75:76], v[26:27], v[13:14]
	ds_read_b128 v[13:16], v89 offset:608
	s_waitcnt lgkmcnt(0)
	v_fma_f64 v[9:10], -v[39:40], v[13:14], v[9:10]
	v_fma_f64 v[13:14], -v[53:54], v[100:101], v[11:12]
	ds_write2_b64 v25, v[73:74], v[75:76] offset0:120 offset1:148
	v_fma_f64 v[9:10], -v[41:42], v[19:20], v[9:10]
	ds_read_b128 v[17:20], v89 offset:1056
	s_waitcnt lgkmcnt(0)
	v_fma_f64 v[9:10], -v[43:44], v[17:18], v[9:10]
	v_fma_f64 v[9:10], -v[45:46], v[23:24], v[9:10]
	ds_read_b128 v[21:24], v89 offset:1504
	s_waitcnt lgkmcnt(0)
	v_fma_f64 v[9:10], -v[49:50], v[21:22], v[9:10]
	;; [unrolled: 4-line block ×5, first 2 shown]
	v_fma_f64 v[9:10], -v[63:64], v[85:86], v[9:10]
	v_fma_f64 v[9:10], -v[65:66], v[102:103], v[9:10]
	;; [unrolled: 1-line block ×3, first 2 shown]
	ds_read_b128 v[94:97], v89 offset:3744
	s_waitcnt lgkmcnt(0)
	v_fma_f64 v[9:10], -v[69:70], v[94:95], v[9:10]
	v_fma_f64 v[9:10], -v[71:72], v[83:84], v[9:10]
	ds_read_b128 v[83:86], v89 offset:4192
	s_waitcnt lgkmcnt(0)
	v_fma_f64 v[9:10], -v[73:74], v[83:84], v[9:10]
	v_fma_f64 v[9:10], -v[75:76], v[28:29], v[9:10]
	ds_read_b128 v[25:28], v89 offset:4640
	s_waitcnt lgkmcnt(0)
	v_mul_f64 v[77:78], v[25:26], v[9:10]
	ds_read2_b64 v[9:12], v89 offset0:49 offset1:50
	s_waitcnt lgkmcnt(0)
	v_fma_f64 v[9:10], -v[37:38], v[9:10], v[13:14]
	v_fma_f64 v[9:10], -v[39:40], v[15:16], v[9:10]
	ds_read2_b64 v[13:16], v89 offset0:105 offset1:106
	s_waitcnt lgkmcnt(0)
	v_fma_f64 v[9:10], -v[41:42], v[13:14], v[9:10]
	v_mov_b32_e32 v13, 0x888
	ds_read2_b64 v[29:32], v13 offset1:1
	v_mov_b32_e32 v13, 0xa48
	v_fma_f64 v[9:10], -v[43:44], v[19:20], v[9:10]
	ds_read2_b64 v[17:20], v89 offset0:161 offset1:162
	s_waitcnt lgkmcnt(0)
	v_fma_f64 v[9:10], -v[45:46], v[17:18], v[9:10]
	v_fma_f64 v[9:10], -v[49:50], v[23:24], v[9:10]
	ds_read2_b64 v[21:24], v89 offset0:217 offset1:218
	s_waitcnt lgkmcnt(0)
	v_fma_f64 v[9:10], -v[47:48], v[21:22], v[9:10]
	v_fma_f64 v[9:10], -v[51:52], v[81:82], v[9:10]
	ds_read2_b64 v[81:84], v13 offset1:1
	v_mov_b32_e32 v13, 0xc08
	v_fma_f64 v[9:10], -v[55:56], v[29:30], v[9:10]
	v_fma_f64 v[9:10], -v[57:58], v[92:93], v[9:10]
	s_waitcnt lgkmcnt(0)
	v_fma_f64 v[9:10], -v[59:60], v[81:82], v[9:10]
	v_fma_f64 v[9:10], -v[61:62], v[79:80], v[9:10]
	ds_read2_b64 v[79:82], v13 offset1:1
	v_mov_b32_e32 v13, 0xdc8
	ds_read2_b64 v[90:93], v13 offset1:1
	s_waitcnt lgkmcnt(1)
	v_fma_f64 v[9:10], -v[63:64], v[79:80], v[9:10]
	v_fma_f64 v[9:10], -v[65:66], v[104:105], v[9:10]
	ds_read_b128 v[102:105], v89 offset:176
	v_mov_b32_e32 v13, 0xf88
	s_waitcnt lgkmcnt(0)
	v_fma_f64 v[5:6], -v[53:54], v[102:103], v[5:6]
	v_fma_f64 v[9:10], -v[67:68], v[90:91], v[9:10]
	v_fma_f64 v[5:6], -v[37:38], v[11:12], v[5:6]
	v_fma_f64 v[9:10], -v[69:70], v[96:97], v[9:10]
	ds_read2_b64 v[94:97], v13 offset1:1
	v_mov_b32_e32 v13, 0x1148
	ds_read2_b64 v[98:101], v13 offset1:1
	v_mov_b32_e32 v13, 0x1308
	s_waitcnt lgkmcnt(1)
	v_fma_f64 v[9:10], -v[71:72], v[94:95], v[9:10]
	v_fma_f64 v[9:10], -v[73:74], v[85:86], v[9:10]
	s_waitcnt lgkmcnt(0)
	v_fma_f64 v[9:10], -v[75:76], v[98:99], v[9:10]
	v_fma_f64 v[9:10], -v[77:78], v[27:28], v[9:10]
	ds_read2_b64 v[25:28], v13 offset1:1
	s_waitcnt lgkmcnt(0)
	v_mul_f64 v[79:80], v[25:26], v[9:10]
	ds_read_b128 v[9:12], v89 offset:624
	s_waitcnt lgkmcnt(0)
	v_fma_f64 v[5:6], -v[39:40], v[9:10], v[5:6]
	v_fma_f64 v[9:10], -v[53:54], v[104:105], v[7:8]
	ds_write2_b64 v88, v[77:78], v[79:80] offset0:48 offset1:76
	v_fma_f64 v[5:6], -v[41:42], v[15:16], v[5:6]
	ds_read_b128 v[13:16], v89 offset:1072
	s_waitcnt lgkmcnt(0)
	v_fma_f64 v[5:6], -v[43:44], v[13:14], v[5:6]
	v_fma_f64 v[5:6], -v[45:46], v[19:20], v[5:6]
	ds_read_b128 v[17:20], v89 offset:1520
	s_waitcnt lgkmcnt(0)
	v_fma_f64 v[5:6], -v[49:50], v[17:18], v[5:6]
	v_fma_f64 v[5:6], -v[47:48], v[23:24], v[5:6]
	ds_read_b128 v[21:24], v89 offset:1968
	s_waitcnt lgkmcnt(0)
	v_fma_f64 v[5:6], -v[51:52], v[21:22], v[5:6]
	v_fma_f64 v[5:6], -v[55:56], v[31:32], v[5:6]
	ds_read_b128 v[29:32], v89 offset:2416
	s_waitcnt lgkmcnt(0)
	v_fma_f64 v[5:6], -v[57:58], v[29:30], v[5:6]
	v_fma_f64 v[5:6], -v[59:60], v[83:84], v[5:6]
	ds_read_b128 v[83:86], v89 offset:2864
	s_waitcnt lgkmcnt(0)
	v_fma_f64 v[5:6], -v[61:62], v[83:84], v[5:6]
	v_fma_f64 v[5:6], -v[63:64], v[81:82], v[5:6]
	ds_read_b128 v[81:84], v89 offset:3312
	s_waitcnt lgkmcnt(0)
	v_fma_f64 v[5:6], -v[65:66], v[81:82], v[5:6]
	v_fma_f64 v[5:6], -v[67:68], v[92:93], v[5:6]
	ds_read_b128 v[90:93], v89 offset:3760
	s_waitcnt lgkmcnt(0)
	v_fma_f64 v[5:6], -v[69:70], v[90:91], v[5:6]
	v_fma_f64 v[5:6], -v[71:72], v[96:97], v[5:6]
	ds_read_b128 v[94:97], v89 offset:4208
	s_waitcnt lgkmcnt(0)
	v_fma_f64 v[5:6], -v[73:74], v[94:95], v[5:6]
	v_fma_f64 v[5:6], -v[75:76], v[100:101], v[5:6]
	ds_read_b128 v[98:101], v89 offset:4656
	s_waitcnt lgkmcnt(0)
	v_fma_f64 v[5:6], -v[77:78], v[98:99], v[5:6]
	v_fma_f64 v[5:6], -v[79:80], v[27:28], v[5:6]
	ds_read_b128 v[25:28], v89 offset:5104
	s_waitcnt lgkmcnt(0)
	v_mul_f64 v[81:82], v[25:26], v[5:6]
	ds_read2_b64 v[5:8], v89 offset0:51 offset1:52
	s_waitcnt lgkmcnt(0)
	v_fma_f64 v[5:6], -v[37:38], v[5:6], v[9:10]
	v_fma_f64 v[5:6], -v[39:40], v[11:12], v[5:6]
	ds_read2_b64 v[9:12], v89 offset0:107 offset1:108
	s_waitcnt lgkmcnt(0)
	v_fma_f64 v[5:6], -v[41:42], v[9:10], v[5:6]
	v_mov_b32_e32 v9, 0x898
	ds_read2_b64 v[102:105], v9 offset1:1
	v_mov_b32_e32 v9, 0xa58
	ds_read2_b64 v[106:109], v9 offset1:1
	;; [unrolled: 2-line block ×3, first 2 shown]
	v_fma_f64 v[5:6], -v[43:44], v[15:16], v[5:6]
	ds_read2_b64 v[13:16], v89 offset0:163 offset1:164
	s_waitcnt lgkmcnt(0)
	v_fma_f64 v[5:6], -v[45:46], v[13:14], v[5:6]
	v_fma_f64 v[5:6], -v[49:50], v[19:20], v[5:6]
	ds_read2_b64 v[17:20], v89 offset0:219 offset1:220
	s_waitcnt lgkmcnt(0)
	v_fma_f64 v[5:6], -v[47:48], v[17:18], v[5:6]
	v_fma_f64 v[5:6], -v[51:52], v[23:24], v[5:6]
	ds_read_b128 v[21:24], v89 offset:1536
	v_mov_b32_e32 v9, 0xdd8
	v_fma_f64 v[5:6], -v[55:56], v[102:103], v[5:6]
	v_fma_f64 v[5:6], -v[57:58], v[31:32], v[5:6]
	;; [unrolled: 1-line block ×6, first 2 shown]
	ds_read2_b64 v[83:86], v9 offset1:1
	v_mov_b32_e32 v9, 0xf98
	s_waitcnt lgkmcnt(0)
	v_fma_f64 v[5:6], -v[67:68], v[83:84], v[5:6]
	v_fma_f64 v[5:6], -v[69:70], v[92:93], v[5:6]
	ds_read2_b64 v[90:93], v9 offset1:1
	v_mov_b32_e32 v9, 0x1158
	s_waitcnt lgkmcnt(0)
	v_fma_f64 v[5:6], -v[71:72], v[90:91], v[5:6]
	v_fma_f64 v[5:6], -v[73:74], v[96:97], v[5:6]
	;; [unrolled: 5-line block ×3, first 2 shown]
	ds_read2_b64 v[98:101], v9 offset1:1
	v_mov_b32_e32 v9, 0x14d8
	ds_read2_b64 v[114:117], v9 offset1:1
	s_waitcnt lgkmcnt(1)
	v_fma_f64 v[5:6], -v[79:80], v[98:99], v[5:6]
	v_fma_f64 v[5:6], -v[81:82], v[27:28], v[5:6]
	ds_read_b128 v[27:30], v89 offset:640
	s_waitcnt lgkmcnt(1)
	v_mul_f64 v[83:84], v[114:115], v[5:6]
	v_fma_f64 v[5:6], -v[53:54], v[118:119], v[33:34]
	ds_read_b128 v[31:34], v89 offset:1088
	ds_write2_b64 v88, v[81:82], v[83:84] offset0:104 offset1:132
	v_fma_f64 v[5:6], -v[37:38], v[7:8], v[5:6]
	s_waitcnt lgkmcnt(2)
	v_fma_f64 v[5:6], -v[39:40], v[27:28], v[5:6]
	ds_read_b128 v[25:28], v89 offset:1984
	v_fma_f64 v[5:6], -v[41:42], v[11:12], v[5:6]
	s_waitcnt lgkmcnt(2)
	v_fma_f64 v[5:6], -v[43:44], v[31:32], v[5:6]
	v_fma_f64 v[5:6], -v[45:46], v[15:16], v[5:6]
	;; [unrolled: 1-line block ×4, first 2 shown]
	ds_read_b128 v[19:22], v89 offset:2432
	s_waitcnt lgkmcnt(1)
	v_fma_f64 v[5:6], -v[51:52], v[25:26], v[5:6]
	v_fma_f64 v[5:6], -v[55:56], v[104:105], v[5:6]
	s_waitcnt lgkmcnt(0)
	v_fma_f64 v[5:6], -v[57:58], v[19:20], v[5:6]
	ds_read_b128 v[17:20], v89 offset:2880
	v_fma_f64 v[5:6], -v[59:60], v[108:109], v[5:6]
	s_waitcnt lgkmcnt(0)
	v_fma_f64 v[5:6], -v[61:62], v[17:18], v[5:6]
	ds_read_b128 v[15:18], v89 offset:3328
	;; [unrolled: 4-line block ×4, first 2 shown]
	v_fma_f64 v[5:6], -v[71:72], v[92:93], v[5:6]
	ds_read2_b64 v[90:93], v89 offset0:53 offset1:54
	s_waitcnt lgkmcnt(1)
	v_fma_f64 v[5:6], -v[73:74], v[11:12], v[5:6]
	ds_read_b128 v[9:12], v89 offset:4672
	v_fma_f64 v[5:6], -v[75:76], v[96:97], v[5:6]
	ds_read2_b64 v[94:97], v89 offset0:165 offset1:166
	s_waitcnt lgkmcnt(2)
	v_fma_f64 v[1:2], -v[37:38], v[92:93], v[1:2]
	s_waitcnt lgkmcnt(1)
	v_fma_f64 v[5:6], -v[77:78], v[9:10], v[5:6]
	ds_read_b128 v[7:10], v89 offset:5120
	v_fma_f64 v[5:6], -v[79:80], v[100:101], v[5:6]
	ds_read2_b64 v[98:101], v89 offset0:221 offset1:222
	s_waitcnt lgkmcnt(1)
	v_fma_f64 v[5:6], -v[81:82], v[7:8], v[5:6]
	v_fma_f64 v[25:26], -v[83:84], v[116:117], v[5:6]
	ds_read_b128 v[5:8], v89 offset:5568
	s_waitcnt lgkmcnt(0)
	v_mul_f64 v[85:86], v[5:6], v[25:26]
	v_fma_f64 v[5:6], -v[53:54], v[120:121], v[35:36]
	v_fma_f64 v[5:6], -v[37:38], v[90:91], v[5:6]
	;; [unrolled: 1-line block ×3, first 2 shown]
	ds_read2_b64 v[29:32], v89 offset0:109 offset1:110
	s_waitcnt lgkmcnt(0)
	v_fma_f64 v[5:6], -v[41:42], v[29:30], v[5:6]
	v_fma_f64 v[5:6], -v[43:44], v[33:34], v[5:6]
	;; [unrolled: 1-line block ×4, first 2 shown]
	v_mov_b32_e32 v23, 0x8a8
	ds_read2_b64 v[102:105], v23 offset1:1
	v_fma_f64 v[5:6], -v[47:48], v[98:99], v[5:6]
	v_fma_f64 v[5:6], -v[51:52], v[27:28], v[5:6]
	ds_read_b128 v[27:30], v89 offset:656
	s_waitcnt lgkmcnt(0)
	v_fma_f64 v[1:2], -v[39:40], v[27:28], v[1:2]
	ds_read_b128 v[25:28], v89 offset:1104
	v_fma_f64 v[5:6], -v[55:56], v[102:103], v[5:6]
	v_fma_f64 v[1:2], -v[41:42], v[31:32], v[1:2]
	ds_read_b128 v[31:34], v89 offset:6032
	v_fma_f64 v[5:6], -v[57:58], v[21:22], v[5:6]
	v_mov_b32_e32 v21, 0xa68
	ds_read2_b64 v[106:109], v21 offset1:1
	s_waitcnt lgkmcnt(2)
	v_fma_f64 v[1:2], -v[43:44], v[25:26], v[1:2]
	ds_read_b128 v[23:26], v89 offset:1552
	s_waitcnt lgkmcnt(1)
	v_fma_f64 v[5:6], -v[59:60], v[106:107], v[5:6]
	v_fma_f64 v[1:2], -v[45:46], v[96:97], v[1:2]
	v_fma_f64 v[5:6], -v[61:62], v[19:20], v[5:6]
	v_mov_b32_e32 v19, 0xc28
	ds_read2_b64 v[110:113], v19 offset1:1
	s_waitcnt lgkmcnt(1)
	v_fma_f64 v[1:2], -v[49:50], v[23:24], v[1:2]
	ds_read_b128 v[21:24], v89 offset:2000
	s_waitcnt lgkmcnt(1)
	v_fma_f64 v[5:6], -v[63:64], v[110:111], v[5:6]
	v_fma_f64 v[1:2], -v[47:48], v[100:101], v[1:2]
	;; [unrolled: 9-line block ×7, first 2 shown]
	v_fma_f64 v[5:6], -v[85:86], v[7:8], v[5:6]
	v_mov_b32_e32 v7, 0x16a8
	ds_read2_b64 v[134:137], v7 offset1:1
	s_waitcnt lgkmcnt(1)
	v_fma_f64 v[1:2], -v[73:74], v[11:12], v[1:2]
	ds_read_b128 v[9:12], v89 offset:4688
	s_waitcnt lgkmcnt(1)
	v_mul_f64 v[35:36], v[134:135], v[5:6]
	v_fma_f64 v[1:2], -v[75:76], v[124:125], v[1:2]
	ds_write2_b64 v88, v[85:86], v[35:36] offset0:160 offset1:188
	s_waitcnt lgkmcnt(1)
	v_fma_f64 v[1:2], -v[77:78], v[9:10], v[1:2]
	ds_read_b128 v[7:10], v89 offset:5136
	v_fma_f64 v[1:2], -v[79:80], v[128:129], v[1:2]
	s_waitcnt lgkmcnt(0)
	v_fma_f64 v[1:2], -v[81:82], v[7:8], v[1:2]
	ds_read_b128 v[5:8], v89 offset:5584
	v_fma_f64 v[1:2], -v[83:84], v[132:133], v[1:2]
	s_waitcnt lgkmcnt(0)
	v_fma_f64 v[1:2], -v[85:86], v[5:6], v[1:2]
	v_fma_f64 v[1:2], -v[35:36], v[136:137], v[1:2]
	v_mul_f64 v[1:2], v[31:32], v[1:2]
	v_fma_f64 v[31:32], -v[53:54], v[140:141], v[3:4]
	ds_read2_b64 v[3:6], v89 offset0:55 offset1:111
	s_waitcnt lgkmcnt(0)
	v_fma_f64 v[3:4], -v[37:38], v[3:4], v[31:32]
	v_fma_f64 v[3:4], -v[39:40], v[29:30], v[3:4]
	;; [unrolled: 1-line block ×4, first 2 shown]
	ds_read2_b64 v[3:6], v89 offset0:167 offset1:223
	s_waitcnt lgkmcnt(0)
	v_fma_f64 v[3:4], -v[45:46], v[3:4], v[27:28]
	v_fma_f64 v[3:4], -v[49:50], v[25:26], v[3:4]
	v_add_u32_e64 v25, s11, 0
	s_mov_b32 s11, 28
	v_fma_f64 v[3:4], -v[47:48], v[5:6], v[3:4]
	v_fma_f64 v[23:24], -v[51:52], v[23:24], v[3:4]
	ds_read2_b64 v[3:6], v25 offset0:23 offset1:79
	s_waitcnt lgkmcnt(0)
	v_fma_f64 v[3:4], -v[55:56], v[3:4], v[23:24]
	v_fma_f64 v[3:4], -v[57:58], v[21:22], v[3:4]
	;; [unrolled: 1-line block ×4, first 2 shown]
	ds_read2_b64 v[3:6], v25 offset0:135 offset1:191
	s_waitcnt lgkmcnt(0)
	v_fma_f64 v[3:4], -v[63:64], v[3:4], v[19:20]
	v_fma_f64 v[3:4], -v[65:66], v[17:18], v[3:4]
	;; [unrolled: 1-line block ×4, first 2 shown]
	v_add_u32_e64 v3, s10, 0
	ds_read2_b64 v[3:6], v3 offset0:119 offset1:175
	s_waitcnt lgkmcnt(0)
	v_fma_f64 v[3:4], -v[71:72], v[3:4], v[15:16]
	v_fma_f64 v[3:4], -v[73:74], v[13:14], v[3:4]
	;; [unrolled: 1-line block ×4, first 2 shown]
	v_add_u32_e64 v3, s8, 0
	s_movk_i32 s8, 0x1400
	ds_read2_b64 v[3:6], v3 offset0:103 offset1:159
	s_waitcnt lgkmcnt(0)
	v_fma_f64 v[3:4], -v[79:80], v[3:4], v[11:12]
	v_fma_f64 v[3:4], -v[81:82], v[9:10], v[3:4]
	;; [unrolled: 1-line block ×4, first 2 shown]
	v_add_u32_e64 v3, s8, 0
	ds_read2_b64 v[3:6], v3 offset0:87 offset1:143
	s_waitcnt lgkmcnt(0)
	v_fma_f64 v[3:4], -v[35:36], v[3:4], v[7:8]
	v_fma_f64 v[3:4], -v[1:2], v[33:34], v[3:4]
	v_mul_f64 v[3:4], v[5:6], v[3:4]
	ds_write2_b64 v88, v[1:2], v[3:4] offset0:216 offset1:244
.LBB99_35:
	s_cmp_lt_i32 s11, s22
	s_cbranch_scc0 .LBB99_46
; %bb.36:
	s_add_i32 s8, s11, 23
	s_cmp_ge_u32 s8, s22
	s_cbranch_scc1 .LBB99_41
; %bb.37:
	s_mul_i32 s10, s11, 0xe0
	v_add_u32_e32 v90, s10, v87
	ds_read2_b64 v[47:50], v90 offset1:28
	ds_read2_b64 v[43:46], v90 offset0:56 offset1:84
	ds_read2_b64 v[39:42], v90 offset0:112 offset1:140
	;; [unrolled: 1-line block ×4, first 2 shown]
	v_add_u32_e32 v1, 0x800, v90
	ds_read2_b64 v[27:30], v1 offset0:24 offset1:52
	ds_read2_b64 v[23:26], v1 offset0:80 offset1:108
	;; [unrolled: 1-line block ×4, first 2 shown]
	v_add_u32_e32 v1, 0xc00, v90
	v_add_u32_e32 v9, 0x1000, v90
	ds_read2_b64 v[5:8], v1 offset0:120 offset1:148
	ds_read2_b64 v[1:4], v9 offset0:48 offset1:76
	;; [unrolled: 1-line block ×3, first 2 shown]
	s_andn2_b64 vcc, exec, s[4:5]
	s_lshl_b32 s5, s11, 3
	s_cbranch_vccnz .LBB99_40
; %bb.38:
	v_mov_b32_e32 v9, 0x1880
	v_lshl_add_u32 v9, v0, 3, v9
	s_mov_b32 s4, s5
	s_mov_b32 s12, s11
.LBB99_39:                              ; =>This Inner Loop Header: Depth=1
	v_mov_b32_e32 v10, s4
	ds_read_b64 v[88:89], v9
	ds_read_b128 v[51:54], v10
	ds_read_b128 v[55:58], v10 offset:16
	ds_read_b128 v[59:62], v10 offset:32
	;; [unrolled: 1-line block ×11, first 2 shown]
	s_add_i32 s12, s12, -1
	s_addk_i32 s4, 0xe0
	s_cmp_lg_u32 s12, 0
	s_waitcnt lgkmcnt(11)
	v_fma_f64 v[47:48], -v[88:89], v[51:52], v[47:48]
	v_fma_f64 v[49:50], -v[88:89], v[53:54], v[49:50]
	s_waitcnt lgkmcnt(10)
	v_fma_f64 v[43:44], -v[88:89], v[55:56], v[43:44]
	v_fma_f64 v[45:46], -v[88:89], v[57:58], v[45:46]
	;; [unrolled: 3-line block ×12, first 2 shown]
	v_add_u32_e32 v9, 0xe0, v9
	s_cbranch_scc1 .LBB99_39
.LBB99_40:
	s_add_i32 s12, s5, s10
	v_mov_b32_e32 v9, s12
	ds_read_b128 v[51:54], v9
	ds_read_b128 v[55:58], v9 offset:16
	ds_read_b128 v[59:62], v9 offset:32
	s_add_i32 s13, s10, 0xe0
	v_add_u32_e32 v10, s13, v87
	s_waitcnt lgkmcnt(2)
	v_mul_f64 v[77:78], v[51:52], v[47:48]
	s_add_i32 s13, s5, s13
	v_mov_b32_e32 v79, s13
	s_add_i32 s14, s10, 0x1c0
	s_add_i32 s13, s5, s14
	;; [unrolled: 1-line block ×3, first 2 shown]
	s_mulk_i32 s11, 0xe8
	v_mov_b32_e32 v124, s11
	v_fma_f64 v[51:52], -v[77:78], v[53:54], v[49:50]
	ds_read2_b64 v[47:50], v9 offset0:29 offset1:30
	s_waitcnt lgkmcnt(2)
	v_fma_f64 v[43:44], -v[77:78], v[55:56], v[43:44]
	s_waitcnt lgkmcnt(1)
	v_fma_f64 v[39:40], -v[77:78], v[59:60], v[39:40]
	v_fma_f64 v[41:42], -v[77:78], v[61:62], v[41:42]
	ds_read2_b64 v[59:62], v79 offset0:5 offset1:6
	v_fma_f64 v[53:54], -v[77:78], v[57:58], v[45:46]
	ds_write_b64 v90, v[77:78]
	s_waitcnt lgkmcnt(2)
	v_mul_f64 v[47:48], v[47:48], v[51:52]
	v_fma_f64 v[43:44], -v[47:48], v[49:50], v[43:44]
	ds_read_b128 v[49:52], v9 offset:464
	ds_write_b64 v10, v[47:48]
	v_add_u32_e32 v10, s14, v87
	s_add_i32 s14, s10, 0x2a0
	s_waitcnt lgkmcnt(3)
	v_fma_f64 v[41:42], -v[47:48], v[59:60], v[41:42]
	s_waitcnt lgkmcnt(1)
	v_mul_f64 v[49:50], v[49:50], v[43:44]
	ds_read2_b64 v[43:46], v79 offset0:3 offset1:4
	s_waitcnt lgkmcnt(0)
	v_fma_f64 v[43:44], -v[47:48], v[43:44], v[53:54]
	v_fma_f64 v[39:40], -v[47:48], v[45:46], v[39:40]
	ds_write_b64 v10, v[49:50]
	v_add_u32_e32 v10, s14, v87
	v_fma_f64 v[43:44], -v[49:50], v[51:52], v[43:44]
	ds_read2_b64 v[51:54], v9 offset0:87 offset1:88
	s_waitcnt lgkmcnt(0)
	v_mul_f64 v[43:44], v[51:52], v[43:44]
	ds_write_b64 v10, v[43:44]
	v_mov_b32_e32 v10, s13
	ds_read_b128 v[55:58], v10 offset:32
	s_add_i32 s13, s5, s14
	v_mov_b32_e32 v80, s13
	s_add_i32 s14, s10, 0x380
	v_add_u32_e32 v45, s14, v87
	s_waitcnt lgkmcnt(0)
	v_fma_f64 v[39:40], -v[49:50], v[55:56], v[39:40]
	v_fma_f64 v[41:42], -v[49:50], v[57:58], v[41:42]
	s_add_i32 s13, s5, s14
	s_add_i32 s14, s10, 0x460
	v_mov_b32_e32 v91, s13
	s_add_i32 s13, s5, s14
	ds_read2_b64 v[55:58], v80 offset0:5 offset1:6
	v_mov_b32_e32 v82, s13
	v_fma_f64 v[39:40], -v[43:44], v[53:54], v[39:40]
	ds_read_b128 v[51:54], v9 offset:928
	s_waitcnt lgkmcnt(1)
	v_fma_f64 v[41:42], -v[43:44], v[55:56], v[41:42]
	s_waitcnt lgkmcnt(0)
	v_mul_f64 v[39:40], v[51:52], v[39:40]
	v_fma_f64 v[41:42], -v[39:40], v[53:54], v[41:42]
	ds_read2_b64 v[51:54], v9 offset0:145 offset1:146
	ds_write_b64 v45, v[39:40]
	v_add_u32_e32 v45, s14, v87
	s_add_i32 s14, s10, 0x540
	s_add_i32 s13, s5, s14
	v_mov_b32_e32 v120, s13
	s_waitcnt lgkmcnt(1)
	v_mul_f64 v[41:42], v[51:52], v[41:42]
	ds_write_b64 v45, v[41:42]
	ds_read_b128 v[63:66], v9 offset:48
	ds_read_b128 v[67:70], v9 offset:64
	s_waitcnt lgkmcnt(1)
	v_fma_f64 v[35:36], -v[77:78], v[63:64], v[35:36]
	s_waitcnt lgkmcnt(0)
	v_fma_f64 v[31:32], -v[77:78], v[67:68], v[31:32]
	v_fma_f64 v[35:36], -v[47:48], v[61:62], v[35:36]
	ds_read_b128 v[59:62], v10 offset:48
	ds_read_b128 v[71:74], v10 offset:64
	s_waitcnt lgkmcnt(1)
	v_fma_f64 v[35:36], -v[49:50], v[59:60], v[35:36]
	v_fma_f64 v[35:36], -v[43:44], v[57:58], v[35:36]
	ds_read_b128 v[55:58], v91 offset:48
	ds_read_b128 v[83:86], v91 offset:64
	;; [unrolled: 1-line block ×6, first 2 shown]
	s_waitcnt lgkmcnt(5)
	v_fma_f64 v[35:36], -v[39:40], v[55:56], v[35:36]
	s_waitcnt lgkmcnt(2)
	v_fma_f64 v[23:24], -v[77:78], v[92:93], v[23:24]
	;; [unrolled: 2-line block ×4, first 2 shown]
	v_fma_f64 v[35:36], -v[41:42], v[53:54], v[35:36]
	ds_read_b128 v[51:54], v9 offset:1392
	s_waitcnt lgkmcnt(0)
	v_mul_f64 v[45:46], v[51:52], v[35:36]
	v_fma_f64 v[51:52], -v[77:78], v[65:66], v[37:38]
	v_add_u32_e32 v35, s14, v87
	s_add_i32 s14, s10, 0x620
	ds_read2_b64 v[65:68], v82 offset0:9 offset1:10
	s_add_i32 s13, s5, s14
	ds_write_b64 v35, v[45:46]
	ds_read2_b64 v[35:38], v79 offset0:7 offset1:8
	s_waitcnt lgkmcnt(0)
	v_fma_f64 v[35:36], -v[47:48], v[35:36], v[51:52]
	v_fma_f64 v[31:32], -v[47:48], v[37:38], v[31:32]
	;; [unrolled: 1-line block ×3, first 2 shown]
	ds_read2_b64 v[59:62], v80 offset0:7 offset1:8
	v_fma_f64 v[31:32], -v[49:50], v[71:72], v[31:32]
	s_waitcnt lgkmcnt(0)
	v_fma_f64 v[35:36], -v[43:44], v[59:60], v[35:36]
	v_fma_f64 v[31:32], -v[43:44], v[61:62], v[31:32]
	;; [unrolled: 1-line block ×3, first 2 shown]
	ds_read2_b64 v[55:58], v82 offset0:7 offset1:8
	v_fma_f64 v[31:32], -v[39:40], v[83:84], v[31:32]
	s_waitcnt lgkmcnt(0)
	v_fma_f64 v[35:36], -v[41:42], v[55:56], v[35:36]
	v_fma_f64 v[31:32], -v[41:42], v[57:58], v[31:32]
	ds_read2_b64 v[57:60], v80 offset0:9 offset1:10
	v_fma_f64 v[35:36], -v[45:46], v[53:54], v[35:36]
	ds_read2_b64 v[51:54], v9 offset0:203 offset1:204
	s_waitcnt lgkmcnt(0)
	v_mul_f64 v[55:56], v[51:52], v[35:36]
	v_add_u32_e32 v35, s14, v87
	s_add_i32 s14, s10, 0x700
	ds_write_b64 v35, v[55:56]
	ds_read_b128 v[35:38], v120 offset:64
	s_waitcnt lgkmcnt(0)
	v_fma_f64 v[31:32], -v[45:46], v[35:36], v[31:32]
	v_fma_f64 v[35:36], -v[77:78], v[69:70], v[33:34]
	;; [unrolled: 1-line block ×3, first 2 shown]
	ds_read_b128 v[51:54], v9 offset:1856
	s_waitcnt lgkmcnt(0)
	v_mul_f64 v[63:64], v[51:52], v[31:32]
	v_add_u32_e32 v31, s14, v87
	ds_write_b64 v31, v[63:64]
	ds_read2_b64 v[31:34], v79 offset0:9 offset1:10
	s_waitcnt lgkmcnt(0)
	v_fma_f64 v[31:32], -v[47:48], v[31:32], v[35:36]
	v_fma_f64 v[31:32], -v[49:50], v[73:74], v[31:32]
	ds_read_b128 v[71:74], v9 offset:80
	s_waitcnt lgkmcnt(0)
	v_fma_f64 v[27:28], -v[77:78], v[71:72], v[27:28]
	v_fma_f64 v[31:32], -v[43:44], v[57:58], v[31:32]
	;; [unrolled: 1-line block ×4, first 2 shown]
	v_mov_b32_e32 v86, s13
	s_add_i32 s13, s5, s14
	s_add_i32 s14, s12, 0x828
	v_mov_b32_e32 v121, s13
	v_fma_f64 v[31:32], -v[41:42], v[65:66], v[31:32]
	v_fma_f64 v[31:32], -v[45:46], v[37:38], v[31:32]
	ds_read2_b64 v[35:38], v86 offset0:9 offset1:10
	s_waitcnt lgkmcnt(0)
	v_fma_f64 v[31:32], -v[55:56], v[35:36], v[31:32]
	v_mov_b32_e32 v35, s14
	s_add_i32 s14, s10, 0x7e0
	s_add_i32 s13, s5, s14
	v_mov_b32_e32 v88, s13
	v_fma_f64 v[31:32], -v[63:64], v[53:54], v[31:32]
	ds_read2_b64 v[51:54], v35 offset1:1
	s_waitcnt lgkmcnt(0)
	v_mul_f64 v[69:70], v[51:52], v[31:32]
	v_add_u32_e32 v31, s14, v87
	s_add_i32 s14, s10, 0x8c0
	s_add_i32 s13, s5, s14
	v_mov_b32_e32 v122, s13
	ds_read_b128 v[96:99], v122 offset:112
	ds_write_b64 v31, v[69:70]
	ds_read_b128 v[31:34], v10 offset:80
	s_waitcnt lgkmcnt(0)
	v_fma_f64 v[27:28], -v[49:50], v[31:32], v[27:28]
	v_fma_f64 v[31:32], -v[77:78], v[73:74], v[29:30]
	;; [unrolled: 1-line block ×3, first 2 shown]
	ds_read_b128 v[57:60], v91 offset:80
	s_waitcnt lgkmcnt(0)
	v_fma_f64 v[27:28], -v[39:40], v[57:58], v[27:28]
	v_fma_f64 v[27:28], -v[41:42], v[67:68], v[27:28]
	ds_read_b128 v[65:68], v120 offset:80
	s_waitcnt lgkmcnt(0)
	v_fma_f64 v[27:28], -v[45:46], v[65:66], v[27:28]
	v_fma_f64 v[27:28], -v[55:56], v[37:38], v[27:28]
	;; [unrolled: 4-line block ×3, first 2 shown]
	ds_read_b128 v[51:54], v9 offset:2320
	s_waitcnt lgkmcnt(0)
	v_mul_f64 v[71:72], v[51:52], v[27:28]
	v_add_u32_e32 v27, s14, v87
	s_add_i32 s14, s12, 0x9f8
	s_addk_i32 s12, 0xbc8
	ds_write_b64 v27, v[71:72]
	ds_read2_b64 v[27:30], v79 offset0:11 offset1:12
	s_waitcnt lgkmcnt(0)
	v_fma_f64 v[27:28], -v[47:48], v[27:28], v[31:32]
	v_fma_f64 v[23:24], -v[47:48], v[29:30], v[23:24]
	;; [unrolled: 1-line block ×3, first 2 shown]
	ds_read2_b64 v[31:34], v80 offset0:11 offset1:12
	s_waitcnt lgkmcnt(0)
	v_fma_f64 v[27:28], -v[43:44], v[31:32], v[27:28]
	v_mov_b32_e32 v31, s14
	s_add_i32 s14, s10, 0x9a0
	s_add_i32 s13, s5, s14
	v_mov_b32_e32 v89, s13
	v_fma_f64 v[27:28], -v[39:40], v[59:60], v[27:28]
	ds_read2_b64 v[57:60], v82 offset0:11 offset1:12
	s_waitcnt lgkmcnt(0)
	v_fma_f64 v[27:28], -v[41:42], v[57:58], v[27:28]
	v_fma_f64 v[27:28], -v[45:46], v[67:68], v[27:28]
	ds_read2_b64 v[65:68], v86 offset0:11 offset1:12
	s_waitcnt lgkmcnt(0)
	v_fma_f64 v[27:28], -v[55:56], v[65:66], v[27:28]
	v_fma_f64 v[27:28], -v[63:64], v[37:38], v[27:28]
	ds_read2_b64 v[35:38], v88 offset0:11 offset1:12
	s_waitcnt lgkmcnt(0)
	v_fma_f64 v[27:28], -v[69:70], v[35:36], v[27:28]
	v_fma_f64 v[27:28], -v[71:72], v[53:54], v[27:28]
	ds_read2_b64 v[51:54], v31 offset1:1
	s_waitcnt lgkmcnt(0)
	v_mul_f64 v[73:74], v[51:52], v[27:28]
	v_add_u32_e32 v27, s14, v87
	s_add_i32 s14, s10, 0xa80
	s_add_i32 s13, s5, s14
	v_mov_b32_e32 v123, s13
	s_add_i32 s13, s10, 0xc40
	ds_write_b64 v27, v[73:74]
	ds_read_b128 v[27:30], v10 offset:96
	s_waitcnt lgkmcnt(0)
	v_fma_f64 v[23:24], -v[49:50], v[27:28], v[23:24]
	v_fma_f64 v[27:28], -v[77:78], v[94:95], v[25:26]
	ds_read_b128 v[92:95], v9 offset:112
	s_waitcnt lgkmcnt(0)
	v_fma_f64 v[19:20], -v[77:78], v[92:93], v[19:20]
	v_fma_f64 v[23:24], -v[43:44], v[33:34], v[23:24]
	;; [unrolled: 4-line block ×6, first 2 shown]
	ds_read_b128 v[51:54], v9 offset:2784
	s_waitcnt lgkmcnt(0)
	v_mul_f64 v[75:76], v[51:52], v[23:24]
	v_add_u32_e32 v23, s14, v87
	ds_write_b64 v23, v[75:76]
	ds_read2_b64 v[23:26], v79 offset0:13 offset1:14
	s_waitcnt lgkmcnt(0)
	v_fma_f64 v[23:24], -v[47:48], v[23:24], v[27:28]
	v_fma_f64 v[19:20], -v[47:48], v[25:26], v[19:20]
	;; [unrolled: 1-line block ×3, first 2 shown]
	ds_read2_b64 v[27:30], v80 offset0:13 offset1:14
	s_waitcnt lgkmcnt(0)
	v_fma_f64 v[23:24], -v[43:44], v[27:28], v[23:24]
	v_mov_b32_e32 v27, s12
	s_add_i32 s12, s10, 0xb60
	v_fma_f64 v[23:24], -v[39:40], v[33:34], v[23:24]
	ds_read2_b64 v[31:34], v82 offset0:13 offset1:14
	s_waitcnt lgkmcnt(0)
	v_fma_f64 v[23:24], -v[41:42], v[31:32], v[23:24]
	v_fma_f64 v[23:24], -v[45:46], v[59:60], v[23:24]
	ds_read2_b64 v[57:60], v86 offset0:13 offset1:14
	s_waitcnt lgkmcnt(0)
	v_fma_f64 v[23:24], -v[55:56], v[57:58], v[23:24]
	;; [unrolled: 4-line block ×4, first 2 shown]
	v_fma_f64 v[23:24], -v[75:76], v[53:54], v[23:24]
	ds_read2_b64 v[51:54], v27 offset1:1
	s_waitcnt lgkmcnt(0)
	v_mul_f64 v[61:62], v[51:52], v[23:24]
	v_add_u32_e32 v23, s12, v87
	s_add_i32 s12, s5, s12
	v_mov_b32_e32 v85, s12
	ds_read2_b64 v[112:115], v85 offset0:21 offset1:22
	s_add_i32 s12, s5, s13
	v_mov_b32_e32 v125, s12
	ds_read_b128 v[100:103], v125 offset:128
	ds_write_b64 v23, v[61:62]
	ds_read_b128 v[23:26], v10 offset:112
	s_waitcnt lgkmcnt(0)
	v_fma_f64 v[19:20], -v[49:50], v[23:24], v[19:20]
	v_fma_f64 v[23:24], -v[77:78], v[94:95], v[21:22]
	ds_read2_b64 v[92:95], v89 offset0:15 offset1:16
	v_fma_f64 v[19:20], -v[43:44], v[29:30], v[19:20]
	ds_read_b128 v[27:30], v91 offset:112
	s_waitcnt lgkmcnt(0)
	v_fma_f64 v[19:20], -v[39:40], v[27:28], v[19:20]
	v_fma_f64 v[19:20], -v[41:42], v[33:34], v[19:20]
	ds_read_b128 v[31:34], v120 offset:112
	s_waitcnt lgkmcnt(0)
	v_fma_f64 v[19:20], -v[45:46], v[31:32], v[19:20]
	;; [unrolled: 4-line block ×3, first 2 shown]
	v_fma_f64 v[19:20], -v[69:70], v[67:68], v[19:20]
	v_fma_f64 v[19:20], -v[71:72], v[96:97], v[19:20]
	;; [unrolled: 1-line block ×3, first 2 shown]
	ds_read_b128 v[35:38], v123 offset:112
	s_waitcnt lgkmcnt(0)
	v_fma_f64 v[19:20], -v[75:76], v[35:36], v[19:20]
	v_fma_f64 v[19:20], -v[61:62], v[53:54], v[19:20]
	ds_read_b128 v[51:54], v124 offset:3248
	s_waitcnt lgkmcnt(0)
	v_mul_f64 v[67:68], v[51:52], v[19:20]
	v_add_u32_e32 v19, s13, v87
	s_add_i32 s13, s11, 0xd98
	ds_write_b64 v19, v[67:68]
	ds_read2_b64 v[19:22], v79 offset0:15 offset1:16
	s_waitcnt lgkmcnt(0)
	v_fma_f64 v[19:20], -v[47:48], v[19:20], v[23:24]
	v_fma_f64 v[19:20], -v[49:50], v[25:26], v[19:20]
	ds_read2_b64 v[23:26], v80 offset0:15 offset1:16
	s_waitcnt lgkmcnt(0)
	v_fma_f64 v[19:20], -v[43:44], v[23:24], v[19:20]
	v_mov_b32_e32 v23, s13
	s_add_i32 s13, s10, 0xd20
	s_add_i32 s12, s5, s13
	v_mov_b32_e32 v81, s12
	v_fma_f64 v[19:20], -v[39:40], v[29:30], v[19:20]
	ds_read2_b64 v[27:30], v82 offset0:15 offset1:16
	s_waitcnt lgkmcnt(0)
	v_fma_f64 v[19:20], -v[41:42], v[27:28], v[19:20]
	v_fma_f64 v[19:20], -v[45:46], v[33:34], v[19:20]
	ds_read2_b64 v[31:34], v86 offset0:15 offset1:16
	s_waitcnt lgkmcnt(0)
	v_fma_f64 v[19:20], -v[55:56], v[31:32], v[19:20]
	;; [unrolled: 4-line block ×3, first 2 shown]
	v_fma_f64 v[19:20], -v[71:72], v[98:99], v[19:20]
	ds_read_b128 v[96:99], v9 offset:128
	s_waitcnt lgkmcnt(0)
	v_fma_f64 v[15:16], -v[77:78], v[96:97], v[15:16]
	v_fma_f64 v[19:20], -v[73:74], v[92:93], v[19:20]
	;; [unrolled: 1-line block ×4, first 2 shown]
	ds_read2_b64 v[35:38], v85 offset0:15 offset1:16
	s_waitcnt lgkmcnt(0)
	v_fma_f64 v[19:20], -v[61:62], v[35:36], v[19:20]
	v_fma_f64 v[19:20], -v[67:68], v[53:54], v[19:20]
	ds_read2_b64 v[51:54], v23 offset1:1
	s_waitcnt lgkmcnt(0)
	v_mul_f64 v[35:36], v[51:52], v[19:20]
	v_add_u32_e32 v19, s13, v87
	s_add_i32 s13, s10, 0xe00
	s_add_i32 s12, s5, s13
	v_mov_b32_e32 v126, s12
	ds_write_b64 v19, v[35:36]
	ds_read_b128 v[19:22], v10 offset:128
	s_waitcnt lgkmcnt(0)
	v_fma_f64 v[15:16], -v[49:50], v[19:20], v[15:16]
	v_fma_f64 v[19:20], -v[77:78], v[98:99], v[17:18]
	ds_read2_b64 v[96:99], v81 offset0:17 offset1:18
	v_fma_f64 v[15:16], -v[43:44], v[25:26], v[15:16]
	ds_read_b128 v[23:26], v91 offset:128
	s_waitcnt lgkmcnt(0)
	v_fma_f64 v[15:16], -v[39:40], v[23:24], v[15:16]
	v_fma_f64 v[15:16], -v[41:42], v[29:30], v[15:16]
	ds_read_b128 v[27:30], v120 offset:128
	s_waitcnt lgkmcnt(0)
	v_fma_f64 v[15:16], -v[45:46], v[27:28], v[15:16]
	;; [unrolled: 4-line block ×5, first 2 shown]
	v_fma_f64 v[15:16], -v[61:62], v[37:38], v[15:16]
	v_fma_f64 v[15:16], -v[67:68], v[100:101], v[15:16]
	;; [unrolled: 1-line block ×3, first 2 shown]
	ds_read_b128 v[51:54], v124 offset:3712
	s_waitcnt lgkmcnt(0)
	v_mul_f64 v[37:38], v[51:52], v[15:16]
	v_add_u32_e32 v15, s13, v87
	s_add_i32 s13, s11, 0xf68
	ds_write_b64 v15, v[37:38]
	ds_read2_b64 v[15:18], v79 offset0:17 offset1:18
	s_waitcnt lgkmcnt(0)
	v_fma_f64 v[15:16], -v[47:48], v[15:16], v[19:20]
	v_fma_f64 v[15:16], -v[49:50], v[21:22], v[15:16]
	ds_read2_b64 v[19:22], v80 offset0:17 offset1:18
	s_waitcnt lgkmcnt(0)
	v_fma_f64 v[15:16], -v[43:44], v[19:20], v[15:16]
	v_mov_b32_e32 v19, s13
	s_add_i32 s13, s10, 0xee0
	s_add_i32 s12, s5, s13
	v_mov_b32_e32 v83, s12
	v_fma_f64 v[15:16], -v[39:40], v[25:26], v[15:16]
	ds_read2_b64 v[23:26], v82 offset0:17 offset1:18
	s_waitcnt lgkmcnt(0)
	v_fma_f64 v[15:16], -v[41:42], v[23:24], v[15:16]
	v_fma_f64 v[15:16], -v[45:46], v[29:30], v[15:16]
	ds_read2_b64 v[27:30], v86 offset0:17 offset1:18
	s_waitcnt lgkmcnt(0)
	v_fma_f64 v[15:16], -v[55:56], v[27:28], v[15:16]
	;; [unrolled: 4-line block ×5, first 2 shown]
	v_fma_f64 v[15:16], -v[67:68], v[102:103], v[15:16]
	ds_read_b128 v[100:103], v9 offset:144
	s_waitcnt lgkmcnt(0)
	v_fma_f64 v[5:6], -v[77:78], v[100:101], v[5:6]
	v_fma_f64 v[15:16], -v[35:36], v[96:97], v[15:16]
	;; [unrolled: 1-line block ×4, first 2 shown]
	ds_read2_b64 v[51:54], v19 offset1:1
	s_waitcnt lgkmcnt(0)
	v_mul_f64 v[51:52], v[51:52], v[15:16]
	v_add_u32_e32 v15, s13, v87
	s_add_i32 s13, s10, 0xfc0
	s_add_i32 s12, s5, s13
	v_mov_b32_e32 v127, s12
	ds_write_b64 v15, v[51:52]
	ds_read_b128 v[15:18], v10 offset:144
	s_waitcnt lgkmcnt(0)
	v_fma_f64 v[5:6], -v[49:50], v[15:16], v[5:6]
	v_fma_f64 v[15:16], -v[77:78], v[102:103], v[7:8]
	ds_read2_b64 v[100:103], v85 offset0:19 offset1:20
	v_fma_f64 v[5:6], -v[43:44], v[21:22], v[5:6]
	ds_read_b128 v[19:22], v91 offset:144
	s_waitcnt lgkmcnt(0)
	v_fma_f64 v[5:6], -v[39:40], v[19:20], v[5:6]
	v_fma_f64 v[5:6], -v[41:42], v[25:26], v[5:6]
	ds_read_b128 v[23:26], v120 offset:144
	s_waitcnt lgkmcnt(0)
	v_fma_f64 v[5:6], -v[45:46], v[23:24], v[5:6]
	;; [unrolled: 4-line block ×7, first 2 shown]
	v_fma_f64 v[5:6], -v[51:52], v[53:54], v[5:6]
	v_mul_f64 v[57:58], v[104:105], v[5:6]
	v_add_u32_e32 v5, s13, v87
	s_add_i32 s13, s11, 0x1138
	s_addk_i32 s11, 0x1308
	ds_write_b64 v5, v[57:58]
	ds_read2_b64 v[5:8], v79 offset0:19 offset1:20
	s_waitcnt lgkmcnt(0)
	v_fma_f64 v[5:6], -v[47:48], v[5:6], v[15:16]
	v_fma_f64 v[1:2], -v[47:48], v[7:8], v[1:2]
	;; [unrolled: 1-line block ×3, first 2 shown]
	ds_read2_b64 v[15:18], v80 offset0:19 offset1:20
	s_waitcnt lgkmcnt(0)
	v_fma_f64 v[5:6], -v[43:44], v[15:16], v[5:6]
	v_mov_b32_e32 v15, s13
	s_add_i32 s13, s10, 0x10a0
	s_add_i32 s12, s5, s13
	v_mov_b32_e32 v84, s12
	v_fma_f64 v[5:6], -v[39:40], v[21:22], v[5:6]
	ds_read2_b64 v[19:22], v82 offset0:19 offset1:20
	s_waitcnt lgkmcnt(0)
	v_fma_f64 v[5:6], -v[41:42], v[19:20], v[5:6]
	v_fma_f64 v[5:6], -v[45:46], v[25:26], v[5:6]
	ds_read2_b64 v[23:26], v86 offset0:19 offset1:20
	s_waitcnt lgkmcnt(0)
	v_fma_f64 v[5:6], -v[55:56], v[23:24], v[5:6]
	;; [unrolled: 4-line block ×4, first 2 shown]
	v_fma_f64 v[5:6], -v[75:76], v[59:60], v[5:6]
	v_fma_f64 v[5:6], -v[61:62], v[100:101], v[5:6]
	;; [unrolled: 1-line block ×3, first 2 shown]
	ds_read2_b64 v[92:95], v81 offset0:19 offset1:20
	s_waitcnt lgkmcnt(0)
	v_fma_f64 v[5:6], -v[35:36], v[92:93], v[5:6]
	v_fma_f64 v[5:6], -v[37:38], v[98:99], v[5:6]
	ds_read2_b64 v[96:99], v83 offset0:19 offset1:20
	s_waitcnt lgkmcnt(0)
	v_fma_f64 v[5:6], -v[51:52], v[96:97], v[5:6]
	v_fma_f64 v[5:6], -v[57:58], v[106:107], v[5:6]
	ds_read2_b64 v[104:107], v15 offset1:1
	s_waitcnt lgkmcnt(0)
	v_mul_f64 v[53:54], v[104:105], v[5:6]
	v_add_u32_e32 v5, s13, v87
	s_add_i32 s13, s10, 0x1180
	s_addk_i32 s10, 0x1260
	s_add_i32 s12, s5, s13
	s_add_i32 s5, s5, s10
	ds_write_b64 v5, v[53:54]
	ds_read_b128 v[5:8], v10 offset:160
	s_waitcnt lgkmcnt(0)
	v_fma_f64 v[1:2], -v[49:50], v[5:6], v[1:2]
	v_fma_f64 v[5:6], -v[77:78], v[110:111], v[3:4]
	ds_read2_b64 v[108:111], v89 offset0:21 offset1:22
	v_fma_f64 v[1:2], -v[43:44], v[17:18], v[1:2]
	ds_read_b128 v[15:18], v91 offset:160
	s_waitcnt lgkmcnt(0)
	v_fma_f64 v[1:2], -v[39:40], v[15:16], v[1:2]
	v_fma_f64 v[1:2], -v[41:42], v[21:22], v[1:2]
	ds_read_b128 v[19:22], v120 offset:160
	s_waitcnt lgkmcnt(0)
	v_fma_f64 v[1:2], -v[45:46], v[19:20], v[1:2]
	;; [unrolled: 4-line block ×8, first 2 shown]
	v_fma_f64 v[1:2], -v[53:54], v[106:107], v[1:2]
	ds_read_b128 v[104:107], v124 offset:4640
	s_waitcnt lgkmcnt(0)
	v_mul_f64 v[59:60], v[104:105], v[1:2]
	v_add_u32_e32 v1, s13, v87
	ds_write_b64 v1, v[59:60]
	ds_read2_b64 v[1:4], v79 offset0:21 offset1:22
	s_waitcnt lgkmcnt(0)
	v_fma_f64 v[1:2], -v[47:48], v[1:2], v[5:6]
	v_fma_f64 v[1:2], -v[49:50], v[7:8], v[1:2]
	ds_read2_b64 v[5:8], v80 offset0:21 offset1:22
	s_waitcnt lgkmcnt(0)
	v_fma_f64 v[1:2], -v[43:44], v[5:6], v[1:2]
	v_mov_b32_e32 v5, s11
	s_mov_b32 s11, s4
	v_fma_f64 v[1:2], -v[39:40], v[17:18], v[1:2]
	ds_read2_b64 v[15:18], v82 offset0:21 offset1:22
	s_waitcnt lgkmcnt(0)
	v_fma_f64 v[1:2], -v[41:42], v[15:16], v[1:2]
	v_fma_f64 v[1:2], -v[45:46], v[21:22], v[1:2]
	ds_read2_b64 v[19:22], v86 offset0:21 offset1:22
	s_waitcnt lgkmcnt(0)
	v_fma_f64 v[1:2], -v[55:56], v[19:20], v[1:2]
	;; [unrolled: 4-line block ×3, first 2 shown]
	v_fma_f64 v[1:2], -v[71:72], v[29:30], v[1:2]
	v_fma_f64 v[1:2], -v[73:74], v[108:109], v[1:2]
	;; [unrolled: 1-line block ×3, first 2 shown]
	ds_read_b128 v[31:34], v10 offset:176
	v_fma_f64 v[1:2], -v[61:62], v[112:113], v[1:2]
	v_fma_f64 v[1:2], -v[67:68], v[102:103], v[1:2]
	ds_read2_b64 v[100:103], v81 offset0:21 offset1:22
	s_waitcnt lgkmcnt(0)
	v_fma_f64 v[1:2], -v[35:36], v[100:101], v[1:2]
	v_fma_f64 v[1:2], -v[37:38], v[94:95], v[1:2]
	ds_read2_b64 v[92:95], v83 offset0:21 offset1:22
	s_waitcnt lgkmcnt(0)
	;; [unrolled: 4-line block ×3, first 2 shown]
	v_fma_f64 v[1:2], -v[53:54], v[96:97], v[1:2]
	v_fma_f64 v[1:2], -v[59:60], v[106:107], v[1:2]
	ds_read2_b64 v[104:107], v5 offset1:1
	s_waitcnt lgkmcnt(0)
	v_mul_f64 v[65:66], v[104:105], v[1:2]
	v_add_u32_e32 v1, s10, v87
	ds_write_b64 v1, v[65:66]
	v_fma_f64 v[1:2], -v[77:78], v[116:117], v[11:12]
	ds_read_b128 v[9:12], v125 offset:176
	v_fma_f64 v[1:2], -v[47:48], v[3:4], v[1:2]
	v_mov_b32_e32 v3, s12
	v_fma_f64 v[1:2], -v[49:50], v[31:32], v[1:2]
	ds_read_b128 v[29:32], v91 offset:176
	v_fma_f64 v[1:2], -v[43:44], v[7:8], v[1:2]
	s_waitcnt lgkmcnt(0)
	v_fma_f64 v[1:2], -v[39:40], v[29:30], v[1:2]
	ds_read_b128 v[27:30], v123 offset:176
	v_fma_f64 v[1:2], -v[41:42], v[17:18], v[1:2]
	ds_read_b128 v[15:18], v120 offset:176
	s_waitcnt lgkmcnt(0)
	v_fma_f64 v[1:2], -v[45:46], v[15:16], v[1:2]
	v_fma_f64 v[1:2], -v[55:56], v[21:22], v[1:2]
	ds_read_b128 v[19:22], v121 offset:176
	s_waitcnt lgkmcnt(0)
	v_fma_f64 v[1:2], -v[63:64], v[19:20], v[1:2]
	;; [unrolled: 4-line block ×3, first 2 shown]
	v_fma_f64 v[1:2], -v[73:74], v[110:111], v[1:2]
	v_fma_f64 v[1:2], -v[75:76], v[27:28], v[1:2]
	;; [unrolled: 1-line block ×4, first 2 shown]
	ds_read_b128 v[7:10], v126 offset:176
	v_fma_f64 v[1:2], -v[35:36], v[102:103], v[1:2]
	s_waitcnt lgkmcnt(0)
	v_fma_f64 v[1:2], -v[37:38], v[7:8], v[1:2]
	ds_read_b128 v[5:8], v127 offset:176
	v_fma_f64 v[1:2], -v[51:52], v[94:95], v[1:2]
	s_waitcnt lgkmcnt(0)
	v_fma_f64 v[1:2], -v[57:58], v[5:6], v[1:2]
	;; [unrolled: 4-line block ×3, first 2 shown]
	v_fma_f64 v[15:16], -v[65:66], v[106:107], v[1:2]
	ds_read_b128 v[1:4], v124 offset:5104
	s_waitcnt lgkmcnt(0)
	v_mul_f64 v[1:2], v[1:2], v[15:16]
	ds_read_b64 v[15:16], v79 offset:184
	s_waitcnt lgkmcnt(0)
	v_fma_f64 v[13:14], -v[47:48], v[15:16], v[13:14]
	ds_read_b64 v[15:16], v80 offset:184
	ds_write_b64 v90, v[1:2] offset:4928
	v_fma_f64 v[13:14], -v[49:50], v[33:34], v[13:14]
	s_waitcnt lgkmcnt(1)
	v_fma_f64 v[13:14], -v[43:44], v[15:16], v[13:14]
	ds_read_b64 v[15:16], v82 offset:184
	v_fma_f64 v[13:14], -v[39:40], v[31:32], v[13:14]
	s_waitcnt lgkmcnt(0)
	v_fma_f64 v[13:14], -v[41:42], v[15:16], v[13:14]
	ds_read_b64 v[15:16], v86 offset:184
	;; [unrolled: 4-line block ×5, first 2 shown]
	v_fma_f64 v[13:14], -v[75:76], v[29:30], v[13:14]
	s_waitcnt lgkmcnt(0)
	v_fma_f64 v[13:14], -v[61:62], v[15:16], v[13:14]
	v_fma_f64 v[11:12], -v[67:68], v[11:12], v[13:14]
	ds_read_b64 v[13:14], v81 offset:184
	s_waitcnt lgkmcnt(0)
	v_fma_f64 v[11:12], -v[35:36], v[13:14], v[11:12]
	v_fma_f64 v[9:10], -v[37:38], v[9:10], v[11:12]
	ds_read_b64 v[11:12], v83 offset:184
	;; [unrolled: 4-line block ×3, first 2 shown]
	s_waitcnt lgkmcnt(0)
	v_fma_f64 v[7:8], -v[53:54], v[9:10], v[7:8]
	v_fma_f64 v[5:6], -v[59:60], v[5:6], v[7:8]
	v_mov_b32_e32 v7, s5
	ds_read_b64 v[7:8], v7 offset:184
	s_mul_i32 s5, s8, 0xe8
	s_mulk_i32 s8, 0xe0
	s_waitcnt lgkmcnt(0)
	v_fma_f64 v[5:6], -v[65:66], v[7:8], v[5:6]
	v_fma_f64 v[1:2], -v[1:2], v[3:4], v[5:6]
	v_mov_b32_e32 v3, s5
	ds_read_b64 v[3:4], v3
	s_waitcnt lgkmcnt(0)
	v_mul_f64 v[1:2], v[3:4], v[1:2]
	v_add_u32_e32 v3, s8, v87
	ds_write_b64 v3, v[1:2]
.LBB99_41:
	s_cmp_ge_i32 s11, s22
	s_cbranch_scc1 .LBB99_46
; %bb.42:
	v_mov_b32_e32 v1, 0x1880
	s_lshl_b32 s4, s11, 3
	v_lshl_add_u32 v3, v0, 3, v1
	s_branch .LBB99_44
.LBB99_43:                              ;   in Loop: Header=BB99_44 Depth=1
	s_lshl_b32 s8, s11, 3
	s_add_i32 s5, s8, s5
	v_mov_b32_e32 v5, s5
	ds_read_b64 v[5:6], v5
	s_add_i32 s11, s11, 1
	s_add_i32 s4, s4, 8
	s_cmp_ge_i32 s11, s22
	s_waitcnt lgkmcnt(0)
	v_mul_f64 v[1:2], v[5:6], v[1:2]
	ds_write_b64 v4, v[1:2]
	s_cbranch_scc1 .LBB99_46
.LBB99_44:                              ; =>This Loop Header: Depth=1
                                        ;     Child Loop BB99_45 Depth 2
	s_mul_i32 s5, s11, 0xe0
	v_add_u32_e32 v4, s5, v87
	ds_read_b64 v[1:2], v4
	s_cmp_eq_u32 s11, 0
	v_mov_b32_e32 v5, v3
	s_mov_b32 s8, s4
	s_mov_b32 s10, s11
	s_cbranch_scc1 .LBB99_43
.LBB99_45:                              ;   Parent Loop BB99_44 Depth=1
                                        ; =>  This Inner Loop Header: Depth=2
	v_mov_b32_e32 v8, s8
	ds_read_b64 v[6:7], v5
	ds_read_b64 v[8:9], v8
	s_add_i32 s10, s10, -1
	s_addk_i32 s8, 0xe0
	s_cmp_lg_u32 s10, 0
	v_add_u32_e32 v5, 0xe0, v5
	s_waitcnt lgkmcnt(0)
	v_fma_f64 v[1:2], -v[6:7], v[8:9], v[1:2]
	s_cbranch_scc1 .LBB99_45
	s_branch .LBB99_43
.LBB99_46:
	s_waitcnt lgkmcnt(0)
	; wave barrier
	s_and_saveexec_b64 s[4:5], s[0:1]
	s_cbranch_execz .LBB99_50
; %bb.47:
	s_andn2_b64 vcc, exec, s[2:3]
	s_cbranch_vccnz .LBB99_50
; %bb.48:
	v_mad_i64_i32 v[1:2], s[0:1], s9, v0, 0
	v_mov_b32_e32 v3, s7
	v_lshlrev_b64 v[1:2], 3, v[1:2]
	v_add_co_u32_e32 v1, vcc, s6, v1
	v_addc_co_u32_e32 v2, vcc, v3, v2, vcc
	v_mov_b32_e32 v3, 0x1880
	v_lshl_add_u32 v0, v0, 3, v3
.LBB99_49:                              ; =>This Inner Loop Header: Depth=1
	ds_read_b64 v[3:4], v0
	s_add_i32 s22, s22, -1
	v_add_u32_e32 v0, 0xe0, v0
	s_cmp_lg_u32 s22, 0
	s_waitcnt lgkmcnt(0)
	global_store_dwordx2 v[1:2], v[3:4], off
	v_add_co_u32_e32 v1, vcc, 8, v1
	v_addc_co_u32_e32 v2, vcc, 0, v2, vcc
	s_cbranch_scc1 .LBB99_49
.LBB99_50:
	s_endpgm
	.section	.rodata,"a",@progbits
	.p2align	6, 0x0
	.amdhsa_kernel _ZL38rocblas_trsm_small_left_device_sharedBILi28ELi28ELb1EddPKdPdEv13rocblas_fill_18rocblas_operation_17rocblas_diagonal_iiT3_T4_lilT5_lili
		.amdhsa_group_segment_fixed_size 12544
		.amdhsa_private_segment_fixed_size 0
		.amdhsa_kernarg_size 360
		.amdhsa_user_sgpr_count 6
		.amdhsa_user_sgpr_private_segment_buffer 1
		.amdhsa_user_sgpr_dispatch_ptr 0
		.amdhsa_user_sgpr_queue_ptr 0
		.amdhsa_user_sgpr_kernarg_segment_ptr 1
		.amdhsa_user_sgpr_dispatch_id 0
		.amdhsa_user_sgpr_flat_scratch_init 0
		.amdhsa_user_sgpr_private_segment_size 0
		.amdhsa_uses_dynamic_stack 0
		.amdhsa_system_sgpr_private_segment_wavefront_offset 0
		.amdhsa_system_sgpr_workgroup_id_x 1
		.amdhsa_system_sgpr_workgroup_id_y 0
		.amdhsa_system_sgpr_workgroup_id_z 1
		.amdhsa_system_sgpr_workgroup_info 0
		.amdhsa_system_vgpr_workitem_id 0
		.amdhsa_next_free_vgpr 142
		.amdhsa_next_free_sgpr 98
		.amdhsa_reserve_vcc 1
		.amdhsa_reserve_flat_scratch 0
		.amdhsa_float_round_mode_32 0
		.amdhsa_float_round_mode_16_64 0
		.amdhsa_float_denorm_mode_32 3
		.amdhsa_float_denorm_mode_16_64 3
		.amdhsa_dx10_clamp 1
		.amdhsa_ieee_mode 1
		.amdhsa_fp16_overflow 0
		.amdhsa_exception_fp_ieee_invalid_op 0
		.amdhsa_exception_fp_denorm_src 0
		.amdhsa_exception_fp_ieee_div_zero 0
		.amdhsa_exception_fp_ieee_overflow 0
		.amdhsa_exception_fp_ieee_underflow 0
		.amdhsa_exception_fp_ieee_inexact 0
		.amdhsa_exception_int_div_zero 0
	.end_amdhsa_kernel
	.section	.text._ZL38rocblas_trsm_small_left_device_sharedBILi28ELi28ELb1EddPKdPdEv13rocblas_fill_18rocblas_operation_17rocblas_diagonal_iiT3_T4_lilT5_lili,"axG",@progbits,_ZL38rocblas_trsm_small_left_device_sharedBILi28ELi28ELb1EddPKdPdEv13rocblas_fill_18rocblas_operation_17rocblas_diagonal_iiT3_T4_lilT5_lili,comdat
.Lfunc_end99:
	.size	_ZL38rocblas_trsm_small_left_device_sharedBILi28ELi28ELb1EddPKdPdEv13rocblas_fill_18rocblas_operation_17rocblas_diagonal_iiT3_T4_lilT5_lili, .Lfunc_end99-_ZL38rocblas_trsm_small_left_device_sharedBILi28ELi28ELb1EddPKdPdEv13rocblas_fill_18rocblas_operation_17rocblas_diagonal_iiT3_T4_lilT5_lili
                                        ; -- End function
	.set _ZL38rocblas_trsm_small_left_device_sharedBILi28ELi28ELb1EddPKdPdEv13rocblas_fill_18rocblas_operation_17rocblas_diagonal_iiT3_T4_lilT5_lili.num_vgpr, 142
	.set _ZL38rocblas_trsm_small_left_device_sharedBILi28ELi28ELb1EddPKdPdEv13rocblas_fill_18rocblas_operation_17rocblas_diagonal_iiT3_T4_lilT5_lili.num_agpr, 0
	.set _ZL38rocblas_trsm_small_left_device_sharedBILi28ELi28ELb1EddPKdPdEv13rocblas_fill_18rocblas_operation_17rocblas_diagonal_iiT3_T4_lilT5_lili.numbered_sgpr, 26
	.set _ZL38rocblas_trsm_small_left_device_sharedBILi28ELi28ELb1EddPKdPdEv13rocblas_fill_18rocblas_operation_17rocblas_diagonal_iiT3_T4_lilT5_lili.num_named_barrier, 0
	.set _ZL38rocblas_trsm_small_left_device_sharedBILi28ELi28ELb1EddPKdPdEv13rocblas_fill_18rocblas_operation_17rocblas_diagonal_iiT3_T4_lilT5_lili.private_seg_size, 0
	.set _ZL38rocblas_trsm_small_left_device_sharedBILi28ELi28ELb1EddPKdPdEv13rocblas_fill_18rocblas_operation_17rocblas_diagonal_iiT3_T4_lilT5_lili.uses_vcc, 1
	.set _ZL38rocblas_trsm_small_left_device_sharedBILi28ELi28ELb1EddPKdPdEv13rocblas_fill_18rocblas_operation_17rocblas_diagonal_iiT3_T4_lilT5_lili.uses_flat_scratch, 0
	.set _ZL38rocblas_trsm_small_left_device_sharedBILi28ELi28ELb1EddPKdPdEv13rocblas_fill_18rocblas_operation_17rocblas_diagonal_iiT3_T4_lilT5_lili.has_dyn_sized_stack, 0
	.set _ZL38rocblas_trsm_small_left_device_sharedBILi28ELi28ELb1EddPKdPdEv13rocblas_fill_18rocblas_operation_17rocblas_diagonal_iiT3_T4_lilT5_lili.has_recursion, 0
	.set _ZL38rocblas_trsm_small_left_device_sharedBILi28ELi28ELb1EddPKdPdEv13rocblas_fill_18rocblas_operation_17rocblas_diagonal_iiT3_T4_lilT5_lili.has_indirect_call, 0
	.section	.AMDGPU.csdata,"",@progbits
; Kernel info:
; codeLenInByte = 26452
; TotalNumSgprs: 30
; NumVgprs: 142
; ScratchSize: 0
; MemoryBound: 0
; FloatMode: 240
; IeeeMode: 1
; LDSByteSize: 12544 bytes/workgroup (compile time only)
; SGPRBlocks: 12
; VGPRBlocks: 35
; NumSGPRsForWavesPerEU: 102
; NumVGPRsForWavesPerEU: 142
; Occupancy: 1
; WaveLimiterHint : 0
; COMPUTE_PGM_RSRC2:SCRATCH_EN: 0
; COMPUTE_PGM_RSRC2:USER_SGPR: 6
; COMPUTE_PGM_RSRC2:TRAP_HANDLER: 0
; COMPUTE_PGM_RSRC2:TGID_X_EN: 1
; COMPUTE_PGM_RSRC2:TGID_Y_EN: 0
; COMPUTE_PGM_RSRC2:TGID_Z_EN: 1
; COMPUTE_PGM_RSRC2:TIDIG_COMP_CNT: 0
	.section	.text._ZL30rocblas_trsm_small_left_deviceILi28ELi28ELb1EddPKdPdEv13rocblas_fill_18rocblas_operation_17rocblas_diagonal_iiT3_T4_lilT5_lili,"axG",@progbits,_ZL30rocblas_trsm_small_left_deviceILi28ELi28ELb1EddPKdPdEv13rocblas_fill_18rocblas_operation_17rocblas_diagonal_iiT3_T4_lilT5_lili,comdat
	.globl	_ZL30rocblas_trsm_small_left_deviceILi28ELi28ELb1EddPKdPdEv13rocblas_fill_18rocblas_operation_17rocblas_diagonal_iiT3_T4_lilT5_lili ; -- Begin function _ZL30rocblas_trsm_small_left_deviceILi28ELi28ELb1EddPKdPdEv13rocblas_fill_18rocblas_operation_17rocblas_diagonal_iiT3_T4_lilT5_lili
	.p2align	8
	.type	_ZL30rocblas_trsm_small_left_deviceILi28ELi28ELb1EddPKdPdEv13rocblas_fill_18rocblas_operation_17rocblas_diagonal_iiT3_T4_lilT5_lili,@function
_ZL30rocblas_trsm_small_left_deviceILi28ELi28ELb1EddPKdPdEv13rocblas_fill_18rocblas_operation_17rocblas_diagonal_iiT3_T4_lilT5_lili: ; @_ZL30rocblas_trsm_small_left_deviceILi28ELi28ELb1EddPKdPdEv13rocblas_fill_18rocblas_operation_17rocblas_diagonal_iiT3_T4_lilT5_lili
; %bb.0:
	s_load_dwordx4 s[8:11], s[4:5], 0x4
	s_load_dwordx4 s[0:3], s[4:5], 0x18
	s_load_dwordx2 s[20:21], s[4:5], 0x28
	s_load_dwordx4 s[12:15], s[4:5], 0x38
	s_load_dwordx2 s[16:17], s[4:5], 0x48
	s_waitcnt lgkmcnt(0)
	s_min_i32 s24, s10, 28
	v_cmp_gt_i32_e32 vcc, s24, v0
	s_and_saveexec_b64 s[18:19], vcc
	s_cbranch_execz .LBB100_6
; %bb.1:
	s_load_dword s22, s[4:5], 0x30
	s_mul_i32 s13, s13, s7
	s_mul_hi_u32 s23, s12, s7
	s_mul_i32 s12, s12, s7
	s_add_i32 s13, s23, s13
	s_waitcnt lgkmcnt(0)
	s_ashr_i32 s23, s22, 31
	s_lshl_b64 s[12:13], s[12:13], 3
	s_add_u32 s12, s2, s12
	s_addc_u32 s13, s3, s13
	s_lshl_b64 s[2:3], s[20:21], 3
	s_add_u32 s2, s12, s2
	s_addc_u32 s3, s13, s3
	v_lshlrev_b32_e32 v3, 3, v0
	v_mov_b32_e32 v2, s3
	v_add_co_u32_e32 v1, vcc, s2, v3
	s_lshl_b64 s[2:3], s[22:23], 3
	v_addc_co_u32_e32 v2, vcc, 0, v2, vcc
	v_mov_b32_e32 v4, s3
	v_mov_b32_e32 v5, v3
	s_mov_b32 s3, s24
.LBB100_2:                              ; =>This Inner Loop Header: Depth=1
	global_load_dwordx2 v[6:7], v[1:2], off
	v_add_co_u32_e32 v1, vcc, s2, v1
	s_add_i32 s3, s3, -1
	v_addc_co_u32_e32 v2, vcc, v2, v4, vcc
	s_cmp_eq_u32 s3, 0
	s_waitcnt vmcnt(0)
	ds_write_b64 v5, v[6:7]
	v_add_u32_e32 v5, 0xe0, v5
	s_cbranch_scc0 .LBB100_2
; %bb.3:
	v_mul_u32_u24_e32 v4, 0xe0, v0
	v_mov_b32_e32 v1, 0
	s_cmpk_lg_i32 s9, 0x84
	v_mov_b32_e32 v2, 0x3ff00000
	v_add_u32_e32 v3, v3, v4
	s_cbranch_scc0 .LBB100_5
; %bb.4:
	ds_read_b64 v[1:2], v3
	s_waitcnt lgkmcnt(0)
	v_div_scale_f64 v[4:5], s[2:3], v[1:2], v[1:2], 1.0
	v_div_scale_f64 v[10:11], vcc, 1.0, v[1:2], 1.0
	v_rcp_f64_e32 v[6:7], v[4:5]
	v_fma_f64 v[8:9], -v[4:5], v[6:7], 1.0
	v_fma_f64 v[6:7], v[6:7], v[8:9], v[6:7]
	v_fma_f64 v[8:9], -v[4:5], v[6:7], 1.0
	v_fma_f64 v[6:7], v[6:7], v[8:9], v[6:7]
	v_mul_f64 v[8:9], v[10:11], v[6:7]
	v_fma_f64 v[4:5], -v[4:5], v[8:9], v[10:11]
	v_div_fmas_f64 v[4:5], v[4:5], v[6:7], v[8:9]
	v_div_fixup_f64 v[1:2], v[4:5], v[1:2], 1.0
.LBB100_5:
	ds_write_b64 v3, v[1:2]
.LBB100_6:
	s_or_b64 exec, exec, s[18:19]
	s_load_dword s2, s[4:5], 0x68
	s_mul_i32 s3, s6, 0xffffffe4
	s_add_i32 s3, s11, s3
	s_waitcnt lgkmcnt(0)
	; wave barrier
	s_add_i32 s2, s2, -1
	s_cmp_ge_u32 s6, s2
	s_cselect_b32 s2, s3, 28
	v_cmp_gt_i32_e32 vcc, s2, v0
	s_and_saveexec_b64 s[2:3], vcc
	s_cbranch_execz .LBB100_44
; %bb.7:
	s_load_dwordx2 s[2:3], s[4:5], 0x58
	s_load_dword s9, s[4:5], 0x50
	s_waitcnt lgkmcnt(0)
	s_mul_i32 s3, s3, s7
	s_mul_hi_u32 s4, s2, s7
	s_add_i32 s3, s4, s3
	v_mad_u64_u32 v[0:1], s[4:5], s6, 28, v[0:1]
	s_mul_i32 s2, s2, s7
	s_lshl_b64 s[2:3], s[2:3], 3
	s_add_u32 s4, s14, s2
	s_addc_u32 s5, s15, s3
	v_mad_i64_i32 v[0:1], s[2:3], s9, v0, 0
	s_lshl_b64 s[2:3], s[16:17], 3
	s_add_u32 s2, s4, s2
	v_lshlrev_b64 v[0:1], 3, v[0:1]
	s_addc_u32 s3, s5, s3
	v_mov_b32_e32 v2, s3
	v_add_co_u32_e32 v80, vcc, s2, v0
	v_addc_co_u32_e32 v81, vcc, v2, v1, vcc
	s_cmpk_eq_i32 s8, 0x6f
	s_mov_b64 s[2:3], -1
	s_cbranch_scc1 .LBB100_30
; %bb.8:
	s_add_i32 s11, s24, -1
	s_cmp_gt_i32 s10, 27
	s_mov_b32 s2, s11
	s_cbranch_scc0 .LBB100_10
; %bb.9:
	global_load_dwordx4 v[0:3], v[80:81], off offset:208
	global_load_dwordx4 v[20:23], v[80:81], off offset:192
	;; [unrolled: 1-line block ×9, first 2 shown]
	s_movk_i32 s2, 0x1400
	v_mov_b32_e32 v58, 0
	v_add_u32_e64 v41, s2, 0
	v_mov_b32_e32 v40, 0x16a8
	global_load_dwordx4 v[32:35], v[80:81], off offset:64
	ds_read_b128 v[44:47], v58 offset:6032
	ds_read2_b64 v[59:62], v40 offset1:1
	ds_read_b128 v[63:66], v58 offset:5584
	ds_read_b128 v[67:70], v58 offset:5568
	ds_read2_b64 v[71:74], v41 offset0:87 offset1:143
	ds_read_b128 v[75:78], v58 offset:5120
	ds_read_b128 v[82:85], v58 offset:5136
	;; [unrolled: 1-line block ×4, first 2 shown]
	s_movk_i32 s3, 0x1000
	v_add_u32_e64 v56, s3, 0
	ds_read_b128 v[40:43], v58 offset:4640
	ds_read_b128 v[94:97], v58 offset:4240
	;; [unrolled: 1-line block ×6, first 2 shown]
	ds_read2_b64 v[106:109], v56 offset0:103 offset1:159
	s_movk_i32 s4, 0xc00
	v_add_u32_e64 v57, s4, 0
	ds_read2_b64 v[110:113], v57 offset0:119 offset1:175
	s_movk_i32 s5, 0x800
	v_add_u32_e64 v114, s5, 0
	v_mov_b32_e32 v79, 0x14e8
	v_mov_b32_e32 v118, 0x1318
	;; [unrolled: 1-line block ×11, first 2 shown]
	s_mov_b32 s2, -1
	s_waitcnt vmcnt(9)
	v_mul_f64 v[2:3], s[0:1], v[2:3]
	s_waitcnt lgkmcnt(12)
	v_mul_f64 v[2:3], v[73:74], v[2:3]
	v_mul_f64 v[46:47], v[2:3], v[46:47]
	;; [unrolled: 1-line block ×4, first 2 shown]
	s_waitcnt lgkmcnt(1)
	v_mul_f64 v[71:72], v[2:3], v[108:109]
	v_mul_f64 v[73:74], v[2:3], v[84:85]
	;; [unrolled: 1-line block ×5, first 2 shown]
	v_fma_f64 v[0:1], s[0:1], v[0:1], -v[46:47]
	s_waitcnt lgkmcnt(0)
	v_mul_f64 v[46:47], v[2:3], v[112:113]
	s_waitcnt vmcnt(8)
	v_fma_f64 v[56:57], s[0:1], v[22:23], -v[56:57]
	v_fma_f64 v[65:66], s[0:1], v[20:21], -v[65:66]
	s_waitcnt vmcnt(7)
	v_fma_f64 v[108:109], s[0:1], v[38:39], -v[71:72]
	v_fma_f64 v[112:113], s[0:1], v[36:37], -v[73:74]
	ds_read_b128 v[71:74], v58 offset:2896
	ds_read_b128 v[36:39], v58 offset:3248
	ds_read2_b64 v[20:23], v114 offset0:135 offset1:191
	s_waitcnt vmcnt(6)
	v_fma_f64 v[30:31], s[0:1], v[30:31], -v[84:85]
	v_fma_f64 v[28:29], s[0:1], v[28:29], -v[92:93]
	v_mul_f64 v[84:85], v[2:3], v[110:111]
	v_mul_f64 v[92:93], v[2:3], v[100:101]
	s_waitcnt vmcnt(5)
	v_fma_f64 v[100:101], s[0:1], v[26:27], -v[46:47]
	v_fma_f64 v[46:47], s[0:1], v[24:25], -v[96:97]
	s_waitcnt lgkmcnt(0)
	v_mul_f64 v[96:97], v[2:3], v[22:23]
	ds_read2_b64 v[24:27], v114 offset0:23 offset1:79
	v_mul_f64 v[110:111], v[2:3], v[20:21]
	v_mul_f64 v[114:115], v[2:3], v[104:105]
	ds_read_b128 v[20:23], v58 offset:2448
	ds_read_b128 v[104:107], v58 offset:2784
	s_waitcnt vmcnt(4)
	v_fma_f64 v[116:117], s[0:1], v[18:19], -v[84:85]
	v_fma_f64 v[84:85], s[0:1], v[16:17], -v[92:93]
	v_mul_f64 v[0:1], v[44:45], v[0:1]
	s_waitcnt vmcnt(3)
	v_fma_f64 v[92:93], s[0:1], v[14:15], -v[96:97]
	s_waitcnt lgkmcnt(1)
	v_mul_f64 v[14:15], v[2:3], v[22:23]
	v_mul_f64 v[16:17], v[2:3], v[73:74]
	v_fma_f64 v[73:74], s[0:1], v[12:13], -v[114:115]
	v_mul_f64 v[12:13], v[2:3], v[26:27]
	s_waitcnt vmcnt(2)
	v_fma_f64 v[22:23], s[0:1], v[10:11], -v[110:111]
	v_mov_b32_e32 v44, 0x1308
	v_fma_f64 v[26:27], -v[0:1], v[63:64], v[65:66]
	v_mov_b32_e32 v45, 0x1168
	s_waitcnt vmcnt(1)
	v_fma_f64 v[114:115], s[0:1], v[4:5], -v[14:15]
	v_fma_f64 v[4:5], -v[0:1], v[61:62], v[56:57]
	v_fma_f64 v[96:97], s[0:1], v[8:9], -v[16:17]
	v_fma_f64 v[110:111], s[0:1], v[6:7], -v[12:13]
	ds_read2_b64 v[8:11], v79 offset1:1
	v_mov_b32_e32 v16, 0x14d8
	ds_read2_b64 v[12:15], v16 offset1:1
	v_fma_f64 v[56:57], -v[0:1], v[82:83], v[112:113]
	v_fma_f64 v[112:113], -v[0:1], v[90:91], v[28:29]
	v_mul_f64 v[6:7], v[59:60], v[4:5]
	s_waitcnt lgkmcnt(1)
	v_fma_f64 v[4:5], -v[0:1], v[10:11], v[108:109]
	v_mov_b32_e32 v17, 0x1328
	ds_read2_b64 v[16:19], v17 offset1:1
	v_fma_f64 v[108:109], -v[0:1], v[94:95], v[46:47]
	v_fma_f64 v[98:99], -v[0:1], v[98:99], v[84:85]
	v_mov_b32_e32 v79, 0xbc8
	v_fma_f64 v[20:21], -v[0:1], v[20:21], v[114:115]
	v_fma_f64 v[10:11], -v[6:7], v[69:70], v[26:27]
	;; [unrolled: 1-line block ×3, first 2 shown]
	s_waitcnt lgkmcnt(0)
	v_fma_f64 v[18:19], -v[0:1], v[18:19], v[30:31]
	v_fma_f64 v[56:57], -v[6:7], v[77:78], v[56:57]
	ds_read2_b64 v[26:29], v44 offset1:1
	ds_read2_b64 v[44:47], v45 offset1:1
	;; [unrolled: 1-line block ×3, first 2 shown]
	v_fma_f64 v[30:31], -v[0:1], v[102:103], v[73:74]
	v_fma_f64 v[102:103], -v[0:1], v[71:72], v[96:97]
	v_mul_f64 v[4:5], v[67:68], v[10:11]
	ds_read2_b64 v[63:66], v119 offset1:1
	ds_read2_b64 v[8:11], v120 offset1:1
	v_fma_f64 v[118:119], -v[6:7], v[16:17], v[18:19]
	s_waitcnt lgkmcnt(3)
	v_fma_f64 v[18:19], -v[0:1], v[46:47], v[100:101]
	ds_read2_b64 v[67:70], v121 offset1:1
	ds_read2_b64 v[82:85], v122 offset1:1
	v_mov_b32_e32 v120, 0xf88
	s_waitcnt lgkmcnt(2)
	v_fma_f64 v[46:47], -v[0:1], v[10:11], v[116:117]
	v_fma_f64 v[30:31], -v[6:7], v[50:51], v[30:31]
	;; [unrolled: 1-line block ×4, first 2 shown]
	ds_read2_b64 v[14:17], v123 offset1:1
	ds_read2_b64 v[71:74], v124 offset1:1
	s_waitcnt lgkmcnt(3)
	v_fma_f64 v[69:70], -v[0:1], v[69:70], v[92:93]
	v_fma_f64 v[61:62], -v[4:5], v[61:62], v[118:119]
	v_mov_b32_e32 v118, 0xdc8
	v_fma_f64 v[100:101], -v[6:7], v[8:9], v[46:47]
	v_mov_b32_e32 v119, 0xdb8
	v_mul_f64 v[10:11], v[12:13], v[77:78]
	s_waitcnt lgkmcnt(1)
	v_fma_f64 v[12:13], -v[0:1], v[16:17], v[22:23]
	ds_read2_b64 v[75:78], v79 offset1:1
	ds_read2_b64 v[90:93], v125 offset1:1
	v_fma_f64 v[22:23], -v[6:7], v[44:45], v[18:19]
	global_load_dwordx4 v[94:97], v[80:81], off offset:48
	global_load_dwordx4 v[44:47], v[80:81], off offset:32
	ds_read_b128 v[16:19], v58 offset:4672
	v_fma_f64 v[116:117], -v[6:7], v[67:68], v[69:70]
	v_mov_b32_e32 v79, 0x1158
	v_fma_f64 v[8:9], -v[10:11], v[88:89], v[56:57]
	s_waitcnt lgkmcnt(1)
	v_fma_f64 v[56:57], -v[0:1], v[92:93], v[110:111]
	v_fma_f64 v[92:93], -v[6:7], v[14:15], v[12:13]
	ds_read_b128 v[12:15], v58 offset:4656
	s_waitcnt lgkmcnt(1)
	v_fma_f64 v[18:19], -v[6:7], v[18:19], v[112:113]
	v_fma_f64 v[59:60], -v[10:11], v[59:60], v[61:62]
	v_mov_b32_e32 v112, 0x1148
	v_mov_b32_e32 v113, 0xf98
	v_mul_f64 v[8:9], v[86:87], v[8:9]
	ds_read_b128 v[67:70], v58 offset:4208
	ds_read_b128 v[86:89], v58 offset:4224
	v_fma_f64 v[110:111], -v[6:7], v[90:91], v[56:57]
	v_fma_f64 v[90:91], -v[6:7], v[54:55], v[98:99]
	;; [unrolled: 1-line block ×3, first 2 shown]
	v_mov_b32_e32 v122, 0xbf8
	s_waitcnt lgkmcnt(0)
	v_fma_f64 v[56:57], -v[6:7], v[88:89], v[108:109]
	v_fma_f64 v[88:89], -v[4:5], v[16:17], v[18:19]
	ds_read_b128 v[16:19], v58 offset:2880
	v_mov_b32_e32 v108, 0xf78
	v_mov_b32_e32 v109, 0xf68
	v_fma_f64 v[90:91], -v[4:5], v[52:53], v[90:91]
	v_fma_f64 v[52:53], -v[8:9], v[28:29], v[59:60]
	v_mov_b32_e32 v121, 0xda8
	v_fma_f64 v[86:87], -v[4:5], v[86:87], v[56:57]
	v_fma_f64 v[14:15], -v[10:11], v[14:15], v[88:89]
	;; [unrolled: 1-line block ×3, first 2 shown]
	ds_read2_b64 v[48:51], v79 offset1:1
	ds_read_b128 v[54:57], v58 offset:2864
	s_waitcnt lgkmcnt(2)
	v_fma_f64 v[18:19], -v[6:7], v[18:19], v[102:103]
	v_mov_b32_e32 v103, 0xc08
	v_mov_b32_e32 v102, 0xd98
	s_waitcnt lgkmcnt(1)
	v_fma_f64 v[22:23], -v[4:5], v[50:51], v[22:23]
	v_fma_f64 v[12:13], -v[8:9], v[12:13], v[14:15]
	v_mul_f64 v[14:15], v[26:27], v[52:53]
	v_mul_f64 v[24:25], v[2:3], v[24:25]
	v_mov_b32_e32 v79, 0xbe8
	v_fma_f64 v[98:99], -v[4:5], v[16:17], v[18:19]
	ds_read2_b64 v[16:19], v112 offset1:1
	ds_read2_b64 v[28:31], v113 offset1:1
	;; [unrolled: 1-line block ×3, first 2 shown]
	v_fma_f64 v[22:23], -v[10:11], v[48:49], v[22:23]
	v_mov_b32_e32 v113, 0xa58
	v_fma_f64 v[12:13], -v[14:15], v[42:43], v[12:13]
	s_waitcnt lgkmcnt(1)
	v_fma_f64 v[26:27], -v[4:5], v[30:31], v[100:101]
	v_fma_f64 v[30:31], -v[10:11], v[69:70], v[86:87]
	;; [unrolled: 1-line block ×3, first 2 shown]
	v_mov_b32_e32 v112, 0xbd8
	v_mov_b32_e32 v123, 0xa38
	v_fma_f64 v[18:19], -v[8:9], v[18:19], v[22:23]
	v_mov_b32_e32 v125, 0x8a8
	v_mul_f64 v[12:13], v[40:41], v[12:13]
	v_fma_f64 v[48:49], -v[10:11], v[28:29], v[26:27]
	v_fma_f64 v[22:23], -v[8:9], v[67:68], v[30:31]
	;; [unrolled: 1-line block ×3, first 2 shown]
	ds_read_b128 v[26:29], v58 offset:3760
	ds_read_b128 v[40:43], v58 offset:4176
	;; [unrolled: 1-line block ×3, first 2 shown]
	v_fma_f64 v[84:85], -v[14:15], v[16:17], v[18:19]
	ds_read_b128 v[16:19], v58 offset:3312
	ds_read_b128 v[67:70], v58 offset:3744
	s_waitcnt lgkmcnt(4)
	v_fma_f64 v[86:87], -v[10:11], v[28:29], v[90:91]
	s_waitcnt lgkmcnt(2)
	v_fma_f64 v[22:23], -v[14:15], v[61:62], v[22:23]
	v_fma_f64 v[48:49], -v[8:9], v[52:53], v[48:49]
	;; [unrolled: 1-line block ×5, first 2 shown]
	ds_read_b128 v[71:74], v58 offset:3296
	s_waitcnt lgkmcnt(2)
	v_fma_f64 v[52:53], -v[10:11], v[18:19], v[88:89]
	v_fma_f64 v[26:27], -v[8:9], v[26:27], v[86:87]
	;; [unrolled: 1-line block ×4, first 2 shown]
	ds_read2_b64 v[28:31], v118 offset1:1
	ds_read2_b64 v[59:62], v119 offset1:1
	v_mul_f64 v[18:19], v[63:64], v[65:66]
	ds_read2_b64 v[48:51], v108 offset1:1
	ds_read2_b64 v[63:66], v109 offset1:1
	v_fma_f64 v[92:93], -v[8:9], v[16:17], v[52:53]
	s_waitcnt lgkmcnt(3)
	v_fma_f64 v[30:31], -v[8:9], v[30:31], v[82:83]
	v_fma_f64 v[26:27], -v[14:15], v[69:70], v[26:27]
	ds_read2_b64 v[82:85], v103 offset1:1
	v_mov_b32_e32 v120, 0xa48
	v_mov_b32_e32 v124, 0xa28
	v_fma_f64 v[16:17], -v[18:19], v[42:43], v[22:23]
	s_waitcnt lgkmcnt(2)
	v_fma_f64 v[22:23], -v[12:13], v[50:51], v[86:87]
	s_waitcnt lgkmcnt(0)
	v_fma_f64 v[98:99], -v[8:9], v[84:85], v[90:91]
	v_fma_f64 v[30:31], -v[14:15], v[28:29], v[30:31]
	;; [unrolled: 1-line block ×3, first 2 shown]
	ds_read_b128 v[26:29], v58 offset:3728
	ds_read_b128 v[50:53], v58 offset:3712
	ds_read2_b64 v[67:70], v122 offset1:1
	s_waitcnt vmcnt(2)
	v_fma_f64 v[24:25], s[0:1], v[34:35], -v[24:25]
	v_mul_f64 v[16:17], v[40:41], v[16:17]
	v_fma_f64 v[22:23], -v[18:19], v[48:49], v[22:23]
	v_fma_f64 v[48:49], -v[14:15], v[73:74], v[92:93]
	v_fma_f64 v[61:62], -v[12:13], v[61:62], v[30:31]
	s_waitcnt lgkmcnt(2)
	v_fma_f64 v[92:93], -v[18:19], v[28:29], v[100:101]
	ds_read2_b64 v[40:43], v121 offset1:1
	ds_read2_b64 v[84:87], v102 offset1:1
	;; [unrolled: 1-line block ×3, first 2 shown]
	v_fma_f64 v[102:103], -v[8:9], v[54:55], v[56:57]
	ds_read_b128 v[28:31], v58 offset:3264
	ds_read_b128 v[54:57], v58 offset:3280
	v_fma_f64 v[22:23], -v[16:17], v[65:66], v[22:23]
	v_fma_f64 v[48:49], -v[12:13], v[71:72], v[48:49]
	;; [unrolled: 1-line block ×3, first 2 shown]
	ds_read2_b64 v[71:74], v120 offset1:1
	s_waitcnt lgkmcnt(3)
	v_fma_f64 v[98:99], -v[4:5], v[90:91], v[110:111]
	v_fma_f64 v[100:101], -v[18:19], v[59:60], v[61:62]
	;; [unrolled: 1-line block ×3, first 2 shown]
	ds_read_b128 v[59:62], v58 offset:2848
	ds_read_b128 v[90:93], v58 offset:2832
	v_mul_f64 v[22:23], v[63:64], v[22:23]
	ds_read_b128 v[63:66], v58 offset:2432
	s_waitcnt lgkmcnt(4)
	v_fma_f64 v[48:49], -v[18:19], v[56:57], v[48:49]
	s_waitcnt lgkmcnt(2)
	v_fma_f64 v[61:62], -v[14:15], v[61:62], v[102:103]
	v_fma_f64 v[88:89], -v[10:11], v[88:89], v[98:99]
	;; [unrolled: 1-line block ×4, first 2 shown]
	s_waitcnt lgkmcnt(0)
	v_fma_f64 v[56:57], -v[6:7], v[65:66], v[20:21]
	v_fma_f64 v[26:27], -v[22:23], v[52:53], v[26:27]
	ds_read2_b64 v[98:101], v79 offset1:1
	ds_read2_b64 v[108:111], v112 offset1:1
	v_fma_f64 v[54:55], -v[16:17], v[54:55], v[48:49]
	v_fma_f64 v[52:53], -v[12:13], v[59:60], v[61:62]
	ds_read_b128 v[59:62], v58 offset:2416
	v_fma_f64 v[65:66], -v[18:19], v[67:68], v[69:70]
	v_fma_f64 v[67:68], -v[22:23], v[40:41], v[42:43]
	v_mul_f64 v[20:21], v[50:51], v[26:27]
	v_fma_f64 v[26:27], -v[4:5], v[63:64], v[56:57]
	v_fma_f64 v[56:57], -v[8:9], v[73:74], v[88:89]
	;; [unrolled: 1-line block ×4, first 2 shown]
	s_waitcnt lgkmcnt(2)
	v_fma_f64 v[65:66], -v[16:17], v[100:101], v[65:66]
	ds_read_b128 v[40:43], v58 offset:2800
	ds_read_b128 v[48:51], v58 offset:2816
	ds_read2_b64 v[52:55], v125 offset1:1
	v_fma_f64 v[67:68], -v[20:21], v[86:87], v[67:68]
	s_waitcnt lgkmcnt(3)
	v_fma_f64 v[34:35], -v[10:11], v[61:62], v[26:27]
	v_fma_f64 v[56:57], -v[14:15], v[71:72], v[56:57]
	;; [unrolled: 1-line block ×4, first 2 shown]
	ds_read2_b64 v[28:31], v123 offset1:1
	ds_read2_b64 v[61:64], v124 offset1:1
	v_fma_f64 v[71:72], -v[22:23], v[98:99], v[65:66]
	s_waitcnt lgkmcnt(2)
	v_fma_f64 v[24:25], -v[0:1], v[54:55], v[24:25]
	v_mul_f64 v[26:27], v[84:85], v[67:68]
	v_fma_f64 v[34:35], -v[8:9], v[59:60], v[34:35]
	s_waitcnt lgkmcnt(1)
	v_fma_f64 v[30:31], -v[12:13], v[30:31], v[56:57]
	v_mov_b32_e32 v65, 0x9f8
	ds_read2_b64 v[65:68], v65 offset1:1
	v_fma_f64 v[59:60], -v[22:23], v[50:51], v[69:70]
	v_fma_f64 v[50:51], -v[20:21], v[110:111], v[71:72]
	ds_read_b128 v[54:57], v58 offset:2400
	ds_read_b128 v[69:72], v58 offset:2384
	;; [unrolled: 1-line block ×3, first 2 shown]
	v_fma_f64 v[38:39], -v[26:27], v[38:39], v[73:74]
	v_fma_f64 v[86:87], -v[6:7], v[52:53], v[24:25]
	;; [unrolled: 1-line block ×3, first 2 shown]
	s_waitcnt lgkmcnt(2)
	v_fma_f64 v[56:57], -v[14:15], v[56:57], v[34:35]
	v_fma_f64 v[48:49], -v[20:21], v[48:49], v[59:60]
	;; [unrolled: 1-line block ×3, first 2 shown]
	v_mul_f64 v[24:25], v[36:37], v[38:39]
	s_waitcnt lgkmcnt(0)
	v_mul_f64 v[38:39], v[2:3], v[84:85]
	v_fma_f64 v[63:64], -v[16:17], v[63:64], v[73:74]
	ds_read2_b64 v[28:31], v126 offset1:1
	ds_read_b128 v[34:37], v58 offset:1984
	v_fma_f64 v[73:74], -v[12:13], v[54:55], v[56:57]
	v_mov_b32_e32 v54, 0xa18
	ds_read2_b64 v[54:57], v54 offset1:1
	s_waitcnt lgkmcnt(2)
	v_fma_f64 v[30:31], -v[4:5], v[30:31], v[86:87]
	ds_read2_b64 v[50:53], v127 offset1:1
	v_fma_f64 v[32:33], s[0:1], v[32:33], -v[38:39]
	v_fma_f64 v[38:39], -v[22:23], v[61:62], v[63:64]
	v_fma_f64 v[77:78], -v[24:25], v[77:78], v[88:89]
	;; [unrolled: 1-line block ×5, first 2 shown]
	v_mov_b32_e32 v30, 0xa08
	ds_read2_b64 v[59:62], v30 offset1:1
	v_fma_f64 v[32:33], -v[0:1], v[82:83], v[32:33]
	s_waitcnt lgkmcnt(2)
	v_fma_f64 v[38:39], -v[20:21], v[56:57], v[38:39]
	v_mul_f64 v[30:31], v[75:76], v[77:78]
	v_fma_f64 v[48:49], -v[16:17], v[69:70], v[63:64]
	ds_read_b128 v[69:72], v58 offset:2352
	ds_read_b128 v[73:76], v58 offset:2368
	s_waitcnt lgkmcnt(3)
	v_fma_f64 v[28:29], -v[8:9], v[52:53], v[28:29]
	v_fma_f64 v[52:53], -v[24:25], v[40:41], v[42:43]
	v_mov_b32_e32 v40, 0x878
	v_fma_f64 v[32:33], -v[6:7], v[36:37], v[32:33]
	v_fma_f64 v[56:57], -v[26:27], v[54:55], v[38:39]
	ds_read2_b64 v[36:39], v58 offset0:167 offset1:223
	s_waitcnt lgkmcnt(1)
	v_fma_f64 v[63:64], -v[22:23], v[75:76], v[48:49]
	ds_read2_b64 v[40:43], v40 offset1:1
	v_fma_f64 v[28:29], -v[14:15], v[50:51], v[28:29]
	s_waitcnt lgkmcnt(1)
	v_mul_f64 v[38:39], v[2:3], v[38:39]
	v_fma_f64 v[75:76], -v[4:5], v[34:35], v[32:33]
	v_mov_b32_e32 v32, 0x868
	ds_read2_b64 v[32:35], v32 offset1:1
	ds_read_b128 v[48:51], v58 offset:1968
	v_fma_f64 v[63:64], -v[20:21], v[73:74], v[63:64]
	v_fma_f64 v[56:57], -v[24:25], v[61:62], v[56:57]
	s_waitcnt lgkmcnt(2)
	v_fma_f64 v[28:29], -v[12:13], v[42:43], v[28:29]
	v_fma_f64 v[42:43], -v[30:31], v[106:107], v[52:53]
	s_waitcnt vmcnt(1)
	v_fma_f64 v[77:78], s[0:1], v[96:97], -v[38:39]
	s_waitcnt lgkmcnt(0)
	v_fma_f64 v[50:51], -v[10:11], v[50:51], v[75:76]
	ds_read2_b64 v[73:76], v58 offset0:221 offset1:222
	ds_read_b128 v[52:55], v58 offset:1952
	v_fma_f64 v[63:64], -v[26:27], v[71:72], v[63:64]
	v_fma_f64 v[82:83], -v[30:31], v[59:60], v[56:57]
	v_fma_f64 v[61:62], -v[18:19], v[40:41], v[28:29]
	ds_read2_b64 v[38:41], v58 offset0:219 offset1:220
	s_waitcnt lgkmcnt(2)
	v_fma_f64 v[75:76], -v[0:1], v[75:76], v[77:78]
	v_fma_f64 v[77:78], -v[8:9], v[48:49], v[50:51]
	v_mul_f64 v[28:29], v[104:105], v[42:43]
	v_fma_f64 v[34:35], -v[16:17], v[34:35], v[61:62]
	ds_read_b128 v[48:51], v58 offset:2336
	ds_read_b128 v[59:62], v58 offset:1552
	v_fma_f64 v[42:43], -v[6:7], v[73:74], v[75:76]
	s_waitcnt lgkmcnt(3)
	v_fma_f64 v[71:72], -v[14:15], v[54:55], v[77:78]
	ds_read_b128 v[54:57], v58 offset:1536
	v_fma_f64 v[77:78], -v[24:25], v[69:70], v[63:64]
	s_waitcnt lgkmcnt(1)
	v_mul_f64 v[61:62], v[2:3], v[61:62]
	v_mov_b32_e32 v63, 0x848
	v_fma_f64 v[69:70], -v[22:23], v[32:33], v[34:35]
	v_mov_b32_e32 v32, 0x858
	v_fma_f64 v[73:74], -v[4:5], v[40:41], v[42:43]
	v_fma_f64 v[52:53], -v[12:13], v[52:53], v[71:72]
	ds_read_b128 v[40:43], v58 offset:1936
	ds_read2_b64 v[32:35], v32 offset1:1
	v_fma_f64 v[84:85], s[0:1], v[94:95], -v[61:62]
	ds_read2_b64 v[61:64], v63 offset1:1
	v_fma_f64 v[77:78], -v[30:31], v[50:51], v[77:78]
	v_fma_f64 v[67:68], -v[28:29], v[67:68], v[82:83]
	;; [unrolled: 1-line block ×3, first 2 shown]
	ds_read2_b64 v[73:76], v58 offset0:217 offset1:218
	s_waitcnt lgkmcnt(3)
	v_fma_f64 v[42:43], -v[18:19], v[42:43], v[52:53]
	ds_read2_b64 v[50:53], v58 offset0:215 offset1:216
	v_fma_f64 v[59:60], -v[0:1], v[59:60], v[84:85]
	ds_read_b128 v[82:85], v58 offset:2320
	v_fma_f64 v[48:49], -v[28:29], v[48:49], v[77:78]
	s_waitcnt lgkmcnt(2)
	v_fma_f64 v[38:39], -v[8:9], v[75:76], v[38:39]
	v_fma_f64 v[40:41], -v[16:17], v[40:41], v[42:43]
	;; [unrolled: 1-line block ×3, first 2 shown]
	v_mul_f64 v[59:60], v[2:3], v[36:37]
	v_fma_f64 v[56:57], -v[14:15], v[73:74], v[38:39]
	ds_read_b128 v[36:39], v58 offset:1520
	v_mov_b32_e32 v73, 0x838
	v_fma_f64 v[42:43], -v[4:5], v[54:55], v[42:43]
	s_waitcnt lgkmcnt(2)
	v_fma_f64 v[56:57], -v[12:13], v[52:53], v[56:57]
	ds_read_b128 v[52:55], v58 offset:1504
	v_fma_f64 v[34:35], -v[20:21], v[34:35], v[69:70]
	ds_read_b128 v[69:72], v58 offset:1920
	s_waitcnt lgkmcnt(2)
	v_fma_f64 v[38:39], -v[10:11], v[38:39], v[42:43]
	s_waitcnt lgkmcnt(0)
	v_fma_f64 v[40:41], -v[22:23], v[71:72], v[40:41]
	s_waitcnt vmcnt(0)
	v_fma_f64 v[71:72], s[0:1], v[46:47], -v[59:60]
	v_fma_f64 v[32:33], -v[26:27], v[32:33], v[34:35]
	v_mul_f64 v[34:35], v[65:66], v[67:68]
	v_fma_f64 v[56:57], -v[18:19], v[50:51], v[56:57]
	v_fma_f64 v[90:91], -v[8:9], v[36:37], v[38:39]
	;; [unrolled: 1-line block ×4, first 2 shown]
	global_load_dwordx4 v[63:66], v[80:81], off offset:16
	v_fma_f64 v[88:89], -v[34:35], v[84:85], v[48:49]
	v_fma_f64 v[90:91], -v[14:15], v[54:55], v[90:91]
	;; [unrolled: 1-line block ×3, first 2 shown]
	ds_read2_b64 v[46:49], v58 offset0:165 offset1:166
	ds_read_b128 v[59:62], v58 offset:1888
	ds_read_b128 v[67:70], v58 offset:1904
	;; [unrolled: 1-line block ×3, first 2 shown]
	s_waitcnt lgkmcnt(3)
	v_fma_f64 v[77:78], -v[0:1], v[48:49], v[71:72]
	ds_read2_b64 v[48:51], v58 offset0:213 offset1:214
	ds_read2_b64 v[71:74], v73 offset1:1
	s_waitcnt lgkmcnt(3)
	v_fma_f64 v[69:70], -v[26:27], v[69:70], v[75:76]
	ds_read2_b64 v[84:87], v58 offset0:163 offset1:164
	ds_read2_b64 v[36:39], v58 offset0:211 offset1:212
	s_waitcnt lgkmcnt(3)
	v_fma_f64 v[50:51], -v[16:17], v[50:51], v[56:57]
	v_mov_b32_e32 v56, 0x828
	s_waitcnt lgkmcnt(2)
	v_fma_f64 v[73:74], -v[28:29], v[73:74], v[32:33]
	v_fma_f64 v[46:47], -v[6:7], v[46:47], v[77:78]
	ds_read2_b64 v[75:78], v56 offset1:1
	v_fma_f64 v[67:68], -v[24:25], v[67:68], v[69:70]
	ds_read2_b64 v[54:57], v58 offset0:161 offset1:162
	v_mul_f64 v[32:33], v[82:83], v[88:89]
	v_fma_f64 v[50:51], -v[22:23], v[48:49], v[50:51]
	v_fma_f64 v[92:93], -v[34:35], v[71:72], v[73:74]
	s_waitcnt lgkmcnt(3)
	v_fma_f64 v[69:70], -v[4:5], v[86:87], v[46:47]
	v_fma_f64 v[86:87], -v[12:13], v[52:53], v[90:91]
	;; [unrolled: 1-line block ×3, first 2 shown]
	global_load_dwordx4 v[46:49], v[80:81], off
	s_waitcnt lgkmcnt(2)
	v_fma_f64 v[38:39], -v[20:21], v[38:39], v[50:51]
	ds_read_b128 v[50:53], v58 offset:1488
	s_waitcnt lgkmcnt(2)
	v_fma_f64 v[77:78], -v[32:33], v[77:78], v[92:93]
	v_fma_f64 v[88:89], -v[10:11], v[84:85], v[69:70]
	ds_read_b128 v[67:70], v58 offset:1856
	ds_read_b128 v[71:74], v58 offset:1872
	;; [unrolled: 1-line block ×3, first 2 shown]
	v_fma_f64 v[90:91], -v[28:29], v[59:60], v[61:62]
	s_waitcnt lgkmcnt(3)
	v_fma_f64 v[52:53], -v[18:19], v[52:53], v[86:87]
	ds_read_b128 v[59:62], v58 offset:1104
	v_fma_f64 v[94:95], -v[26:27], v[36:37], v[38:39]
	v_fma_f64 v[56:57], -v[8:9], v[56:57], v[88:89]
	s_waitcnt lgkmcnt(0)
	v_mul_f64 v[61:62], v[2:3], v[61:62]
	v_fma_f64 v[73:74], -v[34:35], v[73:74], v[90:91]
	v_fma_f64 v[96:97], -v[16:17], v[50:51], v[52:53]
	ds_read2_b64 v[36:39], v58 offset0:209 offset1:210
	ds_read_b128 v[86:89], v58 offset:1088
	ds_read2_b64 v[50:53], v58 offset0:207 offset1:208
	v_fma_f64 v[90:91], -v[14:15], v[54:55], v[56:57]
	s_waitcnt lgkmcnt(2)
	v_fma_f64 v[92:93], -v[24:25], v[38:39], v[94:95]
	v_fma_f64 v[44:45], s[0:1], v[44:45], -v[61:62]
	v_fma_f64 v[61:62], -v[22:23], v[84:85], v[96:97]
	v_mul_f64 v[38:39], v[75:76], v[77:78]
	v_fma_f64 v[75:76], -v[32:33], v[71:72], v[73:74]
	ds_read2_b64 v[54:57], v58 offset0:159 offset1:160
	ds_read2_b64 v[71:74], v58 offset0:157 offset1:158
	v_fma_f64 v[36:37], -v[30:31], v[36:37], v[92:93]
	v_fma_f64 v[44:45], -v[0:1], v[59:60], v[44:45]
	;; [unrolled: 1-line block ×3, first 2 shown]
	ds_read_b128 v[59:62], v58 offset:1456
	v_fma_f64 v[69:70], -v[38:39], v[69:70], v[75:76]
	ds_read_b128 v[75:78], v58 offset:1440
	s_waitcnt lgkmcnt(3)
	v_fma_f64 v[56:57], -v[12:13], v[56:57], v[90:91]
	v_fma_f64 v[52:53], -v[28:29], v[52:53], v[36:37]
	;; [unrolled: 1-line block ×3, first 2 shown]
	v_mul_f64 v[36:37], v[67:68], v[69:70]
	ds_read2_b64 v[67:70], v58 offset0:55 offset1:111
	v_fma_f64 v[54:55], -v[18:19], v[54:55], v[56:57]
	s_waitcnt lgkmcnt(2)
	v_fma_f64 v[56:57], -v[26:27], v[61:62], v[82:83]
	v_fma_f64 v[44:45], -v[4:5], v[86:87], v[44:45]
	s_waitcnt lgkmcnt(0)
	v_mul_f64 v[90:91], v[2:3], v[69:70]
	v_fma_f64 v[56:57], -v[24:25], v[59:60], v[56:57]
	ds_read_b128 v[59:62], v58 offset:1072
	v_fma_f64 v[54:55], -v[16:17], v[73:74], v[54:55]
	v_fma_f64 v[73:74], -v[34:35], v[50:51], v[52:53]
	ds_read2_b64 v[82:85], v58 offset0:205 offset1:206
	ds_read2_b64 v[50:53], v58 offset0:203 offset1:204
	ds_read2_b64 v[86:89], v58 offset0:155 offset1:156
	s_waitcnt lgkmcnt(3)
	v_fma_f64 v[44:45], -v[10:11], v[61:62], v[44:45]
	s_waitcnt vmcnt(1)
	v_fma_f64 v[65:66], s[0:1], v[65:66], -v[90:91]
	v_fma_f64 v[77:78], -v[30:31], v[77:78], v[56:57]
	v_fma_f64 v[92:93], -v[22:23], v[71:72], v[54:55]
	s_waitcnt lgkmcnt(2)
	v_fma_f64 v[73:74], -v[32:33], v[84:85], v[73:74]
	ds_read_b128 v[69:72], v58 offset:1056
	ds_read2_b64 v[54:57], v58 offset0:153 offset1:154
	v_fma_f64 v[44:45], -v[8:9], v[59:60], v[44:45]
	ds_read_b128 v[59:62], v58 offset:656
	v_fma_f64 v[98:99], -v[28:29], v[75:76], v[77:78]
	s_waitcnt lgkmcnt(3)
	v_fma_f64 v[94:95], -v[20:21], v[88:89], v[92:93]
	ds_read2_b64 v[88:91], v58 offset0:109 offset1:110
	v_fma_f64 v[96:97], -v[38:39], v[82:83], v[73:74]
	ds_read2_b64 v[82:85], v58 offset0:107 offset1:108
	s_waitcnt lgkmcnt(4)
	v_fma_f64 v[44:45], -v[14:15], v[71:72], v[44:45]
	s_waitcnt lgkmcnt(1)
	v_fma_f64 v[65:66], -v[0:1], v[90:91], v[65:66]
	ds_read_b128 v[90:93], v58 offset:640
	v_mul_f64 v[61:62], v[2:3], v[61:62]
	v_fma_f64 v[86:87], -v[26:27], v[86:87], v[94:95]
	v_fma_f64 v[102:103], -v[36:37], v[52:53], v[96:97]
	ds_read_b128 v[71:74], v58 offset:1424
	ds_read_b128 v[75:78], v58 offset:1408
	v_fma_f64 v[44:45], -v[12:13], v[69:70], v[44:45]
	v_mul_f64 v[69:70], v[2:3], v[67:68]
	v_fma_f64 v[52:53], -v[6:7], v[88:89], v[65:66]
	s_waitcnt lgkmcnt(1)
	v_fma_f64 v[73:74], -v[34:35], v[73:74], v[98:99]
	v_fma_f64 v[88:89], s[0:1], v[63:64], -v[61:62]
	v_fma_f64 v[56:57], -v[24:25], v[56:57], v[86:87]
	ds_read_b128 v[61:64], v58 offset:1040
	ds_read_b128 v[65:68], v58 offset:1024
	s_waitcnt vmcnt(0)
	v_fma_f64 v[48:49], s[0:1], v[48:49], -v[69:70]
	v_fma_f64 v[52:53], -v[4:5], v[84:85], v[52:53]
	ds_read_b128 v[84:87], v58 offset:208
	v_fma_f64 v[59:60], -v[0:1], v[59:60], v[88:89]
	s_waitcnt lgkmcnt(2)
	v_fma_f64 v[44:45], -v[18:19], v[63:64], v[44:45]
	v_fma_f64 v[104:105], -v[32:33], v[71:72], v[73:74]
	ds_read2_b64 v[94:97], v58 offset0:53 offset1:54
	ds_read_b128 v[98:101], v58 offset:192
	s_waitcnt lgkmcnt(2)
	v_mul_f64 v[63:64], v[2:3], v[86:87]
	ds_read2_b64 v[69:72], v58 offset0:105 offset1:106
	v_fma_f64 v[52:53], -v[10:11], v[82:83], v[52:53]
	s_waitcnt lgkmcnt(2)
	v_fma_f64 v[48:49], -v[0:1], v[96:97], v[48:49]
	v_fma_f64 v[73:74], -v[6:7], v[92:93], v[59:60]
	;; [unrolled: 1-line block ×4, first 2 shown]
	ds_read_b128 v[59:62], v58 offset:464
	v_fma_f64 v[56:57], s[0:1], v[46:47], -v[63:64]
	ds_read2_b64 v[44:47], v58 offset0:103 offset1:104
	s_waitcnt lgkmcnt(2)
	v_fma_f64 v[86:87], -v[8:9], v[71:72], v[52:53]
	ds_read_b128 v[52:55], v58 offset:624
	v_fma_f64 v[63:64], -v[4:5], v[90:91], v[73:74]
	v_fma_f64 v[48:49], -v[6:7], v[94:95], v[48:49]
	ds_read2_b64 v[71:74], v58 offset0:51 offset1:52
	v_fma_f64 v[90:91], -v[22:23], v[67:68], v[82:83]
	v_fma_f64 v[94:95], -v[0:1], v[84:85], v[56:57]
	ds_read_b128 v[82:85], v58 offset:608
	v_fma_f64 v[96:97], -v[14:15], v[69:70], v[86:87]
	v_fma_f64 v[77:78], -v[38:39], v[77:78], v[104:105]
	s_waitcnt lgkmcnt(2)
	v_fma_f64 v[63:64], -v[10:11], v[54:55], v[63:64]
	ds_read2_b64 v[54:57], v58 offset0:49 offset1:50
	s_waitcnt lgkmcnt(2)
	v_fma_f64 v[48:49], -v[4:5], v[73:74], v[48:49]
	v_fma_f64 v[90:91], -v[20:21], v[65:66], v[90:91]
	;; [unrolled: 1-line block ×3, first 2 shown]
	ds_read2_b64 v[67:70], v58 offset0:151 offset1:152
	ds_read2_b64 v[86:89], v58 offset0:149 offset1:150
	v_fma_f64 v[94:95], -v[12:13], v[46:47], v[96:97]
	v_fma_f64 v[52:53], -v[8:9], v[52:53], v[63:64]
	ds_read_b128 v[63:66], v58 offset:1008
	v_fma_f64 v[96:97], -v[10:11], v[71:72], v[48:49]
	s_waitcnt lgkmcnt(2)
	v_fma_f64 v[100:101], -v[28:29], v[69:70], v[92:93]
	v_fma_f64 v[73:74], -v[4:5], v[98:99], v[73:74]
	ds_read_b128 v[69:72], v58 offset:176
	s_waitcnt lgkmcnt(1)
	v_fma_f64 v[65:66], -v[26:27], v[65:66], v[90:91]
	v_fma_f64 v[44:45], -v[18:19], v[44:45], v[94:95]
	;; [unrolled: 1-line block ×3, first 2 shown]
	ds_read2_b64 v[90:93], v58 offset0:101 offset1:102
	v_fma_f64 v[56:57], -v[8:9], v[56:57], v[96:97]
	ds_read_b128 v[94:97], v58 offset:160
	s_waitcnt lgkmcnt(2)
	v_fma_f64 v[84:85], -v[10:11], v[71:72], v[73:74]
	ds_read_b128 v[71:74], v58 offset:592
	v_fma_f64 v[98:99], -v[24:25], v[63:64], v[65:66]
	ds_read2_b64 v[63:66], v58 offset0:99 offset1:100
	v_fma_f64 v[106:107], -v[12:13], v[82:83], v[52:53]
	s_waitcnt lgkmcnt(3)
	v_fma_f64 v[44:45], -v[16:17], v[92:93], v[44:45]
	v_fma_f64 v[56:57], -v[14:15], v[54:55], v[56:57]
	ds_read_b128 v[52:55], v58 offset:576
	v_fma_f64 v[69:70], -v[8:9], v[69:70], v[84:85]
	ds_read2_b64 v[82:85], v58 offset0:47 offset1:48
	ds_read_b128 v[46:49], v58 offset:992
	v_fma_f64 v[67:68], -v[34:35], v[67:68], v[100:101]
	s_waitcnt lgkmcnt(4)
	v_fma_f64 v[73:74], -v[18:19], v[73:74], v[106:107]
	v_fma_f64 v[104:105], -v[22:23], v[90:91], v[44:45]
	ds_read2_b64 v[90:93], v58 offset0:45 offset1:46
	s_waitcnt lgkmcnt(2)
	v_fma_f64 v[56:57], -v[12:13], v[84:85], v[56:57]
	v_fma_f64 v[69:70], -v[14:15], v[96:97], v[69:70]
	v_mul_f64 v[44:45], v[50:51], v[102:103]
	v_fma_f64 v[96:97], -v[36:37], v[75:76], v[77:78]
	v_fma_f64 v[71:72], -v[16:17], v[71:72], v[73:74]
	;; [unrolled: 1-line block ×6, first 2 shown]
	ds_read2_b64 v[54:57], v58 offset0:97 offset1:98
	s_waitcnt lgkmcnt(2)
	v_fma_f64 v[48:49], -v[30:31], v[48:49], v[98:99]
	v_fma_f64 v[98:99], -v[32:33], v[88:89], v[67:68]
	;; [unrolled: 1-line block ×4, first 2 shown]
	s_waitcnt lgkmcnt(1)
	v_fma_f64 v[84:85], -v[16:17], v[92:93], v[65:66]
	ds_read_b128 v[63:66], v58 offset:128
	v_fma_f64 v[52:53], -v[20:21], v[52:53], v[71:72]
	v_mul_f64 v[42:43], v[40:41], v[42:43]
	v_fma_f64 v[100:101], -v[28:29], v[46:47], v[48:49]
	ds_read_b128 v[46:49], v58 offset:144
	s_waitcnt lgkmcnt(2)
	v_fma_f64 v[56:57], -v[24:25], v[56:57], v[82:83]
	v_fma_f64 v[102:103], -v[22:23], v[90:91], v[84:85]
	s_waitcnt lgkmcnt(0)
	v_fma_f64 v[88:89], -v[18:19], v[48:49], v[67:68]
	ds_read_b128 v[48:51], v58 offset:960
	ds_read_b128 v[67:70], v58 offset:976
	ds_read2_b64 v[71:74], v58 offset0:95 offset1:96
	ds_read_b128 v[75:78], v58 offset:560
	v_fma_f64 v[56:57], -v[30:31], v[54:55], v[56:57]
	s_waitcnt lgkmcnt(0)
	v_fma_f64 v[52:53], -v[26:27], v[77:78], v[52:53]
	v_fma_f64 v[46:47], -v[16:17], v[46:47], v[88:89]
	ds_read2_b64 v[82:85], v58 offset0:43 offset1:44
	ds_read_b128 v[88:91], v58 offset:544
	v_fma_f64 v[77:78], -v[38:39], v[86:87], v[98:99]
	ds_read2_b64 v[92:95], v58 offset0:41 offset1:42
	s_waitcnt lgkmcnt(2)
	v_fma_f64 v[98:99], -v[20:21], v[84:85], v[102:103]
	v_fma_f64 v[56:57], -v[28:29], v[73:74], v[56:57]
	ds_read2_b64 v[84:87], v58 offset0:147 offset1:148
	v_fma_f64 v[46:47], -v[22:23], v[65:66], v[46:47]
	v_fma_f64 v[65:66], -v[34:35], v[69:70], v[100:101]
	;; [unrolled: 1-line block ×3, first 2 shown]
	ds_read2_b64 v[52:55], v58 offset0:145 offset1:146
	s_waitcnt lgkmcnt(1)
	v_fma_f64 v[77:78], -v[36:37], v[86:87], v[77:78]
	v_fma_f64 v[75:76], -v[26:27], v[82:83], v[98:99]
	;; [unrolled: 1-line block ×5, first 2 shown]
	ds_read_b128 v[63:66], v58 offset:112
	v_fma_f64 v[73:74], -v[30:31], v[90:91], v[69:70]
	ds_read_b128 v[67:70], v58 offset:96
	s_waitcnt lgkmcnt(1)
	v_fma_f64 v[46:47], -v[26:27], v[65:66], v[46:47]
	v_fma_f64 v[50:51], -v[38:39], v[50:51], v[82:83]
	;; [unrolled: 1-line block ×3, first 2 shown]
	ds_read2_b64 v[71:74], v58 offset0:93 offset1:94
	v_fma_f64 v[40:41], -v[24:25], v[94:95], v[75:76]
	v_fma_f64 v[94:95], -v[44:45], v[84:85], v[77:78]
	ds_read_b128 v[75:78], v58 offset:528
	v_fma_f64 v[46:47], -v[24:25], v[63:64], v[46:47]
	s_waitcnt lgkmcnt(1)
	v_fma_f64 v[56:57], -v[32:33], v[73:74], v[56:57]
	ds_read2_b64 v[63:66], v58 offset0:91 offset1:92
	ds_read2_b64 v[82:85], v58 offset0:39 offset1:40
	v_fma_f64 v[50:51], -v[36:37], v[48:49], v[50:51]
	s_waitcnt lgkmcnt(2)
	v_fma_f64 v[73:74], -v[34:35], v[77:78], v[90:91]
	v_fma_f64 v[40:41], -v[30:31], v[92:93], v[40:41]
	ds_read_b128 v[86:89], v58 offset:512
	v_fma_f64 v[77:78], -v[42:43], v[54:55], v[94:95]
	v_fma_f64 v[69:70], -v[30:31], v[69:70], v[46:47]
	;; [unrolled: 1-line block ×3, first 2 shown]
	ds_read_b128 v[46:49], v58 offset:944
	ds_read_b128 v[54:57], v58 offset:928
	v_fma_f64 v[73:74], -v[32:33], v[75:76], v[73:74]
	s_waitcnt lgkmcnt(3)
	v_fma_f64 v[40:41], -v[28:29], v[84:85], v[40:41]
	ds_read2_b64 v[90:93], v58 offset0:37 offset1:38
	s_waitcnt lgkmcnt(2)
	v_fma_f64 v[75:76], -v[44:45], v[48:49], v[50:51]
	v_fma_f64 v[69:70], -v[28:29], v[67:68], v[69:70]
	;; [unrolled: 1-line block ×3, first 2 shown]
	ds_read_b128 v[48:51], v58 offset:80
	ds_read_b128 v[65:68], v58 offset:64
	v_mul_f64 v[52:53], v[52:53], v[77:78]
	v_fma_f64 v[40:41], -v[34:35], v[82:83], v[40:41]
	v_fma_f64 v[46:47], -v[42:43], v[46:47], v[75:76]
	s_waitcnt lgkmcnt(1)
	v_fma_f64 v[50:51], -v[34:35], v[50:51], v[69:70]
	v_fma_f64 v[63:64], -v[44:45], v[63:64], v[71:72]
	ds_read2_b64 v[69:72], v58 offset0:89 offset1:90
	v_fma_f64 v[73:74], -v[38:39], v[88:89], v[73:74]
	v_fma_f64 v[56:57], -v[52:53], v[56:57], v[46:47]
	;; [unrolled: 1-line block ×3, first 2 shown]
	s_waitcnt lgkmcnt(0)
	v_fma_f64 v[63:64], -v[42:43], v[71:72], v[63:64]
	v_fma_f64 v[77:78], -v[36:37], v[86:87], v[73:74]
	ds_read_b128 v[73:76], v58 offset:496
	v_fma_f64 v[40:41], -v[32:33], v[92:93], v[40:41]
	ds_read2_b64 v[46:49], v58 offset0:35 offset1:36
	ds_read2_b64 v[82:85], v58 offset0:87 offset1:88
	ds_read_b128 v[86:89], v58 offset:480
	s_waitcnt lgkmcnt(3)
	v_fma_f64 v[71:72], -v[44:45], v[75:76], v[77:78]
	ds_read2_b64 v[75:78], v58 offset0:33 offset1:34
	v_fma_f64 v[40:41], -v[38:39], v[90:91], v[40:41]
	s_waitcnt lgkmcnt(3)
	v_fma_f64 v[40:41], -v[36:37], v[48:49], v[40:41]
	v_fma_f64 v[48:49], -v[38:39], v[67:68], v[50:51]
	v_mul_f64 v[50:51], v[54:55], v[56:57]
	v_fma_f64 v[54:55], -v[52:53], v[69:70], v[63:64]
	v_fma_f64 v[56:57], -v[42:43], v[73:74], v[71:72]
	;; [unrolled: 1-line block ×4, first 2 shown]
	ds_read_b128 v[46:49], v58 offset:48
	s_waitcnt lgkmcnt(3)
	v_fma_f64 v[65:66], -v[50:51], v[84:85], v[54:55]
	s_waitcnt lgkmcnt(2)
	v_fma_f64 v[67:68], -v[52:53], v[88:89], v[56:57]
	ds_read_b128 v[54:57], v58 offset:32
	s_waitcnt lgkmcnt(1)
	v_fma_f64 v[63:64], -v[44:45], v[48:49], v[63:64]
	v_mul_f64 v[48:49], v[82:83], v[65:66]
	v_fma_f64 v[67:68], -v[50:51], v[86:87], v[67:68]
	v_fma_f64 v[46:47], -v[42:43], v[46:47], v[63:64]
	ds_read2_b64 v[63:66], v58 offset0:31 offset1:32
	v_fma_f64 v[40:41], -v[42:43], v[77:78], v[40:41]
	v_fma_f64 v[61:62], -v[48:49], v[61:62], v[67:68]
	ds_read2_b64 v[67:70], v58 offset0:29 offset1:30
	s_waitcnt lgkmcnt(2)
	v_fma_f64 v[56:57], -v[52:53], v[56:57], v[46:47]
	v_fma_f64 v[40:41], -v[52:53], v[75:76], v[40:41]
	v_mul_f64 v[46:47], v[59:60], v[61:62]
	s_waitcnt lgkmcnt(1)
	v_fma_f64 v[40:41], -v[50:51], v[65:66], v[40:41]
	v_fma_f64 v[40:41], -v[48:49], v[63:64], v[40:41]
	;; [unrolled: 1-line block ×3, first 2 shown]
	ds_read_b128 v[54:57], v58 offset:16
	ds_read_b128 v[58:61], v58
	global_store_dwordx4 v[80:81], v[0:3], off offset:208
	global_store_dwordx4 v[80:81], v[4:7], off offset:192
	;; [unrolled: 1-line block ×6, first 2 shown]
	s_waitcnt lgkmcnt(2)
	v_fma_f64 v[40:41], -v[46:47], v[69:70], v[40:41]
	s_waitcnt lgkmcnt(1)
	v_fma_f64 v[62:63], -v[48:49], v[56:57], v[62:63]
	v_mul_f64 v[56:57], v[67:68], v[40:41]
	v_fma_f64 v[40:41], -v[46:47], v[54:55], v[62:63]
	s_waitcnt lgkmcnt(0)
	v_fma_f64 v[40:41], -v[56:57], v[60:61], v[40:41]
	v_mul_f64 v[54:55], v[58:59], v[40:41]
	global_store_dwordx4 v[80:81], v[24:27], off offset:112
	global_store_dwordx4 v[80:81], v[28:31], off offset:96
	;; [unrolled: 1-line block ×7, first 2 shown]
	global_store_dwordx4 v[80:81], v[54:57], off
.LBB100_10:
	s_cmp_gt_i32 s2, -1
	s_cbranch_scc0 .LBB100_29
; %bb.11:
	s_cmp_lt_u32 s2, 23
	s_cbranch_scc1 .LBB100_16
; %bb.12:
	s_mov_b32 s5, 0
	s_mov_b32 s3, s5
	s_lshl_b64 s[6:7], s[2:3], 3
	v_mov_b32_e32 v0, s7
	v_add_co_u32_e32 v26, vcc, s6, v80
	v_addc_co_u32_e32 v27, vcc, v81, v0, vcc
	global_load_dwordx4 v[0:3], v[26:27], off offset:-8
	global_load_dwordx4 v[6:9], v[26:27], off offset:-24
	;; [unrolled: 1-line block ×12, first 2 shown]
	s_cmp_le_i32 s11, s2
	s_waitcnt vmcnt(11)
	v_mul_f64 v[4:5], s[0:1], v[2:3]
	v_mul_f64 v[48:49], s[0:1], v[0:1]
	s_waitcnt vmcnt(10)
	v_mul_f64 v[8:9], s[0:1], v[8:9]
	v_mul_f64 v[10:11], s[0:1], v[6:7]
	;; [unrolled: 3-line block ×12, first 2 shown]
	s_cbranch_scc1 .LBB100_15
; %bb.13:
	s_mul_i32 s3, s2, 0xe0
	s_lshl_b32 s4, s24, 3
	s_add_i32 s3, s3, s4
	s_addk_i32 s3, 0xebd8
	s_mov_b32 s4, s11
.LBB100_14:                             ; =>This Inner Loop Header: Depth=1
	s_lshl_b64 s[6:7], s[4:5], 3
	v_mov_b32_e32 v51, s7
	v_add_co_u32_e32 v50, vcc, s6, v80
	v_addc_co_u32_e32 v51, vcc, v81, v51, vcc
	global_load_dwordx2 v[78:79], v[50:51], off
	v_mov_b32_e32 v66, s3
	v_add_u32_e32 v74, 0x1000, v66
	v_add_u32_e32 v82, 0xc00, v66
	;; [unrolled: 1-line block ×3, first 2 shown]
	ds_read2_b64 v[50:53], v66 offset0:224 offset1:252
	ds_read2_b64 v[54:57], v66 offset0:168 offset1:196
	;; [unrolled: 1-line block ×4, first 2 shown]
	ds_read2_b64 v[66:69], v66 offset1:28
	ds_read2_b64 v[70:73], v74 offset0:104 offset1:132
	ds_read2_b64 v[74:77], v74 offset0:48 offset1:76
	;; [unrolled: 1-line block ×7, first 2 shown]
	s_add_i32 s4, s4, -1
	s_add_i32 s3, s3, -8
	s_cmp_gt_i32 s4, s2
	s_waitcnt vmcnt(0) lgkmcnt(6)
	v_fma_f64 v[4:5], -v[78:79], v[72:73], v[4:5]
	v_fma_f64 v[48:49], -v[78:79], v[70:71], v[48:49]
	s_waitcnt lgkmcnt(5)
	v_fma_f64 v[8:9], -v[78:79], v[76:77], v[8:9]
	v_fma_f64 v[10:11], -v[78:79], v[74:75], v[10:11]
	s_waitcnt lgkmcnt(4)
	;; [unrolled: 3-line block ×6, first 2 shown]
	v_fma_f64 v[30:31], -v[78:79], v[100:101], v[30:31]
	v_fma_f64 v[34:35], -v[78:79], v[98:99], v[34:35]
	;; [unrolled: 1-line block ×12, first 2 shown]
	s_cbranch_scc1 .LBB100_14
.LBB100_15:
	s_mul_i32 s3, s2, 0xe8
	v_mov_b32_e32 v50, s3
	ds_read_b64 v[54:55], v50
	s_add_i32 s4, s2, -1
	s_mul_i32 s3, s4, 0xe0
	s_lshl_b32 s5, s4, 3
	s_add_i32 s5, s3, s5
	s_waitcnt lgkmcnt(0)
	v_mul_f64 v[4:5], v[54:55], v[4:5]
	v_mov_b32_e32 v50, s5
	ds_read2_b64 v[50:53], v50 offset1:1
	s_lshl_b32 s25, s2, 3
	s_add_i32 s8, s3, 0xffffff20
	s_add_i32 s9, s8, s25
	s_mov_b32 s5, 0
	s_lshl_b64 s[6:7], s[4:5], 3
	s_waitcnt lgkmcnt(0)
	v_fma_f64 v[48:49], -v[4:5], v[52:53], v[48:49]
	v_mov_b32_e32 v52, s9
	ds_read_b64 v[56:57], v52
	s_add_i32 s4, s2, -2
	s_lshl_b32 s9, s4, 3
	s_add_i32 s8, s8, s9
	v_mov_b32_e32 v52, s8
	s_add_i32 s8, s3, 0xfffffe40
	s_waitcnt lgkmcnt(0)
	v_fma_f64 v[56:57], -v[4:5], v[56:57], v[8:9]
	v_mul_f64 v[8:9], v[50:51], v[48:49]
	s_add_i32 s9, s8, s25
	s_add_i32 s9, s9, -8
	v_mov_b32_e32 v48, s9
	ds_read2_b64 v[52:55], v52 offset1:1
	ds_read2_b64 v[48:51], v48 offset1:1
	s_lshl_b64 s[16:17], s[4:5], 3
	s_add_i32 s4, s2, -3
	s_lshl_b32 s9, s4, 3
	s_add_i32 s8, s8, s9
	s_waitcnt lgkmcnt(1)
	v_fma_f64 v[58:59], -v[8:9], v[54:55], v[56:57]
	v_mov_b32_e32 v54, s8
	s_waitcnt lgkmcnt(0)
	v_fma_f64 v[60:61], -v[4:5], v[50:51], v[10:11]
	s_add_i32 s8, s3, 0xfffffd60
	s_add_i32 s9, s8, s25
	v_mov_b32_e32 v10, s9
	ds_read2_b64 v[54:57], v54 offset1:1
	ds_read_b64 v[62:63], v10
	v_mul_f64 v[10:11], v[52:53], v[58:59]
	s_add_i32 s9, s9, -16
	v_fma_f64 v[48:49], -v[8:9], v[48:49], v[60:61]
	v_mov_b32_e32 v50, s9
	s_waitcnt lgkmcnt(0)
	v_fma_f64 v[12:13], -v[4:5], v[62:63], v[12:13]
	ds_read2_b64 v[50:53], v50 offset1:1
	s_add_i32 s9, s3, 0xfffffc80
	s_add_i32 s12, s9, s25
	s_add_i32 s13, s12, -8
	s_lshl_b64 s[18:19], s[4:5], 3
	v_fma_f64 v[48:49], -v[10:11], v[56:57], v[48:49]
	s_add_i32 s4, s2, -4
	s_waitcnt lgkmcnt(0)
	v_fma_f64 v[12:13], -v[8:9], v[52:53], v[12:13]
	s_lshl_b64 s[14:15], s[4:5], 3
	s_add_i32 s20, s3, 0xfffffac0
	s_add_i32 s21, s20, s25
	;; [unrolled: 1-line block ×6, first 2 shown]
	v_fma_f64 v[56:57], -v[10:11], v[50:51], v[12:13]
	v_mul_f64 v[12:13], v[54:55], v[48:49]
	v_mov_b32_e32 v48, s13
	ds_read2_b64 v[48:51], v48 offset1:1
	s_lshl_b32 s13, s4, 3
	s_add_i32 s8, s8, s13
	v_mov_b32_e32 v52, s8
	ds_read2_b64 v[52:55], v52 offset1:1
	s_waitcnt lgkmcnt(1)
	v_fma_f64 v[46:47], -v[4:5], v[50:51], v[46:47]
	s_add_i32 s4, s2, -5
	s_sub_i32 s8, s12, 24
	s_add_i32 s28, s29, s25
	s_waitcnt lgkmcnt(0)
	v_fma_f64 v[58:59], -v[12:13], v[54:55], v[56:57]
	v_mov_b32_e32 v68, s17
	v_mov_b32_e32 v70, s19
	s_add_i32 s19, s3, 0xfffff580
	v_fma_f64 v[50:51], -v[8:9], v[48:49], v[46:47]
	v_mov_b32_e32 v46, s8
	s_lshl_b32 s8, s4, 3
	s_add_i32 s8, s9, s8
	v_mov_b32_e32 v54, s8
	s_add_i32 s8, s3, 0xfffffba0
	s_add_i32 s9, s8, s25
	v_mov_b32_e32 v60, s9
	ds_read2_b64 v[46:49], v46 offset1:1
	ds_read2_b64 v[54:57], v54 offset1:1
	ds_read_b64 v[60:61], v60
	s_add_i32 s12, s9, -16
	s_sub_i32 s9, s9, 32
	s_waitcnt lgkmcnt(2)
	v_fma_f64 v[62:63], -v[10:11], v[48:49], v[50:51]
	v_mov_b32_e32 v48, s12
	ds_read2_b64 v[48:51], v48 offset1:1
	s_waitcnt lgkmcnt(1)
	v_fma_f64 v[60:61], -v[4:5], v[60:61], v[14:15]
	v_mul_f64 v[14:15], v[52:53], v[58:59]
	s_lshl_b64 s[12:13], s[4:5], 3
	s_add_i32 s4, s2, -6
	v_fma_f64 v[46:47], -v[12:13], v[46:47], v[62:63]
	s_waitcnt lgkmcnt(0)
	v_fma_f64 v[50:51], -v[8:9], v[50:51], v[60:61]
	v_fma_f64 v[64:65], -v[14:15], v[56:57], v[46:47]
	v_mov_b32_e32 v46, s9
	s_lshl_b32 s9, s4, 3
	v_fma_f64 v[56:57], -v[10:11], v[48:49], v[50:51]
	ds_read2_b64 v[46:49], v46 offset1:1
	s_add_i32 s8, s8, s9
	v_mov_b32_e32 v50, s8
	s_add_i32 s8, s21, -8
	ds_read2_b64 v[50:53], v50 offset1:1
	s_waitcnt lgkmcnt(1)
	v_fma_f64 v[48:49], -v[12:13], v[48:49], v[56:57]
	v_mov_b32_e32 v56, s8
	ds_read2_b64 v[56:59], v56 offset1:1
	s_sub_i32 s8, s21, 24
	v_mov_b32_e32 v60, s8
	ds_read2_b64 v[60:63], v60 offset1:1
	s_add_i32 s8, s22, -16
	s_waitcnt lgkmcnt(1)
	v_fma_f64 v[58:59], -v[4:5], v[58:59], v[18:19]
	v_mul_f64 v[18:19], v[54:55], v[64:65]
	v_fma_f64 v[46:47], -v[14:15], v[46:47], v[48:49]
	s_sub_i32 s21, s21, 40
	v_fma_f64 v[48:49], -v[8:9], v[56:57], v[58:59]
	v_fma_f64 v[52:53], -v[18:19], v[52:53], v[46:47]
	v_mov_b32_e32 v46, s22
	ds_read_b64 v[54:55], v46
	v_mov_b32_e32 v46, s8
	s_lshl_b64 s[8:9], s[4:5], 3
	s_add_i32 s4, s2, -7
	s_waitcnt lgkmcnt(1)
	v_fma_f64 v[56:57], -v[10:11], v[62:63], v[48:49]
	s_waitcnt lgkmcnt(0)
	v_fma_f64 v[54:55], -v[4:5], v[54:55], v[20:21]
	ds_read2_b64 v[46:49], v46 offset1:1
	v_mul_f64 v[20:21], v[50:51], v[52:53]
	v_mov_b32_e32 v72, s9
	v_fma_f64 v[60:61], -v[12:13], v[60:61], v[56:57]
	s_waitcnt lgkmcnt(0)
	v_fma_f64 v[56:57], -v[8:9], v[48:49], v[54:55]
	v_mov_b32_e32 v48, s21
	s_lshl_b32 s21, s4, 3
	s_add_i32 s20, s20, s21
	v_mov_b32_e32 v52, s20
	s_sub_i32 s20, s22, 32
	ds_read2_b64 v[48:51], v48 offset1:1
	ds_read2_b64 v[52:55], v52 offset1:1
	global_store_dwordx2 v[26:27], v[4:5], off
	v_fma_f64 v[46:47], -v[10:11], v[46:47], v[56:57]
	v_mov_b32_e32 v56, s20
	ds_read2_b64 v[56:59], v56 offset1:1
	s_sub_i32 s20, s22, 48
	s_waitcnt lgkmcnt(2)
	v_fma_f64 v[50:51], -v[14:15], v[50:51], v[60:61]
	v_mov_b32_e32 v60, s20
	ds_read2_b64 v[60:63], v60 offset1:1
	s_add_i32 s20, s27, s25
	s_waitcnt lgkmcnt(1)
	v_fma_f64 v[58:59], -v[12:13], v[58:59], v[46:47]
	s_add_i32 s21, s20, -8
	v_mov_b32_e32 v46, s21
	ds_read2_b64 v[64:67], v46 offset1:1
	v_fma_f64 v[50:51], -v[18:19], v[48:49], v[50:51]
	s_sub_i32 s21, s20, 24
	s_lshl_b64 s[22:23], s[4:5], 3
	s_add_i32 s4, s2, -8
	v_fma_f64 v[56:57], -v[14:15], v[56:57], v[58:59]
	v_fma_f64 v[50:51], -v[20:21], v[54:55], v[50:51]
	s_waitcnt lgkmcnt(1)
	v_fma_f64 v[56:57], -v[18:19], v[62:63], v[56:57]
	v_fma_f64 v[60:61], -v[20:21], v[60:61], v[56:57]
	v_mov_b32_e32 v56, s28
	ds_read_b64 v[62:63], v56
	s_waitcnt lgkmcnt(1)
	v_fma_f64 v[22:23], -v[4:5], v[66:67], v[22:23]
	v_mov_b32_e32 v46, s21
	ds_read2_b64 v[46:49], v46 offset1:1
	s_lshl_b32 s21, s4, 3
	s_add_i32 s21, s26, s21
	s_add_i32 s26, s3, 0xfffff740
	;; [unrolled: 1-line block ×3, first 2 shown]
	v_fma_f64 v[54:55], -v[8:9], v[64:65], v[22:23]
	v_mul_f64 v[22:23], v[52:53], v[50:51]
	s_waitcnt lgkmcnt(1)
	v_fma_f64 v[64:65], -v[4:5], v[62:63], v[44:45]
	s_waitcnt lgkmcnt(0)
	v_fma_f64 v[52:53], -v[10:11], v[48:49], v[54:55]
	v_mov_b32_e32 v48, s21
	s_sub_i32 s21, s20, 40
	s_sub_i32 s20, s20, 56
	v_mov_b32_e32 v56, s20
	s_add_i32 s20, s28, -16
	v_mov_b32_e32 v44, s20
	ds_read2_b64 v[48:51], v48 offset1:1
	v_fma_f64 v[46:47], -v[12:13], v[46:47], v[52:53]
	v_mov_b32_e32 v52, s21
	ds_read2_b64 v[52:55], v52 offset1:1
	ds_read2_b64 v[56:59], v56 offset1:1
	s_waitcnt lgkmcnt(2)
	v_fma_f64 v[50:51], -v[22:23], v[50:51], v[60:61]
	s_sub_i32 s20, s28, 32
	v_mov_b32_e32 v60, s20
	s_lshl_b64 s[20:21], s[4:5], 3
	s_waitcnt lgkmcnt(1)
	v_fma_f64 v[54:55], -v[14:15], v[54:55], v[46:47]
	ds_read2_b64 v[44:47], v44 offset1:1
	s_add_i32 s4, s30, -8
	ds_read2_b64 v[60:63], v60 offset1:1
	v_mul_f64 v[26:27], v[48:49], v[50:51]
	s_waitcnt lgkmcnt(1)
	v_fma_f64 v[46:47], -v[8:9], v[46:47], v[64:65]
	v_mov_b32_e32 v64, s7
	v_fma_f64 v[52:53], -v[18:19], v[52:53], v[54:55]
	v_fma_f64 v[48:49], -v[10:11], v[44:45], v[46:47]
	v_mov_b32_e32 v44, s4
	ds_read2_b64 v[44:47], v44 offset1:1
	s_sub_i32 s4, s30, 24
	v_fma_f64 v[52:53], -v[20:21], v[58:59], v[52:53]
	s_waitcnt lgkmcnt(1)
	v_fma_f64 v[54:55], -v[12:13], v[62:63], v[48:49]
	v_mov_b32_e32 v48, s4
	ds_read2_b64 v[48:51], v48 offset1:1
	s_waitcnt lgkmcnt(1)
	v_fma_f64 v[42:43], -v[4:5], v[46:47], v[42:43]
	s_add_i32 s4, s2, -9
	s_lshl_b32 s7, s4, 3
	s_add_i32 s7, s27, s7
	v_fma_f64 v[46:47], -v[22:23], v[56:57], v[52:53]
	v_fma_f64 v[60:61], -v[14:15], v[60:61], v[54:55]
	v_mov_b32_e32 v52, s7
	s_sub_i32 s7, s28, 48
	v_fma_f64 v[62:63], -v[8:9], v[44:45], v[42:43]
	v_mov_b32_e32 v42, s7
	ds_read2_b64 v[42:45], v42 offset1:1
	ds_read2_b64 v[52:55], v52 offset1:1
	s_add_i32 s27, s3, 0xfffff660
	s_sub_i32 s7, s28, 64
	s_add_i32 s28, s27, s25
	s_waitcnt lgkmcnt(1)
	v_fma_f64 v[44:45], -v[18:19], v[44:45], v[60:61]
	v_add_co_u32_e32 v60, vcc, s6, v80
	v_fma_f64 v[50:51], -v[10:11], v[50:51], v[62:63]
	s_sub_i32 s6, s30, 40
	v_addc_co_u32_e32 v61, vcc, v81, v64, vcc
	s_waitcnt lgkmcnt(0)
	v_fma_f64 v[54:55], -v[26:27], v[54:55], v[46:47]
	v_fma_f64 v[64:65], -v[20:21], v[42:43], v[44:45]
	v_mov_b32_e32 v42, s6
	v_mov_b32_e32 v46, s28
	v_fma_f64 v[50:51], -v[12:13], v[48:49], v[50:51]
	global_store_dwordx2 v[60:61], v[8:9], off
	ds_read2_b64 v[42:45], v42 offset1:1
	ds_read_b64 v[60:61], v46
	s_sub_i32 s6, s30, 56
	v_mov_b32_e32 v56, s7
	v_mov_b32_e32 v46, s6
	s_add_i32 s6, s28, -16
	s_waitcnt lgkmcnt(0)
	v_fma_f64 v[30:31], -v[4:5], v[60:61], v[30:31]
	ds_read2_b64 v[56:59], v56 offset1:1
	v_fma_f64 v[44:45], -v[14:15], v[44:45], v[50:51]
	v_mov_b32_e32 v50, s6
	ds_read2_b64 v[60:63], v50 offset1:1
	s_sub_i32 s6, s28, 32
	s_waitcnt lgkmcnt(1)
	v_fma_f64 v[50:51], -v[22:23], v[58:59], v[64:65]
	v_mov_b32_e32 v58, s6
	ds_read2_b64 v[64:67], v58 offset1:1
	s_waitcnt lgkmcnt(1)
	v_fma_f64 v[58:59], -v[8:9], v[62:63], v[30:31]
	v_mul_f64 v[30:31], v[52:53], v[54:55]
	v_fma_f64 v[52:53], -v[18:19], v[42:43], v[44:45]
	ds_read2_b64 v[46:49], v46 offset1:1
	s_lshl_b64 s[6:7], s[4:5], 3
	s_add_i32 s4, s2, -10
	v_fma_f64 v[50:51], -v[26:27], v[56:57], v[50:51]
	s_lshl_b32 s17, s4, 3
	v_fma_f64 v[54:55], -v[10:11], v[60:61], v[58:59]
	s_add_i32 s17, s29, s17
	s_waitcnt lgkmcnt(0)
	v_fma_f64 v[48:49], -v[20:21], v[48:49], v[52:53]
	v_mov_b32_e32 v42, s17
	ds_read2_b64 v[42:45], v42 offset1:1
	v_add_co_u32_e32 v52, vcc, s16, v80
	s_add_i32 s16, s30, 0xffffffb8
	v_fma_f64 v[54:55], -v[12:13], v[66:67], v[54:55]
	s_waitcnt lgkmcnt(0)
	v_fma_f64 v[66:67], -v[30:31], v[44:45], v[50:51]
	v_mov_b32_e32 v44, s16
	s_sub_i32 s16, s28, 48
	v_addc_co_u32_e32 v53, vcc, v81, v68, vcc
	v_fma_f64 v[68:69], -v[22:23], v[46:47], v[48:49]
	v_mov_b32_e32 v48, s16
	v_fma_f64 v[60:61], -v[14:15], v[64:65], v[54:55]
	s_sub_i32 s16, s28, 64
	s_add_i32 s29, s19, s25
	global_store_dwordx2 v[52:53], v[10:11], off
	v_mov_b32_e32 v52, s16
	s_add_i32 s16, s29, -8
	v_mov_b32_e32 v56, s16
	ds_read2_b64 v[44:47], v44 offset1:1
	ds_read2_b64 v[48:51], v48 offset1:1
	;; [unrolled: 1-line block ×4, first 2 shown]
	s_sub_i32 s16, s29, 24
	v_mov_b32_e32 v64, s15
	s_waitcnt lgkmcnt(2)
	v_fma_f64 v[50:51], -v[18:19], v[50:51], v[60:61]
	v_mov_b32_e32 v60, s16
	ds_read2_b64 v[60:63], v60 offset1:1
	s_waitcnt lgkmcnt(1)
	v_fma_f64 v[58:59], -v[4:5], v[58:59], v[34:35]
	v_fma_f64 v[46:47], -v[26:27], v[46:47], v[68:69]
	v_add_co_u32_e32 v34, vcc, s18, v80
	v_addc_co_u32_e32 v35, vcc, v81, v70, vcc
	v_fma_f64 v[48:49], -v[20:21], v[48:49], v[50:51]
	s_lshl_b64 s[16:17], s[4:5], 3
	v_fma_f64 v[50:51], -v[8:9], v[56:57], v[58:59]
	s_add_i32 s4, s2, -11
	global_store_dwordx2 v[34:35], v[12:13], off
	v_mul_f64 v[34:35], v[42:43], v[66:67]
	v_fma_f64 v[46:47], -v[30:31], v[44:45], v[46:47]
	s_lshl_b32 s15, s4, 3
	v_fma_f64 v[48:49], -v[22:23], v[54:55], v[48:49]
	s_add_i32 s15, s26, s15
	s_waitcnt lgkmcnt(0)
	v_fma_f64 v[50:51], -v[10:11], v[62:63], v[50:51]
	v_mov_b32_e32 v42, s15
	ds_read2_b64 v[42:45], v42 offset1:1
	v_add_co_u32_e32 v54, vcc, s14, v80
	v_addc_co_u32_e32 v55, vcc, v81, v64, vcc
	v_mov_b32_e32 v66, s13
	v_fma_f64 v[64:65], -v[26:27], v[52:53], v[48:49]
	v_fma_f64 v[52:53], -v[12:13], v[60:61], v[50:51]
	s_sub_i32 s13, s29, 40
	s_add_i32 s26, s3, 0xfffff4a0
	s_waitcnt lgkmcnt(0)
	v_fma_f64 v[62:63], -v[34:35], v[44:45], v[46:47]
	v_mov_b32_e32 v44, s13
	s_sub_i32 s13, s29, 56
	s_add_i32 s18, s26, s25
	global_store_dwordx2 v[54:55], v[14:15], off
	v_mov_b32_e32 v48, s13
	v_mov_b32_e32 v54, s18
	ds_read2_b64 v[44:47], v44 offset1:1
	ds_read2_b64 v[48:51], v48 offset1:1
	ds_read_b64 v[56:57], v54
	s_add_i32 s13, s28, 0xffffffb0
	s_waitcnt lgkmcnt(2)
	v_fma_f64 v[46:47], -v[14:15], v[46:47], v[52:53]
	v_mov_b32_e32 v52, s13
	s_waitcnt lgkmcnt(0)
	v_fma_f64 v[38:39], -v[4:5], v[56:57], v[38:39]
	s_add_i32 s13, s18, -16
	v_mov_b32_e32 v56, s13
	ds_read2_b64 v[56:59], v56 offset1:1
	ds_read2_b64 v[52:55], v52 offset1:1
	s_sub_i32 s13, s18, 32
	v_fma_f64 v[60:61], -v[18:19], v[44:45], v[46:47]
	v_mov_b32_e32 v44, s13
	s_waitcnt lgkmcnt(1)
	v_fma_f64 v[58:59], -v[8:9], v[58:59], v[38:39]
	v_add_co_u32_e32 v38, vcc, s12, v80
	v_addc_co_u32_e32 v39, vcc, v81, v66, vcc
	global_store_dwordx2 v[38:39], v[18:19], off
	v_mul_f64 v[38:39], v[42:43], v[62:63]
	v_fma_f64 v[42:43], -v[20:21], v[50:51], v[60:61]
	v_fma_f64 v[50:51], -v[10:11], v[56:57], v[58:59]
	s_waitcnt lgkmcnt(0)
	v_fma_f64 v[54:55], -v[30:31], v[54:55], v[64:65]
	ds_read2_b64 v[44:47], v44 offset1:1
	s_lshl_b64 s[12:13], s[4:5], 3
	s_add_i32 s4, s2, -12
	s_lshl_b32 s9, s4, 3
	s_add_i32 s9, s27, s9
	v_fma_f64 v[42:43], -v[22:23], v[48:49], v[42:43]
	s_waitcnt lgkmcnt(0)
	v_fma_f64 v[58:59], -v[12:13], v[46:47], v[50:51]
	v_fma_f64 v[70:71], -v[34:35], v[52:53], v[54:55]
	v_mov_b32_e32 v52, s9
	s_add_i32 s9, s29, 0xffffffb8
	v_mov_b32_e32 v46, s9
	ds_read2_b64 v[46:49], v46 offset1:1
	ds_read2_b64 v[50:53], v52 offset1:1
	s_add_i32 s9, s29, 0xffffffa8
	v_mov_b32_e32 v54, s9
	s_sub_i32 s9, s18, 48
	s_waitcnt lgkmcnt(1)
	v_fma_f64 v[48:49], -v[26:27], v[48:49], v[42:43]
	v_fma_f64 v[66:67], -v[14:15], v[44:45], v[58:59]
	v_mov_b32_e32 v42, s9
	s_sub_i32 s9, s18, 64
	s_add_i32 s27, s3, 0xfffff3c0
	v_mov_b32_e32 v58, s9
	s_add_i32 s9, s27, s25
	s_add_i32 s14, s9, -8
	v_mov_b32_e32 v62, s14
	ds_read2_b64 v[54:57], v54 offset1:1
	ds_read2_b64 v[42:45], v42 offset1:1
	;; [unrolled: 1-line block ×4, first 2 shown]
	s_sub_i32 s14, s9, 24
	v_fma_f64 v[46:47], -v[30:31], v[46:47], v[48:49]
	s_waitcnt lgkmcnt(2)
	v_fma_f64 v[44:45], -v[18:19], v[44:45], v[66:67]
	v_mov_b32_e32 v66, s14
	ds_read2_b64 v[66:69], v66 offset1:1
	s_waitcnt lgkmcnt(1)
	v_fma_f64 v[40:41], -v[4:5], v[64:65], v[40:41]
	v_fma_f64 v[48:49], -v[38:39], v[52:53], v[70:71]
	v_add_co_u32_e32 v64, vcc, s8, v80
	v_fma_f64 v[46:47], -v[34:35], v[56:57], v[46:47]
	v_fma_f64 v[42:43], -v[20:21], v[42:43], v[44:45]
	v_addc_co_u32_e32 v65, vcc, v81, v72, vcc
	v_fma_f64 v[44:45], -v[8:9], v[62:63], v[40:41]
	global_store_dwordx2 v[64:65], v[20:21], off
	v_mov_b32_e32 v64, s23
	v_add_co_u32_e32 v40, vcc, s22, v80
	v_fma_f64 v[42:43], -v[22:23], v[60:61], v[42:43]
	s_lshl_b64 s[14:15], s[4:5], 3
	s_add_i32 s4, s2, -13
	s_waitcnt lgkmcnt(0)
	v_fma_f64 v[44:45], -v[10:11], v[68:69], v[44:45]
	v_addc_co_u32_e32 v41, vcc, v81, v64, vcc
	s_lshl_b32 s8, s4, 3
	global_store_dwordx2 v[40:41], v[22:23], off
	v_mul_f64 v[40:41], v[50:51], v[48:49]
	s_add_i32 s8, s19, s8
	v_fma_f64 v[62:63], -v[38:39], v[54:55], v[46:47]
	v_fma_f64 v[50:51], -v[12:13], v[66:67], v[44:45]
	v_mov_b32_e32 v54, s8
	s_sub_i32 s8, s9, 40
	v_fma_f64 v[64:65], -v[26:27], v[58:59], v[42:43]
	v_mov_b32_e32 v42, s8
	ds_read2_b64 v[42:45], v42 offset1:1
	s_sub_i32 s19, s9, 56
	v_mov_b32_e32 v46, s19
	ds_read2_b64 v[46:49], v46 offset1:1
	s_add_i32 s8, s18, 0xffffffb0
	s_waitcnt lgkmcnt(1)
	v_fma_f64 v[44:45], -v[14:15], v[44:45], v[50:51]
	v_mov_b32_e32 v50, s8
	ds_read2_b64 v[50:53], v50 offset1:1
	ds_read2_b64 v[54:57], v54 offset1:1
	s_add_i32 s23, s3, 0xfffff2e0
	s_add_i32 s28, s23, s25
	;; [unrolled: 1-line block ×3, first 2 shown]
	s_waitcnt lgkmcnt(1)
	v_fma_f64 v[52:53], -v[30:31], v[52:53], v[64:65]
	v_mov_b32_e32 v58, s8
	v_fma_f64 v[64:65], -v[18:19], v[42:43], v[44:45]
	v_mov_b32_e32 v42, s28
	ds_read_b64 v[42:43], v42
	s_add_i32 s8, s28, -16
	s_waitcnt lgkmcnt(1)
	v_fma_f64 v[56:57], -v[40:41], v[56:57], v[62:63]
	ds_read2_b64 v[58:61], v58 offset1:1
	v_fma_f64 v[52:53], -v[34:35], v[50:51], v[52:53]
	s_waitcnt lgkmcnt(1)
	v_fma_f64 v[36:37], -v[4:5], v[42:43], v[36:37]
	v_mov_b32_e32 v42, s8
	ds_read2_b64 v[42:45], v42 offset1:1
	s_sub_i32 s8, s28, 32
	v_fma_f64 v[62:63], -v[20:21], v[48:49], v[64:65]
	v_mov_b32_e32 v48, s8
	ds_read2_b64 v[48:51], v48 offset1:1
	v_mov_b32_e32 v70, s21
	s_waitcnt lgkmcnt(1)
	v_fma_f64 v[44:45], -v[8:9], v[44:45], v[36:37]
	v_add_co_u32_e32 v66, vcc, s20, v80
	v_mul_f64 v[36:37], v[54:55], v[56:57]
	s_add_i32 s21, s3, 0xfffff200
	v_addc_co_u32_e32 v67, vcc, v81, v70, vcc
	v_mov_b32_e32 v70, s7
	v_fma_f64 v[56:57], -v[10:11], v[42:43], v[44:45]
	s_add_i32 s7, s9, 0xffffffb8
	s_add_i32 s20, s21, s25
	v_fma_f64 v[64:65], -v[38:39], v[60:61], v[52:53]
	v_mov_b32_e32 v52, s7
	s_add_i32 s8, s20, -8
	ds_read2_b64 v[42:45], v52 offset1:1
	v_mov_b32_e32 v52, s8
	ds_read2_b64 v[52:55], v52 offset1:1
	s_sub_i32 s8, s20, 24
	s_waitcnt lgkmcnt(2)
	v_fma_f64 v[50:51], -v[12:13], v[50:51], v[56:57]
	v_mov_b32_e32 v56, s8
	v_fma_f64 v[46:47], -v[22:23], v[46:47], v[62:63]
	ds_read2_b64 v[60:63], v56 offset1:1
	s_waitcnt lgkmcnt(1)
	v_fma_f64 v[32:33], -v[4:5], v[54:55], v[32:33]
	s_add_i32 s7, s9, 0xffffffa8
	v_mov_b32_e32 v54, s7
	s_sub_i32 s7, s28, 48
	v_fma_f64 v[68:69], -v[14:15], v[48:49], v[50:51]
	global_store_dwordx2 v[66:67], v[26:27], off
	v_fma_f64 v[66:67], -v[26:27], v[44:45], v[46:47]
	v_mov_b32_e32 v44, s7
	v_fma_f64 v[32:33], -v[8:9], v[52:53], v[32:33]
	ds_read2_b64 v[44:47], v44 offset1:1
	s_sub_i32 s7, s28, 64
	v_mov_b32_e32 v48, s7
	ds_read2_b64 v[48:51], v48 offset1:1
	ds_read2_b64 v[54:57], v54 offset1:1
	s_waitcnt lgkmcnt(2)
	v_fma_f64 v[46:47], -v[18:19], v[46:47], v[68:69]
	v_fma_f64 v[52:53], -v[30:31], v[42:43], v[66:67]
	;; [unrolled: 1-line block ×3, first 2 shown]
	s_lshl_b64 s[18:19], s[4:5], 3
	s_add_i32 s4, s2, -14
	s_lshl_b32 s7, s4, 3
	s_add_i32 s7, s26, s7
	v_mov_b32_e32 v42, s7
	v_fma_f64 v[46:47], -v[20:21], v[44:45], v[46:47]
	s_sub_i32 s7, s20, 40
	v_fma_f64 v[32:33], -v[12:13], v[60:61], v[32:33]
	v_fma_f64 v[62:63], -v[40:41], v[58:59], v[64:65]
	s_waitcnt lgkmcnt(0)
	v_fma_f64 v[64:65], -v[34:35], v[56:57], v[52:53]
	v_mov_b32_e32 v52, s7
	ds_read2_b64 v[56:59], v52 offset1:1
	ds_read2_b64 v[42:45], v42 offset1:1
	v_fma_f64 v[60:61], -v[22:23], v[50:51], v[46:47]
	s_sub_i32 s7, s20, 56
	v_mov_b32_e32 v46, s7
	s_waitcnt lgkmcnt(1)
	v_fma_f64 v[32:33], -v[14:15], v[58:59], v[32:33]
	s_add_i32 s7, s9, 0xffffff98
	s_waitcnt lgkmcnt(0)
	v_fma_f64 v[58:59], -v[36:37], v[44:45], v[62:63]
	v_mov_b32_e32 v44, s7
	s_add_i32 s7, s28, 0xffffffb0
	v_fma_f64 v[60:61], -v[26:27], v[48:49], v[60:61]
	v_mov_b32_e32 v48, s7
	ds_read2_b64 v[50:53], v46 offset1:1
	v_fma_f64 v[32:33], -v[18:19], v[56:57], v[32:33]
	v_fma_f64 v[62:63], -v[38:39], v[54:55], v[64:65]
	ds_read2_b64 v[54:57], v48 offset1:1
	ds_read2_b64 v[44:47], v44 offset1:1
	s_add_i32 s22, s20, 0xffffffb8
	s_add_i32 s7, s28, 0xffffffa0
	s_lshl_b64 s[8:9], s[4:5], 3
	s_waitcnt lgkmcnt(1)
	v_fma_f64 v[56:57], -v[30:31], v[56:57], v[60:61]
	v_fma_f64 v[52:53], -v[20:21], v[52:53], v[32:33]
	s_waitcnt lgkmcnt(0)
	v_fma_f64 v[62:63], -v[40:41], v[46:47], v[62:63]
	v_mul_f64 v[32:33], v[42:43], v[58:59]
	v_mov_b32_e32 v42, s22
	s_add_i32 s22, s20, 0xffffffa8
	v_mov_b32_e32 v46, s7
	ds_read2_b64 v[46:49], v46 offset1:1
	v_fma_f64 v[58:59], -v[34:35], v[54:55], v[56:57]
	v_fma_f64 v[54:55], -v[22:23], v[50:51], v[52:53]
	v_mov_b32_e32 v50, s22
	s_add_i32 s22, s3, 0xfffff120
	s_add_i32 s29, s22, s25
	v_mov_b32_e32 v56, s29
	v_fma_f64 v[62:63], -v[36:37], v[44:45], v[62:63]
	ds_read2_b64 v[42:45], v42 offset1:1
	ds_read2_b64 v[50:53], v50 offset1:1
	ds_read_b64 v[60:61], v56
	s_add_i32 s4, s2, -15
	s_lshl_b32 s7, s4, 3
	s_add_i32 s7, s27, s7
	s_waitcnt lgkmcnt(2)
	v_fma_f64 v[44:45], -v[26:27], v[44:45], v[54:55]
	s_waitcnt lgkmcnt(0)
	v_fma_f64 v[28:29], -v[4:5], v[60:61], v[28:29]
	v_mov_b32_e32 v54, s7
	s_add_i32 s7, s29, -16
	v_fma_f64 v[48:49], -v[38:39], v[48:49], v[58:59]
	v_mov_b32_e32 v58, s7
	ds_read2_b64 v[58:61], v58 offset1:1
	s_sub_i32 s7, s29, 32
	v_fma_f64 v[64:65], -v[30:31], v[42:43], v[44:45]
	v_mov_b32_e32 v42, s7
	ds_read2_b64 v[42:45], v42 offset1:1
	s_waitcnt lgkmcnt(1)
	v_fma_f64 v[28:29], -v[8:9], v[60:61], v[28:29]
	v_add_co_u32_e32 v60, vcc, s6, v80
	v_addc_co_u32_e32 v61, vcc, v81, v70, vcc
	ds_read2_b64 v[54:57], v54 offset1:1
	global_store_dwordx2 v[60:61], v[30:31], off
	v_fma_f64 v[60:61], -v[40:41], v[46:47], v[48:49]
	v_fma_f64 v[58:59], -v[10:11], v[58:59], v[28:29]
	s_add_i32 s6, s28, 0xffffff90
	v_mov_b32_e32 v28, s6
	v_fma_f64 v[52:53], -v[34:35], v[52:53], v[64:65]
	ds_read2_b64 v[46:49], v28 offset1:1
	s_waitcnt lgkmcnt(1)
	v_fma_f64 v[56:57], -v[32:33], v[56:57], v[62:63]
	v_mov_b32_e32 v70, s17
	s_add_i32 s17, s20, 0xffffff98
	v_fma_f64 v[44:45], -v[12:13], v[44:45], v[58:59]
	s_waitcnt lgkmcnt(0)
	v_fma_f64 v[68:69], -v[36:37], v[48:49], v[60:61]
	v_mov_b32_e32 v48, s17
	s_add_i32 s17, s20, 0xffffff88
	v_fma_f64 v[64:65], -v[38:39], v[50:51], v[52:53]
	v_mov_b32_e32 v52, s17
	s_sub_i32 s17, s29, 48
	v_mul_f64 v[28:29], v[54:55], v[56:57]
	v_fma_f64 v[60:61], -v[14:15], v[42:43], v[44:45]
	v_mov_b32_e32 v42, s17
	ds_read2_b64 v[42:45], v42 offset1:1
	ds_read2_b64 v[48:51], v48 offset1:1
	;; [unrolled: 1-line block ×3, first 2 shown]
	s_add_i32 s26, s3, 0xfffff040
	s_sub_i32 s17, s29, 64
	s_add_i32 s28, s26, s25
	v_mov_b32_e32 v56, s17
	s_add_i32 s17, s28, -8
	s_waitcnt lgkmcnt(2)
	v_fma_f64 v[44:45], -v[18:19], v[44:45], v[60:61]
	v_mov_b32_e32 v60, s17
	ds_read2_b64 v[60:63], v60 offset1:1
	s_sub_i32 s17, s28, 24
	s_waitcnt lgkmcnt(2)
	v_fma_f64 v[50:51], -v[40:41], v[50:51], v[64:65]
	v_mov_b32_e32 v64, s17
	ds_read2_b64 v[64:67], v64 offset1:1
	s_waitcnt lgkmcnt(1)
	v_fma_f64 v[24:25], -v[4:5], v[62:63], v[24:25]
	s_lshl_b64 s[6:7], s[4:5], 3
	s_add_i32 s4, s2, -16
	v_fma_f64 v[46:47], -v[32:33], v[46:47], v[68:69]
	s_lshl_b32 s17, s4, 3
	v_fma_f64 v[62:63], -v[20:21], v[42:43], v[44:45]
	s_add_i32 s17, s23, s17
	v_mov_b32_e32 v42, s17
	v_fma_f64 v[24:25], -v[8:9], v[60:61], v[24:25]
	ds_read2_b64 v[42:45], v42 offset1:1
	ds_read2_b64 v[56:59], v56 offset1:1
	v_mov_b32_e32 v72, s13
	s_add_i32 s13, s29, 0xffffffb0
	v_fma_f64 v[48:49], -v[36:37], v[48:49], v[50:51]
	s_add_i32 s20, s3, 0xffffef60
	s_add_i32 s27, s20, s25
	s_waitcnt lgkmcnt(2)
	v_fma_f64 v[24:25], -v[10:11], v[66:67], v[24:25]
	s_waitcnt lgkmcnt(1)
	v_fma_f64 v[66:67], -v[28:29], v[44:45], v[46:47]
	v_mov_b32_e32 v44, s13
	ds_read2_b64 v[44:47], v44 offset1:1
	s_waitcnt lgkmcnt(1)
	v_fma_f64 v[50:51], -v[22:23], v[58:59], v[62:63]
	v_add_co_u32_e32 v58, vcc, s16, v80
	s_sub_i32 s16, s28, 40
	v_fma_f64 v[24:25], -v[12:13], v[64:65], v[24:25]
	v_addc_co_u32_e32 v59, vcc, v81, v70, vcc
	v_fma_f64 v[68:69], -v[32:33], v[54:55], v[48:49]
	v_mov_b32_e32 v48, s16
	s_sub_i32 s16, s28, 56
	global_store_dwordx2 v[58:59], v[34:35], off
	v_fma_f64 v[62:63], -v[26:27], v[56:57], v[50:51]
	v_mov_b32_e32 v54, s16
	v_mov_b32_e32 v58, s27
	ds_read2_b64 v[48:51], v48 offset1:1
	ds_read2_b64 v[54:57], v54 offset1:1
	ds_read_b64 v[64:65], v58
	s_add_i32 s13, s29, 0xffffffa0
	s_lshl_b64 s[16:17], s[4:5], 3
	s_waitcnt lgkmcnt(2)
	v_fma_f64 v[24:25], -v[14:15], v[50:51], v[24:25]
	v_mov_b32_e32 v50, s13
	s_waitcnt lgkmcnt(0)
	v_fma_f64 v[16:17], -v[4:5], v[64:65], v[16:17]
	s_add_i32 s13, s27, -16
	ds_read2_b64 v[58:61], v50 offset1:1
	v_fma_f64 v[50:51], -v[30:31], v[46:47], v[62:63]
	v_mov_b32_e32 v46, s13
	ds_read2_b64 v[62:65], v46 offset1:1
	v_fma_f64 v[24:25], -v[18:19], v[48:49], v[24:25]
	s_sub_i32 s13, s27, 32
	v_mov_b32_e32 v46, s13
	ds_read2_b64 v[46:49], v46 offset1:1
	s_waitcnt lgkmcnt(1)
	v_fma_f64 v[64:65], -v[8:9], v[64:65], v[16:17]
	v_mul_f64 v[16:17], v[42:43], v[66:67]
	v_fma_f64 v[42:43], -v[34:35], v[44:45], v[50:51]
	s_sub_i32 s4, s2, 17
	v_fma_f64 v[24:25], -v[20:21], v[56:57], v[24:25]
	s_lshl_b32 s13, s4, 3
	s_add_i32 s13, s21, s13
	v_fma_f64 v[68:69], -v[28:29], v[52:53], v[68:69]
	v_fma_f64 v[50:51], -v[10:11], v[62:63], v[64:65]
	v_mov_b32_e32 v62, s13
	s_add_i32 s13, s28, 0xffffffb8
	v_fma_f64 v[52:53], -v[38:39], v[60:61], v[42:43]
	v_fma_f64 v[24:25], -v[22:23], v[54:55], v[24:25]
	v_mov_b32_e32 v42, s13
	ds_read2_b64 v[42:45], v42 offset1:1
	s_add_i32 s13, s28, 0xffffffa8
	s_waitcnt lgkmcnt(1)
	v_fma_f64 v[54:55], -v[12:13], v[48:49], v[50:51]
	v_mov_b32_e32 v48, s13
	s_add_i32 s13, s29, 0xffffff90
	v_fma_f64 v[70:71], -v[40:41], v[58:59], v[52:53]
	s_waitcnt lgkmcnt(0)
	v_fma_f64 v[24:25], -v[26:27], v[44:45], v[24:25]
	v_mov_b32_e32 v58, s13
	s_sub_i32 s13, s27, 48
	v_mov_b32_e32 v44, s13
	v_fma_f64 v[56:57], -v[14:15], v[46:47], v[54:55]
	ds_read2_b64 v[44:47], v44 offset1:1
	s_sub_i32 s13, s27, 64
	ds_read2_b64 v[48:51], v48 offset1:1
	v_fma_f64 v[24:25], -v[30:31], v[42:43], v[24:25]
	v_mov_b32_e32 v42, s13
	ds_read2_b64 v[52:55], v42 offset1:1
	s_add_i32 s13, s29, 0xffffff80
	s_waitcnt lgkmcnt(2)
	v_fma_f64 v[42:43], -v[18:19], v[46:47], v[56:57]
	ds_read2_b64 v[56:59], v58 offset1:1
	ds_read2_b64 v[60:63], v62 offset1:1
	v_mov_b32_e32 v46, s13
	ds_read2_b64 v[64:67], v46 offset1:1
	s_waitcnt lgkmcnt(4)
	v_fma_f64 v[24:25], -v[34:35], v[50:51], v[24:25]
	s_waitcnt lgkmcnt(2)
	v_fma_f64 v[46:47], -v[36:37], v[58:59], v[70:71]
	s_waitcnt lgkmcnt(1)
	v_fma_f64 v[58:59], -v[16:17], v[62:63], v[68:69]
	s_add_i32 s21, s3, 0xffffee80
	v_fma_f64 v[42:43], -v[20:21], v[44:45], v[42:43]
	v_add_co_u32_e32 v44, vcc, s12, v80
	s_add_i32 s12, s28, 0xffffff98
	v_fma_f64 v[24:25], -v[38:39], v[48:49], v[24:25]
	v_fma_f64 v[46:47], -v[32:33], v[56:57], v[46:47]
	v_addc_co_u32_e32 v45, vcc, v81, v72, vcc
	v_fma_f64 v[50:51], -v[22:23], v[54:55], v[42:43]
	v_mov_b32_e32 v42, s12
	global_store_dwordx2 v[44:45], v[38:39], off
	ds_read2_b64 v[42:45], v42 offset1:1
	s_add_i32 s12, s28, 0xffffff88
	s_waitcnt lgkmcnt(1)
	v_fma_f64 v[62:63], -v[28:29], v[66:67], v[46:47]
	v_mov_b32_e32 v46, s12
	s_add_i32 s12, s27, 0xffffffb0
	s_waitcnt lgkmcnt(0)
	v_fma_f64 v[24:25], -v[40:41], v[44:45], v[24:25]
	v_fma_f64 v[44:45], -v[26:27], v[52:53], v[50:51]
	v_mov_b32_e32 v50, s12
	s_add_i32 s12, s27, 0xffffffa0
	s_add_i32 s23, s21, s25
	v_mov_b32_e32 v54, s12
	s_add_i32 s12, s23, -8
	v_mov_b32_e32 v66, s12
	ds_read2_b64 v[46:49], v46 offset1:1
	ds_read2_b64 v[50:53], v50 offset1:1
	;; [unrolled: 1-line block ×4, first 2 shown]
	s_sub_i32 s12, s23, 24
	v_fma_f64 v[24:25], -v[36:37], v[42:43], v[24:25]
	s_waitcnt lgkmcnt(2)
	v_fma_f64 v[44:45], -v[30:31], v[52:53], v[44:45]
	v_mov_b32_e32 v52, s12
	ds_read2_b64 v[70:73], v52 offset1:1
	s_waitcnt lgkmcnt(1)
	v_fma_f64 v[6:7], -v[4:5], v[68:69], v[6:7]
	s_lshl_b64 s[12:13], s[4:5], 3
	s_sub_i32 s4, s2, 18
	v_add_co_u32_e32 v52, vcc, s14, v80
	v_fma_f64 v[50:51], -v[34:35], v[50:51], v[44:45]
	v_mul_f64 v[68:69], v[60:61], v[58:59]
	v_fma_f64 v[58:59], -v[16:17], v[64:65], v[62:63]
	v_fma_f64 v[6:7], -v[8:9], v[66:67], v[6:7]
	s_lshl_b32 s14, s4, 3
	s_add_i32 s14, s22, s14
	v_fma_f64 v[24:25], -v[32:33], v[48:49], v[24:25]
	v_mov_b32_e32 v42, s14
	ds_read2_b64 v[42:45], v42 offset1:1
	v_fma_f64 v[48:49], -v[38:39], v[56:57], v[50:51]
	s_add_i32 s14, s28, 0xffffff78
	s_waitcnt lgkmcnt(1)
	v_fma_f64 v[6:7], -v[10:11], v[72:73], v[6:7]
	v_mov_b32_e32 v56, s14
	s_sub_i32 s14, s23, 40
	s_waitcnt lgkmcnt(0)
	v_fma_f64 v[64:65], -v[68:69], v[44:45], v[58:59]
	v_mov_b32_e32 v44, s14
	v_fma_f64 v[24:25], -v[28:29], v[46:47], v[24:25]
	ds_read2_b64 v[44:47], v44 offset1:1
	v_mov_b32_e32 v74, s15
	v_fma_f64 v[6:7], -v[12:13], v[70:71], v[6:7]
	s_sub_i32 s15, s23, 56
	v_fma_f64 v[66:67], -v[40:41], v[54:55], v[48:49]
	v_mov_b32_e32 v48, s15
	ds_read2_b64 v[48:51], v48 offset1:1
	v_addc_co_u32_e32 v53, vcc, v81, v74, vcc
	s_add_i32 s14, s27, 0xffffff90
	s_waitcnt lgkmcnt(1)
	v_fma_f64 v[6:7], -v[14:15], v[46:47], v[6:7]
	global_store_dwordx2 v[52:53], v[40:41], off
	v_mov_b32_e32 v46, s14
	ds_read2_b64 v[52:55], v46 offset1:1
	ds_read2_b64 v[56:59], v56 offset1:1
	s_add_i32 s14, s27, 0xffffff80
	v_mov_b32_e32 v46, s14
	ds_read2_b64 v[60:63], v46 offset1:1
	s_waitcnt lgkmcnt(2)
	v_fma_f64 v[46:47], -v[36:37], v[54:55], v[66:67]
	v_fma_f64 v[6:7], -v[18:19], v[44:45], v[6:7]
	v_mov_b32_e32 v72, s19
	v_add_co_u32_e32 v44, vcc, s18, v80
	s_add_i32 s18, s23, 0xffffffb8
	v_addc_co_u32_e32 v45, vcc, v81, v72, vcc
	v_mul_f64 v[66:67], v[42:43], v[64:65]
	v_fma_f64 v[6:7], -v[20:21], v[50:51], v[6:7]
	v_mov_b32_e32 v42, s18
	s_add_i32 s18, s3, 0xffffeda0
	global_store_dwordx2 v[44:45], v[36:37], off
	v_fma_f64 v[44:45], -v[32:33], v[52:53], v[46:47]
	s_add_i32 s19, s18, s25
	v_mov_b32_e32 v43, s19
	ds_read_b64 v[50:51], v43
	v_fma_f64 v[6:7], -v[22:23], v[48:49], v[6:7]
	s_add_i32 s22, s23, 0xffffffa8
	s_waitcnt lgkmcnt(2)
	v_fma_f64 v[24:25], -v[16:17], v[58:59], v[24:25]
	v_mov_b32_e32 v46, s22
	s_waitcnt lgkmcnt(0)
	v_fma_f64 v[2:3], -v[4:5], v[50:51], v[2:3]
	v_fma_f64 v[58:59], -v[28:29], v[62:63], v[44:45]
	ds_read2_b64 v[42:45], v42 offset1:1
	ds_read2_b64 v[46:49], v46 offset1:1
	s_add_i32 s22, s19, -16
	v_mov_b32_e32 v50, s22
	ds_read2_b64 v[50:53], v50 offset1:1
	s_waitcnt lgkmcnt(2)
	v_fma_f64 v[6:7], -v[26:27], v[44:45], v[6:7]
	s_sub_i32 s22, s19, 32
	v_mov_b32_e32 v44, s22
	v_fma_f64 v[24:25], -v[68:69], v[56:57], v[24:25]
	ds_read2_b64 v[54:57], v44 offset1:1
	s_waitcnt lgkmcnt(1)
	v_fma_f64 v[2:3], -v[8:9], v[52:53], v[2:3]
	s_lshl_b64 s[14:15], s[4:5], 3
	s_sub_i32 s4, s2, 19
	v_mov_b32_e32 v72, s9
	s_lshl_b32 s9, s4, 3
	s_add_i32 s9, s26, s9
	v_fma_f64 v[6:7], -v[30:31], v[42:43], v[6:7]
	s_addk_i32 s3, 0xecc0
	v_mov_b32_e32 v44, s9
	s_add_i32 s9, s27, 0xffffff70
	s_add_i32 s22, s3, s25
	ds_read2_b64 v[62:65], v44 offset1:1
	v_mov_b32_e32 v44, s9
	s_add_i32 s9, s22, -8
	v_fma_f64 v[2:3], -v[10:11], v[50:51], v[2:3]
	v_mov_b32_e32 v50, s9
	ds_read2_b64 v[50:53], v50 offset1:1
	s_sub_i32 s9, s22, 24
	v_fma_f64 v[6:7], -v[34:35], v[48:49], v[6:7]
	v_mov_b32_e32 v48, s9
	v_fma_f64 v[70:71], -v[16:17], v[60:61], v[58:59]
	ds_read2_b64 v[58:61], v48 offset1:1
	s_waitcnt lgkmcnt(1)
	v_fma_f64 v[0:1], -v[4:5], v[52:53], v[0:1]
	v_add_co_u32_e32 v4, vcc, s8, v80
	v_fma_f64 v[2:3], -v[12:13], v[56:57], v[2:3]
	v_addc_co_u32_e32 v5, vcc, v81, v72, vcc
	global_store_dwordx2 v[4:5], v[32:33], off
	ds_read2_b64 v[42:45], v44 offset1:1
	v_fma_f64 v[4:5], -v[8:9], v[50:51], v[0:1]
	s_sub_i32 s9, s19, 48
	v_mov_b32_e32 v0, s9
	v_fma_f64 v[8:9], -v[14:15], v[54:55], v[2:3]
	s_waitcnt lgkmcnt(0)
	v_fma_f64 v[48:49], -v[68:69], v[44:45], v[70:71]
	ds_read2_b64 v[0:3], v0 offset1:1
	s_sub_i32 s9, s19, 64
	v_fma_f64 v[50:51], -v[38:39], v[46:47], v[6:7]
	v_fma_f64 v[44:45], -v[10:11], v[60:61], v[4:5]
	v_mov_b32_e32 v4, s9
	ds_read2_b64 v[4:7], v4 offset1:1
	s_waitcnt lgkmcnt(1)
	v_fma_f64 v[2:3], -v[18:19], v[2:3], v[8:9]
	s_sub_i32 s9, s22, 40
	s_add_i32 s8, s23, 0xffffff98
	v_mov_b32_e32 v8, s8
	ds_read2_b64 v[8:11], v8 offset1:1
	v_fma_f64 v[12:13], -v[12:13], v[58:59], v[44:45]
	v_mov_b32_e32 v44, s9
	ds_read2_b64 v[44:47], v44 offset1:1
	v_fma_f64 v[52:53], -v[20:21], v[0:1], v[2:3]
	s_sub_i32 s9, s22, 56
	v_mov_b32_e32 v0, s9
	ds_read2_b64 v[0:3], v0 offset1:1
	s_add_i32 s8, s23, 0xffffff88
	s_waitcnt lgkmcnt(1)
	v_fma_f64 v[46:47], -v[14:15], v[46:47], v[12:13]
	s_add_i32 s26, s19, 0xffffffb0
	v_mov_b32_e32 v12, s8
	v_fma_f64 v[6:7], -v[22:23], v[6:7], v[52:53]
	ds_read2_b64 v[12:15], v12 offset1:1
	v_fma_f64 v[10:11], -v[40:41], v[10:11], v[50:51]
	s_lshl_b64 s[8:9], s[4:5], 3
	s_sub_i32 s4, s2, 20
	v_fma_f64 v[18:19], -v[18:19], v[44:45], v[46:47]
	s_lshl_b32 s25, s4, 3
	s_add_i32 s20, s20, s25
	v_fma_f64 v[46:47], -v[26:27], v[4:5], v[6:7]
	v_mov_b32_e32 v4, s26
	ds_read2_b64 v[4:7], v4 offset1:1
	v_fma_f64 v[44:45], -v[36:37], v[8:9], v[10:11]
	s_add_i32 s26, s19, 0xffffffa0
	s_waitcnt lgkmcnt(2)
	v_fma_f64 v[2:3], -v[20:21], v[2:3], v[18:19]
	v_mov_b32_e32 v20, s20
	s_add_i32 s20, s22, 0xffffffb8
	s_waitcnt lgkmcnt(0)
	v_fma_f64 v[6:7], -v[30:31], v[6:7], v[46:47]
	v_mov_b32_e32 v8, s26
	ds_read2_b64 v[8:11], v8 offset1:1
	v_fma_f64 v[14:15], -v[32:33], v[14:15], v[44:45]
	v_fma_f64 v[24:25], -v[66:67], v[64:65], v[24:25]
	;; [unrolled: 1-line block ×3, first 2 shown]
	v_mov_b32_e32 v0, s20
	ds_read2_b64 v[0:3], v0 offset1:1
	v_fma_f64 v[22:23], -v[34:35], v[4:5], v[6:7]
	s_add_i32 s20, s22, 0xffffffa8
	v_mov_b32_e32 v4, s20
	v_fma_f64 v[14:15], -v[28:29], v[12:13], v[14:15]
	ds_read2_b64 v[4:7], v4 offset1:1
	s_waitcnt lgkmcnt(1)
	v_fma_f64 v[2:3], -v[26:27], v[2:3], v[18:19]
	s_add_i32 s20, s23, 0xffffff78
	v_mul_f64 v[24:25], v[62:63], v[24:25]
	v_fma_f64 v[22:23], -v[38:39], v[10:11], v[22:23]
	v_mov_b32_e32 v10, s20
	ds_read2_b64 v[10:13], v10 offset1:1
	s_add_i32 s20, s23, 0xffffff68
	v_fma_f64 v[42:43], -v[66:67], v[42:43], v[48:49]
	v_fma_f64 v[26:27], -v[30:31], v[0:1], v[2:3]
	v_mov_b32_e32 v0, s20
	s_add_i32 s20, s19, 0xffffff90
	v_fma_f64 v[22:23], -v[40:41], v[8:9], v[22:23]
	v_mov_b32_e32 v8, s20
	s_waitcnt lgkmcnt(0)
	v_fma_f64 v[30:31], -v[16:17], v[12:13], v[14:15]
	ds_read2_b64 v[12:15], v8 offset1:1
	ds_read2_b64 v[18:21], v20 offset1:1
	v_fma_f64 v[26:27], -v[34:35], v[6:7], v[26:27]
	v_mov_b32_e32 v44, s7
	s_add_i32 s7, s22, 0xffffff98
	s_waitcnt lgkmcnt(1)
	v_fma_f64 v[14:15], -v[36:37], v[14:15], v[22:23]
	s_waitcnt lgkmcnt(0)
	v_fma_f64 v[34:35], -v[24:25], v[20:21], v[42:43]
	v_fma_f64 v[30:31], -v[68:69], v[10:11], v[30:31]
	v_mov_b32_e32 v10, s7
	ds_read2_b64 v[20:23], v10 offset1:1
	v_fma_f64 v[4:5], -v[38:39], v[4:5], v[26:27]
	s_add_i32 s20, s19, 0xffffff80
	v_mov_b32_e32 v6, s20
	v_fma_f64 v[14:15], -v[32:33], v[12:13], v[14:15]
	ds_read2_b64 v[6:9], v6 offset1:1
	ds_read2_b64 v[0:3], v0 offset1:1
	s_add_i32 s7, s22, 0xffffff88
	v_mov_b32_e32 v10, s7
	s_waitcnt lgkmcnt(2)
	v_fma_f64 v[4:5], -v[40:41], v[22:23], v[4:5]
	ds_read2_b64 v[10:13], v10 offset1:1
	s_waitcnt lgkmcnt(1)
	v_fma_f64 v[2:3], -v[66:67], v[2:3], v[30:31]
	v_fma_f64 v[8:9], -v[28:29], v[8:9], v[14:15]
	v_add_co_u32_e32 v22, vcc, s6, v80
	v_addc_co_u32_e32 v23, vcc, v81, v44, vcc
	v_fma_f64 v[4:5], -v[36:37], v[20:21], v[4:5]
	global_store_dwordx2 v[22:23], v[28:29], off
	s_add_i32 s20, s19, 0xffffff70
	v_fma_f64 v[8:9], -v[16:17], v[6:7], v[8:9]
	v_fma_f64 v[20:21], -v[24:25], v[0:1], v[2:3]
	v_mov_b32_e32 v0, s20
	ds_read2_b64 v[0:3], v0 offset1:1
	s_addk_i32 s19, 0xff60
	s_waitcnt lgkmcnt(1)
	v_fma_f64 v[22:23], -v[32:33], v[12:13], v[4:5]
	s_lshl_b64 s[6:7], s[4:5], 3
	s_sub_i32 s4, s2, 21
	v_mov_b32_e32 v4, s19
	v_mov_b32_e32 v30, s17
	s_lshl_b32 s17, s4, 3
	ds_read2_b64 v[4:7], v4 offset1:1
	s_waitcnt lgkmcnt(1)
	v_fma_f64 v[2:3], -v[68:69], v[2:3], v[8:9]
	s_add_i32 s17, s21, s17
	v_fma_f64 v[22:23], -v[28:29], v[10:11], v[22:23]
	v_mov_b32_e32 v8, s17
	s_add_i32 s17, s22, 0xffffff78
	ds_read2_b64 v[12:15], v8 offset1:1
	v_mov_b32_e32 v8, s17
	ds_read2_b64 v[8:11], v8 offset1:1
	s_add_i32 s17, s22, 0xffffff68
	v_fma_f64 v[26:27], -v[66:67], v[0:1], v[2:3]
	v_mov_b32_e32 v0, s17
	ds_read2_b64 v[0:3], v0 offset1:1
	s_waitcnt lgkmcnt(1)
	v_fma_f64 v[10:11], -v[16:17], v[10:11], v[22:23]
	v_mul_f64 v[18:19], v[18:19], v[34:35]
	v_add_co_u32_e32 v22, vcc, s16, v80
	v_addc_co_u32_e32 v23, vcc, v81, v30, vcc
	v_fma_f64 v[6:7], -v[24:25], v[6:7], v[26:27]
	global_store_dwordx2 v[22:23], v[16:17], off
	v_fma_f64 v[8:9], -v[68:69], v[8:9], v[10:11]
	v_fma_f64 v[14:15], -v[18:19], v[14:15], v[20:21]
	v_mov_b32_e32 v16, s13
	v_add_co_u32_e32 v10, vcc, s12, v80
	s_lshl_b64 s[12:13], s[4:5], 3
	s_sub_i32 s4, s2, 22
	v_addc_co_u32_e32 v11, vcc, v81, v16, vcc
	s_waitcnt lgkmcnt(0)
	v_fma_f64 v[8:9], -v[66:67], v[2:3], v[8:9]
	v_mov_b32_e32 v16, s15
	s_lshl_b32 s15, s4, 3
	global_store_dwordx2 v[10:11], v[68:69], off
	v_mul_f64 v[10:11], v[12:13], v[14:15]
	v_fma_f64 v[12:13], -v[18:19], v[4:5], v[6:7]
	s_add_i32 s15, s18, s15
	v_mov_b32_e32 v2, s15
	v_fma_f64 v[0:1], -v[24:25], v[0:1], v[8:9]
	s_add_i32 s15, s22, 0xffffff58
	v_mov_b32_e32 v6, s15
	ds_read2_b64 v[2:5], v2 offset1:1
	ds_read2_b64 v[6:9], v6 offset1:1
	v_add_co_u32_e32 v14, vcc, s14, v80
	v_addc_co_u32_e32 v15, vcc, v81, v16, vcc
	s_waitcnt lgkmcnt(1)
	v_fma_f64 v[4:5], -v[10:11], v[4:5], v[12:13]
	s_waitcnt lgkmcnt(0)
	v_fma_f64 v[0:1], -v[18:19], v[8:9], v[0:1]
	global_store_dwordx2 v[14:15], v[66:67], off
	v_mov_b32_e32 v14, s9
	v_add_co_u32_e32 v8, vcc, s8, v80
	v_addc_co_u32_e32 v9, vcc, v81, v14, vcc
	s_lshl_b64 s[8:9], s[4:5], 3
	s_sub_i32 s4, s2, 23
	global_store_dwordx2 v[8:9], v[24:25], off
	v_mov_b32_e32 v9, s7
	v_mul_f64 v[4:5], v[2:3], v[4:5]
	v_fma_f64 v[6:7], -v[10:11], v[6:7], v[0:1]
	s_lshl_b32 s7, s4, 3
	s_add_i32 s3, s3, s7
	v_mov_b32_e32 v0, s3
	ds_read2_b64 v[0:3], v0 offset1:1
	v_add_co_u32_e32 v8, vcc, s6, v80
	v_addc_co_u32_e32 v9, vcc, v81, v9, vcc
	s_waitcnt lgkmcnt(0)
	v_fma_f64 v[2:3], -v[4:5], v[2:3], v[6:7]
	global_store_dwordx2 v[8:9], v[18:19], off
	v_mov_b32_e32 v8, s13
	v_add_co_u32_e32 v6, vcc, s12, v80
	v_addc_co_u32_e32 v7, vcc, v81, v8, vcc
	global_store_dwordx2 v[6:7], v[10:11], off
	v_mul_f64 v[0:1], v[0:1], v[2:3]
	v_mov_b32_e32 v7, s9
	v_add_co_u32_e32 v6, vcc, s8, v80
	v_addc_co_u32_e32 v7, vcc, v81, v7, vcc
	s_lshl_b64 s[4:5], s[4:5], 3
	v_mov_b32_e32 v3, s5
	v_add_co_u32_e32 v2, vcc, s4, v80
	v_addc_co_u32_e32 v3, vcc, v81, v3, vcc
	s_sub_i32 s2, s2, 24
	global_store_dwordx2 v[6:7], v[4:5], off
	global_store_dwordx2 v[2:3], v[0:1], off
.LBB100_16:
	s_cmp_lt_i32 s2, 0
	s_cbranch_scc1 .LBB100_29
; %bb.17:
	s_bitcmp1_b32 s2, 0
	s_cselect_b64 s[4:5], -1, 0
	s_and_b64 vcc, exec, s[4:5]
	s_mov_b32 s4, s2
	s_cbranch_vccnz .LBB100_22
; %bb.18:
	s_mov_b32 s5, 0
	s_mov_b32 s3, s5
	s_lshl_b64 s[6:7], s[2:3], 3
	v_mov_b32_e32 v1, s7
	v_add_co_u32_e32 v0, vcc, s6, v80
	v_addc_co_u32_e32 v1, vcc, v81, v1, vcc
	global_load_dwordx2 v[2:3], v[0:1], off
	s_cmp_le_i32 s11, s2
	s_waitcnt vmcnt(0)
	v_mul_f64 v[2:3], s[0:1], v[2:3]
	s_cbranch_scc1 .LBB100_21
; %bb.19:
	s_mul_i32 s3, s2, 0xe0
	s_lshl_b32 s4, s24, 3
	s_add_i32 s3, s3, s4
	s_add_i32 s3, s3, -8
	s_mov_b32 s4, s11
.LBB100_20:                             ; =>This Inner Loop Header: Depth=1
	s_lshl_b64 s[6:7], s[4:5], 3
	v_mov_b32_e32 v5, s7
	v_add_co_u32_e32 v4, vcc, s6, v80
	v_addc_co_u32_e32 v5, vcc, v81, v5, vcc
	global_load_dwordx2 v[4:5], v[4:5], off
	v_mov_b32_e32 v6, s3
	ds_read_b64 v[6:7], v6
	s_add_i32 s4, s4, -1
	s_add_i32 s3, s3, -8
	s_cmp_gt_i32 s4, s2
	s_waitcnt vmcnt(0) lgkmcnt(0)
	v_fma_f64 v[2:3], -v[4:5], v[6:7], v[2:3]
	s_cbranch_scc1 .LBB100_20
.LBB100_21:
	s_mul_i32 s3, s2, 0xe8
	v_mov_b32_e32 v4, s3
	ds_read_b64 v[4:5], v4
	s_add_i32 s4, s2, -1
	s_waitcnt lgkmcnt(0)
	v_mul_f64 v[2:3], v[4:5], v[2:3]
	global_store_dwordx2 v[0:1], v[2:3], off
.LBB100_22:
	s_cmp_eq_u32 s2, 0
	s_mov_b32 s3, 0
	s_cbranch_scc1 .LBB100_29
; %bb.23:
	s_mul_i32 s2, s4, 0xe0
	s_lshl_b32 s5, s24, 3
	s_add_i32 s2, s2, s5
	s_add_i32 s6, s2, -8
	s_add_i32 s7, s2, 0xffffff18
	s_branch .LBB100_25
.LBB100_24:                             ;   in Loop: Header=BB100_25 Depth=1
	s_add_i32 s2, s5, 0xffffff18
	v_mov_b32_e32 v0, s2
	ds_read_b64 v[0:1], v0
	s_add_i32 s2, s4, -2
	s_addk_i32 s6, 0xfe40
	s_addk_i32 s7, 0xfe40
	s_cmp_lt_i32 s4, 2
	s_waitcnt lgkmcnt(0)
	v_mul_f64 v[0:1], v[0:1], v[4:5]
	s_mov_b32 s4, s2
	global_store_dwordx2 v[2:3], v[0:1], off
	s_cbranch_scc1 .LBB100_29
.LBB100_25:                             ; =>This Loop Header: Depth=1
                                        ;     Child Loop BB100_26 Depth 2
                                        ;     Child Loop BB100_28 Depth 2
	s_mov_b32 s5, s3
	s_lshl_b64 s[8:9], s[4:5], 3
	v_mov_b32_e32 v1, s9
	v_add_co_u32_e32 v0, vcc, s8, v80
	v_addc_co_u32_e32 v1, vcc, v81, v1, vcc
	global_load_dwordx2 v[2:3], v[0:1], off
	s_cmp_le_i32 s11, s4
	s_mov_b32 s5, s6
	s_mov_b32 s2, s11
	s_waitcnt vmcnt(0)
	v_mul_f64 v[4:5], s[0:1], v[2:3]
	s_cbranch_scc1 .LBB100_27
.LBB100_26:                             ;   Parent Loop BB100_25 Depth=1
                                        ; =>  This Inner Loop Header: Depth=2
	s_lshl_b64 s[8:9], s[2:3], 3
	v_mov_b32_e32 v3, s9
	v_add_co_u32_e32 v2, vcc, s8, v80
	v_addc_co_u32_e32 v3, vcc, v81, v3, vcc
	global_load_dwordx2 v[2:3], v[2:3], off
	v_mov_b32_e32 v6, s5
	ds_read_b64 v[6:7], v6
	s_add_i32 s2, s2, -1
	s_add_i32 s5, s5, -8
	s_cmp_gt_i32 s2, s4
	s_waitcnt vmcnt(0) lgkmcnt(0)
	v_fma_f64 v[4:5], -v[2:3], v[6:7], v[4:5]
	s_cbranch_scc1 .LBB100_26
.LBB100_27:                             ;   in Loop: Header=BB100_25 Depth=1
	s_add_i32 s2, s4, -1
	s_lshl_b64 s[8:9], s[2:3], 3
	v_mov_b32_e32 v3, s9
	v_add_co_u32_e32 v2, vcc, s8, v80
	v_addc_co_u32_e32 v3, vcc, v81, v3, vcc
	global_load_dwordx2 v[6:7], v[2:3], off
	s_mul_i32 s5, s4, 0xe8
	v_mov_b32_e32 v8, s5
	ds_read_b64 v[8:9], v8
	s_cmp_le_i32 s24, s4
	s_mov_b32 s8, s7
	s_mov_b32 s2, s24
	s_waitcnt lgkmcnt(0)
	v_mul_f64 v[8:9], v[8:9], v[4:5]
	global_store_dwordx2 v[0:1], v[8:9], off
	s_waitcnt vmcnt(1)
	v_mul_f64 v[4:5], s[0:1], v[6:7]
	s_cbranch_scc1 .LBB100_24
.LBB100_28:                             ;   Parent Loop BB100_25 Depth=1
                                        ; =>  This Inner Loop Header: Depth=2
	s_add_i32 s2, s2, -1
	s_lshl_b64 s[12:13], s[2:3], 3
	v_mov_b32_e32 v1, s13
	v_add_co_u32_e32 v0, vcc, s12, v80
	v_addc_co_u32_e32 v1, vcc, v81, v1, vcc
	global_load_dwordx2 v[0:1], v[0:1], off
	v_mov_b32_e32 v6, s8
	ds_read_b64 v[6:7], v6
	s_add_i32 s8, s8, -8
	s_cmp_gt_i32 s2, s4
	s_waitcnt vmcnt(0) lgkmcnt(0)
	v_fma_f64 v[4:5], -v[0:1], v[6:7], v[4:5]
	s_cbranch_scc1 .LBB100_28
	s_branch .LBB100_24
.LBB100_29:
	s_mov_b64 s[2:3], 0
.LBB100_30:
	s_and_b64 vcc, exec, s[2:3]
	s_cbranch_vccz .LBB100_44
; %bb.31:
	s_cmp_gt_i32 s10, 27
	s_cselect_b64 s[2:3], -1, 0
	s_mov_b32 s4, 0
	s_and_b64 vcc, exec, s[2:3]
	s_cbranch_vccz .LBB100_33
; %bb.32:
	global_load_dwordx4 v[26:29], v[80:81], off
	global_load_dwordx4 v[32:35], v[80:81], off offset:16
	global_load_dwordx4 v[40:43], v[80:81], off offset:32
	global_load_dwordx4 v[44:47], v[80:81], off offset:48
	global_load_dwordx4 v[14:17], v[80:81], off offset:64
	global_load_dwordx4 v[10:13], v[80:81], off offset:80
	global_load_dwordx4 v[6:9], v[80:81], off offset:96
	global_load_dwordx4 v[2:5], v[80:81], off offset:112
	global_load_dwordx4 v[22:25], v[80:81], off offset:128
	global_load_dwordx4 v[18:21], v[80:81], off offset:144
	v_mov_b32_e32 v82, 0
	ds_read_b128 v[36:39], v82
	ds_read_b128 v[48:51], v82 offset:16
	ds_read_b128 v[52:55], v82 offset:32
	;; [unrolled: 1-line block ×5, first 2 shown]
	v_mov_b32_e32 v65, 0x828
	v_mov_b32_e32 v64, 0x838
	s_movk_i32 s4, 0x800
	ds_read_b128 v[70:73], v82 offset:112
	ds_read_b128 v[74:77], v82 offset:144
	s_waitcnt vmcnt(9)
	v_mul_f64 v[0:1], s[0:1], v[26:27]
	s_waitcnt lgkmcnt(7)
	v_mul_f64 v[0:1], v[36:37], v[0:1]
	v_mul_f64 v[26:27], v[0:1], v[38:39]
	s_waitcnt lgkmcnt(6)
	v_mul_f64 v[36:37], v[0:1], v[50:51]
	s_waitcnt lgkmcnt(5)
	v_mul_f64 v[52:53], v[0:1], v[52:53]
	v_mul_f64 v[54:55], v[0:1], v[54:55]
	;; [unrolled: 1-line block ×3, first 2 shown]
	ds_read_b128 v[48:51], v82 offset:96
	s_waitcnt lgkmcnt(4)
	v_mul_f64 v[60:61], v[0:1], v[60:61]
	v_mul_f64 v[62:63], v[0:1], v[62:63]
	v_fma_f64 v[38:39], s[0:1], v[28:29], -v[26:27]
	v_mul_f64 v[56:57], v[0:1], v[56:57]
	s_waitcnt vmcnt(8)
	v_fma_f64 v[26:27], s[0:1], v[34:35], -v[36:37]
	s_waitcnt vmcnt(7)
	v_fma_f64 v[34:35], s[0:1], v[40:41], -v[52:53]
	v_fma_f64 v[28:29], s[0:1], v[42:43], -v[54:55]
	s_waitcnt lgkmcnt(0)
	v_mul_f64 v[52:53], v[0:1], v[48:49]
	v_mul_f64 v[54:55], v[0:1], v[50:51]
	;; [unrolled: 1-line block ×4, first 2 shown]
	s_waitcnt vmcnt(5)
	v_fma_f64 v[60:61], s[0:1], v[14:15], -v[60:61]
	v_fma_f64 v[62:63], s[0:1], v[16:17], -v[62:63]
	ds_read2_b64 v[14:17], v82 offset0:29 offset1:30
	ds_read_b128 v[40:43], v82 offset:128
	v_fma_f64 v[32:33], s[0:1], v[32:33], -v[30:31]
	v_fma_f64 v[36:37], s[0:1], v[44:45], -v[56:57]
	v_mul_f64 v[56:57], v[0:1], v[66:67]
	s_waitcnt vmcnt(3)
	v_fma_f64 v[52:53], s[0:1], v[6:7], -v[52:53]
	v_fma_f64 v[54:55], s[0:1], v[8:9], -v[54:55]
	ds_read2_b64 v[6:9], v82 offset0:31 offset1:32
	s_waitcnt vmcnt(2)
	v_fma_f64 v[66:67], s[0:1], v[2:3], -v[48:49]
	s_waitcnt lgkmcnt(2)
	v_mul_f64 v[2:3], v[14:15], v[38:39]
	v_fma_f64 v[30:31], s[0:1], v[46:47], -v[58:59]
	v_mul_f64 v[58:59], v[0:1], v[68:69]
	v_mul_f64 v[50:51], v[0:1], v[72:73]
	s_waitcnt lgkmcnt(1)
	v_mul_f64 v[44:45], v[0:1], v[40:41]
	v_mul_f64 v[46:47], v[0:1], v[42:43]
	;; [unrolled: 1-line block ×4, first 2 shown]
	v_fma_f64 v[32:33], -v[2:3], v[16:17], v[32:33]
	v_fma_f64 v[56:57], s[0:1], v[10:11], -v[56:57]
	v_fma_f64 v[58:59], s[0:1], v[12:13], -v[58:59]
	ds_read_b128 v[10:13], v82 offset:464
	v_fma_f64 v[68:69], s[0:1], v[4:5], -v[50:51]
	ds_read2_b64 v[14:17], v82 offset0:35 offset1:36
	s_waitcnt vmcnt(0)
	v_fma_f64 v[40:41], s[0:1], v[18:19], -v[40:41]
	v_fma_f64 v[42:43], s[0:1], v[20:21], -v[42:43]
	ds_read2_b64 v[18:21], v82 offset0:33 offset1:34
	s_waitcnt lgkmcnt(3)
	v_fma_f64 v[26:27], -v[2:3], v[6:7], v[26:27]
	ds_read2_b64 v[4:7], v82 offset0:37 offset1:38
	v_fma_f64 v[38:39], s[0:1], v[22:23], -v[44:45]
	v_fma_f64 v[44:45], s[0:1], v[24:25], -v[46:47]
	ds_read_b128 v[22:25], v82 offset:480
	s_waitcnt lgkmcnt(2)
	v_fma_f64 v[28:29], -v[2:3], v[18:19], v[28:29]
	v_fma_f64 v[36:37], -v[2:3], v[20:21], v[36:37]
	ds_read2_b64 v[18:21], v82 offset0:39 offset1:40
	v_fma_f64 v[46:47], -v[2:3], v[16:17], v[60:61]
	s_waitcnt lgkmcnt(2)
	v_fma_f64 v[60:61], -v[2:3], v[4:5], v[62:63]
	v_mul_f64 v[4:5], v[10:11], v[32:33]
	v_fma_f64 v[34:35], -v[2:3], v[8:9], v[34:35]
	v_fma_f64 v[30:31], -v[2:3], v[14:15], v[30:31]
	ds_read2_b64 v[14:17], v82 offset0:41 offset1:42
	v_fma_f64 v[56:57], -v[2:3], v[6:7], v[56:57]
	ds_read2_b64 v[6:9], v82 offset0:43 offset1:44
	s_waitcnt lgkmcnt(2)
	v_fma_f64 v[58:59], -v[2:3], v[18:19], v[58:59]
	v_fma_f64 v[52:53], -v[2:3], v[20:21], v[52:53]
	ds_read2_b64 v[18:21], v82 offset0:45 offset1:46
	s_waitcnt lgkmcnt(2)
	v_fma_f64 v[62:63], -v[2:3], v[16:17], v[66:67]
	s_waitcnt lgkmcnt(1)
	v_fma_f64 v[32:33], -v[2:3], v[6:7], v[68:69]
	v_fma_f64 v[38:39], -v[2:3], v[8:9], v[38:39]
	ds_read_b128 v[6:9], v82 offset:496
	v_fma_f64 v[26:27], -v[4:5], v[12:13], v[26:27]
	ds_read2_b64 v[48:51], v82 offset0:87 offset1:88
	ds_read_b128 v[10:13], v82 offset:528
	v_fma_f64 v[66:67], -v[4:5], v[24:25], v[28:29]
	s_waitcnt lgkmcnt(2)
	v_fma_f64 v[36:37], -v[4:5], v[6:7], v[36:37]
	v_fma_f64 v[68:69], -v[4:5], v[8:9], v[30:31]
	ds_read_b128 v[6:9], v82 offset:560
	ds_read2_b64 v[28:31], v82 offset0:47 offset1:48
	v_fma_f64 v[44:45], -v[2:3], v[18:19], v[44:45]
	v_fma_f64 v[40:41], -v[2:3], v[20:21], v[40:41]
	ds_read_b128 v[18:21], v82 offset:512
	v_fma_f64 v[54:55], -v[2:3], v[14:15], v[54:55]
	v_fma_f64 v[34:35], -v[4:5], v[22:23], v[34:35]
	ds_read_b128 v[22:25], v82 offset:544
	s_waitcnt lgkmcnt(4)
	v_fma_f64 v[56:57], -v[4:5], v[10:11], v[56:57]
	s_waitcnt lgkmcnt(1)
	v_fma_f64 v[46:47], -v[4:5], v[18:19], v[46:47]
	v_fma_f64 v[60:61], -v[4:5], v[20:21], v[60:61]
	v_fma_f64 v[58:59], -v[4:5], v[12:13], v[58:59]
	ds_read_b128 v[10:13], v82 offset:576
	ds_read_b128 v[18:21], v82 offset:592
	v_fma_f64 v[28:29], -v[2:3], v[28:29], v[42:43]
	v_fma_f64 v[42:43], -v[4:5], v[6:7], v[62:63]
	v_mul_f64 v[6:7], v[48:49], v[26:27]
	s_waitcnt lgkmcnt(2)
	v_fma_f64 v[52:53], -v[4:5], v[22:23], v[52:53]
	v_fma_f64 v[54:55], -v[4:5], v[24:25], v[54:55]
	ds_read2_b64 v[22:25], v82 offset0:89 offset1:90
	v_fma_f64 v[32:33], -v[4:5], v[8:9], v[32:33]
	ds_read_b128 v[14:17], v82 offset:928
	s_waitcnt lgkmcnt(2)
	v_fma_f64 v[40:41], -v[4:5], v[18:19], v[40:41]
	v_fma_f64 v[62:63], -v[4:5], v[20:21], v[28:29]
	v_fma_f64 v[8:9], -v[6:7], v[50:51], v[34:35]
	ds_read2_b64 v[18:21], v82 offset0:91 offset1:92
	ds_read2_b64 v[26:29], v82 offset0:93 offset1:94
	s_waitcnt lgkmcnt(3)
	v_fma_f64 v[34:35], -v[6:7], v[22:23], v[66:67]
	v_fma_f64 v[36:37], -v[6:7], v[24:25], v[36:37]
	ds_read2_b64 v[22:25], v82 offset0:95 offset1:96
	v_fma_f64 v[44:45], -v[4:5], v[12:13], v[44:45]
	v_fma_f64 v[38:39], -v[4:5], v[10:11], v[38:39]
	s_waitcnt lgkmcnt(2)
	v_fma_f64 v[48:49], -v[6:7], v[18:19], v[68:69]
	v_fma_f64 v[46:47], -v[6:7], v[20:21], v[46:47]
	s_waitcnt lgkmcnt(0)
	v_fma_f64 v[58:59], -v[6:7], v[22:23], v[58:59]
	v_fma_f64 v[52:53], -v[6:7], v[24:25], v[52:53]
	ds_read2_b64 v[22:25], v82 offset0:101 offset1:102
	v_mul_f64 v[8:9], v[14:15], v[8:9]
	ds_read2_b64 v[18:21], v82 offset0:97 offset1:98
	v_fma_f64 v[50:51], -v[6:7], v[26:27], v[60:61]
	v_fma_f64 v[56:57], -v[6:7], v[28:29], v[56:57]
	ds_read2_b64 v[26:29], v82 offset0:99 offset1:100
	s_waitcnt lgkmcnt(2)
	v_fma_f64 v[44:45], -v[6:7], v[22:23], v[44:45]
	s_waitcnt lgkmcnt(1)
	v_fma_f64 v[54:55], -v[6:7], v[18:19], v[54:55]
	v_fma_f64 v[42:43], -v[6:7], v[20:21], v[42:43]
	ds_read_b128 v[18:21], v82 offset:944
	v_fma_f64 v[40:41], -v[6:7], v[24:25], v[40:41]
	ds_read_b128 v[22:25], v82 offset:960
	;; [unrolled: 2-line block ×3, first 2 shown]
	s_waitcnt lgkmcnt(3)
	v_fma_f64 v[38:39], -v[6:7], v[28:29], v[38:39]
	ds_read2_b64 v[10:13], v82 offset0:145 offset1:146
	s_waitcnt lgkmcnt(3)
	v_fma_f64 v[36:37], -v[8:9], v[18:19], v[36:37]
	v_fma_f64 v[48:49], -v[8:9], v[20:21], v[48:49]
	ds_read_b128 v[18:21], v82 offset:992
	s_waitcnt lgkmcnt(3)
	v_fma_f64 v[46:47], -v[8:9], v[22:23], v[46:47]
	v_fma_f64 v[50:51], -v[8:9], v[24:25], v[50:51]
	ds_read_b128 v[22:25], v82 offset:1008
	;; [unrolled: 4-line block ×3, first 2 shown]
	v_fma_f64 v[32:33], -v[6:7], v[26:27], v[32:33]
	s_waitcnt lgkmcnt(2)
	v_fma_f64 v[52:53], -v[8:9], v[18:19], v[52:53]
	v_fma_f64 v[54:55], -v[8:9], v[20:21], v[54:55]
	ds_read2_b64 v[18:21], v82 offset0:147 offset1:148
	s_waitcnt lgkmcnt(1)
	v_fma_f64 v[66:67], -v[8:9], v[14:15], v[38:39]
	v_fma_f64 v[44:45], -v[8:9], v[16:17], v[44:45]
	ds_read2_b64 v[14:17], v82 offset0:149 offset1:150
	v_mul_f64 v[10:11], v[10:11], v[34:35]
	v_fma_f64 v[42:43], -v[8:9], v[22:23], v[42:43]
	v_fma_f64 v[60:61], -v[8:9], v[24:25], v[32:33]
	ds_read_b128 v[26:29], v82 offset:1392
	ds_read2_b64 v[32:35], v82 offset0:151 offset1:152
	ds_read2_b64 v[22:25], v82 offset0:203 offset1:204
	v_mov_b32_e32 v70, 0x9f8
	v_fma_f64 v[12:13], -v[10:11], v[12:13], v[36:37]
	s_waitcnt lgkmcnt(3)
	v_fma_f64 v[50:51], -v[10:11], v[14:15], v[50:51]
	v_fma_f64 v[56:57], -v[10:11], v[16:17], v[56:57]
	ds_read_b128 v[36:39], v82 offset:1040
	v_fma_f64 v[48:49], -v[10:11], v[18:19], v[48:49]
	v_fma_f64 v[46:47], -v[10:11], v[20:21], v[46:47]
	ds_read2_b64 v[18:21], v82 offset0:153 offset1:154
	ds_read2_b64 v[14:17], v82 offset0:155 offset1:156
	s_waitcnt lgkmcnt(4)
	v_fma_f64 v[58:59], -v[10:11], v[32:33], v[58:59]
	s_waitcnt lgkmcnt(2)
	v_fma_f64 v[32:33], -v[8:9], v[36:37], v[40:41]
	v_fma_f64 v[52:53], -v[10:11], v[34:35], v[52:53]
	s_waitcnt lgkmcnt(1)
	v_fma_f64 v[36:37], -v[10:11], v[18:19], v[54:55]
	v_fma_f64 v[40:41], -v[10:11], v[20:21], v[42:43]
	ds_read2_b64 v[18:21], v82 offset0:157 offset1:158
	s_waitcnt lgkmcnt(1)
	v_fma_f64 v[42:43], -v[10:11], v[14:15], v[60:61]
	v_fma_f64 v[54:55], -v[10:11], v[16:17], v[66:67]
	ds_read_b128 v[14:17], v82 offset:1408
	v_mul_f64 v[12:13], v[26:27], v[12:13]
	s_waitcnt lgkmcnt(1)
	v_fma_f64 v[44:45], -v[10:11], v[18:19], v[44:45]
	v_fma_f64 v[60:61], -v[10:11], v[20:21], v[32:33]
	ds_read_b128 v[18:21], v82 offset:1440
	ds_read_b128 v[32:35], v82 offset:1456
	v_fma_f64 v[48:49], -v[12:13], v[28:29], v[48:49]
	ds_read_b128 v[26:29], v82 offset:1424
	s_waitcnt lgkmcnt(3)
	v_fma_f64 v[46:47], -v[12:13], v[14:15], v[46:47]
	v_fma_f64 v[50:51], -v[12:13], v[16:17], v[50:51]
	s_waitcnt lgkmcnt(2)
	v_fma_f64 v[36:37], -v[12:13], v[20:21], v[36:37]
	s_waitcnt lgkmcnt(0)
	v_fma_f64 v[56:57], -v[12:13], v[26:27], v[56:57]
	v_fma_f64 v[58:59], -v[12:13], v[28:29], v[58:59]
	ds_read_b128 v[26:29], v82 offset:1856
	v_mul_f64 v[14:15], v[22:23], v[48:49]
	v_fma_f64 v[48:49], -v[12:13], v[18:19], v[52:53]
	ds_read_b128 v[16:19], v82 offset:1472
	ds_read2_b64 v[20:23], v82 offset0:205 offset1:206
	v_fma_f64 v[52:53], -v[12:13], v[32:33], v[40:41]
	v_fma_f64 v[66:67], -v[12:13], v[34:35], v[42:43]
	ds_read2_b64 v[32:35], v82 offset0:207 offset1:208
	ds_read2_b64 v[40:43], v82 offset0:209 offset1:210
	v_fma_f64 v[24:25], -v[14:15], v[24:25], v[46:47]
	s_waitcnt lgkmcnt(3)
	v_fma_f64 v[68:69], -v[12:13], v[18:19], v[44:45]
	ds_read_b128 v[44:47], v82 offset:1488
	v_fma_f64 v[54:55], -v[12:13], v[16:17], v[54:55]
	s_waitcnt lgkmcnt(3)
	v_fma_f64 v[50:51], -v[14:15], v[20:21], v[50:51]
	v_fma_f64 v[56:57], -v[14:15], v[22:23], v[56:57]
	ds_read2_b64 v[18:21], v82 offset0:211 offset1:212
	s_waitcnt lgkmcnt(1)
	v_fma_f64 v[44:45], -v[12:13], v[44:45], v[60:61]
	v_mul_f64 v[16:17], v[26:27], v[24:25]
	ds_read2_b64 v[22:25], v82 offset0:213 offset1:214
	v_fma_f64 v[34:35], -v[14:15], v[34:35], v[48:49]
	v_fma_f64 v[36:37], -v[14:15], v[40:41], v[36:37]
	;; [unrolled: 1-line block ×3, first 2 shown]
	s_waitcnt lgkmcnt(1)
	v_fma_f64 v[48:49], -v[14:15], v[18:19], v[66:67]
	s_waitcnt lgkmcnt(0)
	v_fma_f64 v[52:53], -v[14:15], v[22:23], v[68:69]
	v_fma_f64 v[44:45], -v[14:15], v[24:25], v[44:45]
	;; [unrolled: 1-line block ×3, first 2 shown]
	ds_read_b128 v[26:29], v82 offset:1872
	ds_read_b128 v[22:25], v82 offset:1888
	v_fma_f64 v[50:51], -v[14:15], v[20:21], v[54:55]
	ds_read2_b64 v[18:21], v65 offset1:1
	v_fma_f64 v[32:33], -v[14:15], v[32:33], v[58:59]
	s_waitcnt lgkmcnt(2)
	v_fma_f64 v[54:55], -v[16:17], v[26:27], v[56:57]
	s_waitcnt lgkmcnt(1)
	v_fma_f64 v[58:59], -v[16:17], v[22:23], v[34:35]
	v_fma_f64 v[36:37], -v[16:17], v[24:25], v[36:37]
	ds_read2_b64 v[22:25], v64 offset1:1
	s_waitcnt lgkmcnt(1)
	v_mul_f64 v[18:19], v[18:19], v[42:43]
	v_mov_b32_e32 v42, 0x848
	v_mov_b32_e32 v60, 0x858
	v_fma_f64 v[56:57], -v[16:17], v[28:29], v[32:33]
	ds_read_b128 v[26:29], v82 offset:1904
	ds_read_b128 v[32:35], v82 offset:1920
	v_fma_f64 v[20:21], -v[18:19], v[20:21], v[54:55]
	s_waitcnt lgkmcnt(1)
	v_fma_f64 v[54:55], -v[16:17], v[26:27], v[40:41]
	v_fma_f64 v[48:49], -v[16:17], v[28:29], v[48:49]
	ds_read_b128 v[26:29], v82 offset:2320
	ds_read2_b64 v[40:43], v42 offset1:1
	v_fma_f64 v[56:57], -v[18:19], v[22:23], v[56:57]
	s_waitcnt lgkmcnt(2)
	v_fma_f64 v[50:51], -v[16:17], v[32:33], v[50:51]
	v_fma_f64 v[52:53], -v[16:17], v[34:35], v[52:53]
	ds_read_b128 v[32:35], v82 offset:1936
	s_waitcnt lgkmcnt(2)
	v_mul_f64 v[20:21], v[26:27], v[20:21]
	v_fma_f64 v[58:59], -v[18:19], v[24:25], v[58:59]
	ds_read2_b64 v[22:25], v60 offset1:1
	v_mov_b32_e32 v26, 0x868
	s_waitcnt lgkmcnt(1)
	v_fma_f64 v[32:33], -v[16:17], v[32:33], v[44:45]
	v_fma_f64 v[36:37], -v[18:19], v[40:41], v[36:37]
	;; [unrolled: 1-line block ×4, first 2 shown]
	ds_read2_b64 v[26:29], v26 offset1:1
	s_waitcnt lgkmcnt(1)
	v_fma_f64 v[56:57], -v[18:19], v[22:23], v[48:49]
	v_fma_f64 v[60:61], -v[18:19], v[24:25], v[50:51]
	ds_read_b128 v[22:25], v82 offset:2336
	ds_read2_b64 v[40:43], v70 offset1:1
	ds_read2_b64 v[48:51], v82 offset0:103 offset1:104
	s_waitcnt lgkmcnt(3)
	v_fma_f64 v[52:53], -v[18:19], v[26:27], v[52:53]
	v_fma_f64 v[32:33], -v[18:19], v[28:29], v[32:33]
	ds_read_b128 v[26:29], v82 offset:2352
	s_waitcnt lgkmcnt(3)
	v_fma_f64 v[58:59], -v[20:21], v[22:23], v[58:59]
	s_waitcnt lgkmcnt(2)
	v_mul_f64 v[22:23], v[40:41], v[44:45]
	v_mov_b32_e32 v40, 0xa08
	v_fma_f64 v[36:37], -v[20:21], v[24:25], v[36:37]
	s_waitcnt lgkmcnt(0)
	v_fma_f64 v[44:45], -v[20:21], v[26:27], v[54:55]
	ds_read2_b64 v[24:27], v40 offset1:1
	v_fma_f64 v[48:49], -v[6:7], v[48:49], v[62:63]
	v_fma_f64 v[28:29], -v[20:21], v[28:29], v[56:57]
	ds_read_b128 v[87:90], v82 offset:192
	v_fma_f64 v[54:55], -v[22:23], v[42:43], v[58:59]
	ds_read_b128 v[40:43], v82 offset:2368
	s_waitcnt lgkmcnt(2)
	v_fma_f64 v[56:57], -v[22:23], v[24:25], v[36:37]
	v_mov_b32_e32 v36, 0xa18
	v_fma_f64 v[44:45], -v[22:23], v[26:27], v[44:45]
	v_fma_f64 v[48:49], -v[8:9], v[38:39], v[48:49]
	ds_read2_b64 v[36:39], v36 offset1:1
	s_waitcnt lgkmcnt(1)
	v_fma_f64 v[58:59], -v[20:21], v[40:41], v[60:61]
	v_fma_f64 v[52:53], -v[20:21], v[42:43], v[52:53]
	ds_read_b128 v[40:43], v82 offset:2384
	ds_read_b128 v[24:27], v82 offset:2784
	global_load_dwordx4 v[91:94], v[80:81], off offset:192
	ds_read_b128 v[68:71], v82 offset:3728
	ds_read_b128 v[76:79], v82 offset:4640
	s_waitcnt lgkmcnt(3)
	v_fma_f64 v[32:33], -v[20:21], v[40:41], v[32:33]
	v_fma_f64 v[40:41], -v[22:23], v[36:37], v[28:29]
	v_mov_b32_e32 v28, 0xa28
	v_fma_f64 v[58:59], -v[22:23], v[38:39], v[58:59]
	ds_read2_b64 v[36:39], v28 offset1:1
	s_waitcnt lgkmcnt(0)
	v_fma_f64 v[60:61], -v[22:23], v[36:37], v[52:53]
	v_mov_b32_e32 v36, 0xbc8
	v_fma_f64 v[32:33], -v[22:23], v[38:39], v[32:33]
	ds_read2_b64 v[36:39], v36 offset1:1
	v_mul_f64 v[24:25], v[24:25], v[54:55]
	ds_read_b128 v[52:55], v82 offset:2816
	v_fma_f64 v[56:57], -v[24:25], v[26:27], v[56:57]
	ds_read_b128 v[26:29], v82 offset:2800
	s_waitcnt lgkmcnt(0)
	v_fma_f64 v[44:45], -v[24:25], v[26:27], v[44:45]
	v_fma_f64 v[28:29], -v[24:25], v[28:29], v[40:41]
	v_mul_f64 v[26:27], v[36:37], v[56:57]
	v_fma_f64 v[40:41], -v[24:25], v[52:53], v[58:59]
	v_mov_b32_e32 v36, 0xbd8
	v_fma_f64 v[56:57], -v[24:25], v[54:55], v[60:61]
	ds_read2_b64 v[52:55], v82 offset0:159 offset1:160
	v_fma_f64 v[58:59], -v[26:27], v[38:39], v[44:45]
	ds_read2_b64 v[36:39], v36 offset1:1
	s_waitcnt lgkmcnt(1)
	v_fma_f64 v[44:45], -v[10:11], v[52:53], v[48:49]
	v_mov_b32_e32 v52, 0xbe8
	s_waitcnt lgkmcnt(0)
	v_fma_f64 v[48:49], -v[26:27], v[36:37], v[28:29]
	v_fma_f64 v[40:41], -v[26:27], v[38:39], v[40:41]
	ds_read_b128 v[36:39], v82 offset:2832
	s_waitcnt lgkmcnt(0)
	v_fma_f64 v[28:29], -v[24:25], v[36:37], v[32:33]
	v_fma_f64 v[32:33], -v[12:13], v[46:47], v[44:45]
	ds_read2_b64 v[44:47], v52 offset1:1
	s_waitcnt lgkmcnt(0)
	v_fma_f64 v[36:37], -v[26:27], v[44:45], v[56:57]
	v_fma_f64 v[52:53], -v[26:27], v[46:47], v[28:29]
	ds_read2_b64 v[44:47], v82 offset0:215 offset1:216
	s_waitcnt lgkmcnt(0)
	v_fma_f64 v[28:29], -v[14:15], v[44:45], v[32:33]
	v_fma_f64 v[44:45], -v[16:17], v[34:35], v[28:29]
	ds_read_b128 v[32:35], v82 offset:3248
	s_waitcnt lgkmcnt(0)
	v_mul_f64 v[28:29], v[32:33], v[58:59]
	global_load_dwordx4 v[56:59], v[80:81], off offset:160
	v_fma_f64 v[48:49], -v[28:29], v[34:35], v[48:49]
	ds_read_b128 v[32:35], v82 offset:3264
	s_waitcnt lgkmcnt(0)
	v_fma_f64 v[64:65], -v[28:29], v[34:35], v[36:37]
	ds_read_b128 v[34:37], v82 offset:160
	v_fma_f64 v[40:41], -v[28:29], v[32:33], v[40:41]
	s_waitcnt lgkmcnt(0)
	v_mul_f64 v[32:33], v[0:1], v[34:35]
	v_mul_f64 v[36:37], v[0:1], v[36:37]
	s_waitcnt vmcnt(0)
	v_fma_f64 v[32:33], s[0:1], v[56:57], -v[32:33]
	v_fma_f64 v[58:59], s[0:1], v[58:59], -v[36:37]
	v_mov_b32_e32 v36, 0xf78
	v_fma_f64 v[56:57], -v[2:3], v[30:31], v[32:33]
	v_mov_b32_e32 v30, 0xd98
	ds_read2_b64 v[30:33], v30 offset1:1
	s_waitcnt lgkmcnt(0)
	v_mul_f64 v[30:31], v[30:31], v[48:49]
	v_fma_f64 v[66:67], -v[30:31], v[32:33], v[40:41]
	ds_read_b128 v[32:35], v82 offset:3280
	v_mov_b32_e32 v40, 0xda8
	ds_read2_b64 v[60:63], v40 offset1:1
	s_waitcnt lgkmcnt(1)
	v_fma_f64 v[32:33], -v[28:29], v[32:33], v[52:53]
	s_waitcnt lgkmcnt(0)
	v_fma_f64 v[64:65], -v[30:31], v[60:61], v[64:65]
	v_fma_f64 v[72:73], -v[30:31], v[62:63], v[32:33]
	v_mov_b32_e32 v32, 0x878
	ds_read2_b64 v[60:63], v32 offset1:1
	s_waitcnt lgkmcnt(0)
	v_fma_f64 v[32:33], -v[18:19], v[60:61], v[44:45]
	v_fma_f64 v[32:33], -v[20:21], v[42:43], v[32:33]
	ds_read_b128 v[40:43], v82 offset:608
	s_waitcnt lgkmcnt(0)
	v_fma_f64 v[40:41], -v[4:5], v[40:41], v[56:57]
	v_fma_f64 v[44:45], -v[6:7], v[50:51], v[40:41]
	v_mov_b32_e32 v40, 0xa38
	ds_read2_b64 v[48:51], v40 offset1:1
	s_waitcnt lgkmcnt(0)
	v_fma_f64 v[32:33], -v[22:23], v[48:49], v[32:33]
	v_fma_f64 v[48:49], -v[24:25], v[38:39], v[32:33]
	ds_read_b128 v[38:41], v82 offset:1056
	s_waitcnt lgkmcnt(0)
	v_fma_f64 v[32:33], -v[8:9], v[38:39], v[44:45]
	v_mov_b32_e32 v44, 0xbf8
	v_fma_f64 v[38:39], -v[10:11], v[54:55], v[32:33]
	ds_read_b128 v[52:55], v82 offset:3712
	s_waitcnt lgkmcnt(0)
	v_mul_f64 v[32:33], v[52:53], v[66:67]
	v_fma_f64 v[56:57], -v[32:33], v[54:55], v[64:65]
	ds_read_b128 v[52:55], v82 offset:1504
	ds_read_b128 v[64:67], v82 offset:1952
	s_waitcnt lgkmcnt(1)
	v_fma_f64 v[38:39], -v[12:13], v[52:53], v[38:39]
	v_fma_f64 v[38:39], -v[14:15], v[46:47], v[38:39]
	ds_read2_b64 v[44:47], v44 offset1:1
	s_waitcnt lgkmcnt(0)
	v_fma_f64 v[44:45], -v[26:27], v[44:45], v[48:49]
	v_fma_f64 v[48:49], -v[32:33], v[68:69], v[72:73]
	global_load_dwordx4 v[72:75], v[80:81], off offset:176
	v_fma_f64 v[44:45], -v[28:29], v[34:35], v[44:45]
	v_fma_f64 v[34:35], -v[16:17], v[64:65], v[38:39]
	v_fma_f64 v[38:39], -v[18:19], v[62:63], v[34:35]
	v_mov_b32_e32 v34, 0xf68
	ds_read2_b64 v[60:63], v34 offset1:1
	s_waitcnt lgkmcnt(0)
	v_mul_f64 v[34:35], v[60:61], v[56:57]
	v_fma_f64 v[52:53], -v[34:35], v[62:63], v[48:49]
	v_mov_b32_e32 v48, 0xdb8
	ds_read2_b64 v[60:63], v48 offset1:1
	s_waitcnt lgkmcnt(0)
	v_fma_f64 v[44:45], -v[30:31], v[60:61], v[44:45]
	v_fma_f64 v[44:45], -v[32:33], v[70:71], v[44:45]
	ds_read_b128 v[68:71], v82 offset:2400
	s_waitcnt lgkmcnt(0)
	v_fma_f64 v[38:39], -v[20:21], v[68:69], v[38:39]
	v_fma_f64 v[56:57], -v[22:23], v[50:51], v[38:39]
	ds_read2_b64 v[36:39], v36 offset1:1
	ds_read_b128 v[48:51], v82 offset:4176
	s_waitcnt lgkmcnt(1)
	v_fma_f64 v[44:45], -v[34:35], v[36:37], v[44:45]
	s_waitcnt lgkmcnt(0)
	v_mul_f64 v[36:37], v[48:49], v[52:53]
	v_fma_f64 v[64:65], -v[36:37], v[50:51], v[44:45]
	ds_read2_b64 v[48:51], v82 offset0:49 offset1:50
	s_waitcnt lgkmcnt(0)
	v_fma_f64 v[44:45], -v[2:3], v[48:49], v[58:59]
	v_fma_f64 v[52:53], -v[4:5], v[42:43], v[44:45]
	ds_read_b128 v[42:45], v82 offset:2848
	s_waitcnt lgkmcnt(0)
	v_fma_f64 v[42:43], -v[24:25], v[42:43], v[56:57]
	v_fma_f64 v[56:57], -v[26:27], v[46:47], v[42:43]
	ds_read2_b64 v[46:49], v82 offset0:105 offset1:106
	s_waitcnt lgkmcnt(0)
	v_fma_f64 v[42:43], -v[6:7], v[46:47], v[52:53]
	v_fma_f64 v[46:47], -v[8:9], v[40:41], v[42:43]
	ds_read_b128 v[40:43], v82 offset:3296
	s_waitcnt lgkmcnt(0)
	v_fma_f64 v[40:41], -v[28:29], v[40:41], v[56:57]
	ds_read2_b64 v[56:59], v82 offset0:161 offset1:162
	s_waitcnt lgkmcnt(0)
	v_fma_f64 v[46:47], -v[10:11], v[56:57], v[46:47]
	v_fma_f64 v[40:41], -v[30:31], v[62:63], v[40:41]
	v_fma_f64 v[46:47], -v[12:13], v[54:55], v[46:47]
	ds_read_b128 v[52:55], v82 offset:3744
	s_waitcnt lgkmcnt(0)
	v_fma_f64 v[40:41], -v[32:33], v[52:53], v[40:41]
	v_fma_f64 v[52:53], -v[34:35], v[38:39], v[40:41]
	ds_read2_b64 v[38:41], v82 offset0:217 offset1:218
	s_waitcnt lgkmcnt(0)
	v_fma_f64 v[38:39], -v[14:15], v[38:39], v[46:47]
	v_fma_f64 v[46:47], -v[16:17], v[66:67], v[38:39]
	v_mov_b32_e32 v38, 0x1138
	ds_read2_b64 v[60:63], v38 offset1:1
	s_waitcnt lgkmcnt(0)
	v_mul_f64 v[38:39], v[60:61], v[64:65]
	ds_read_b128 v[64:67], v82 offset:4192
	s_waitcnt lgkmcnt(0)
	v_fma_f64 v[52:53], -v[36:37], v[64:65], v[52:53]
	v_fma_f64 v[83:84], -v[38:39], v[62:63], v[52:53]
	v_mov_b32_e32 v52, 0x888
	ds_read2_b64 v[60:63], v52 offset1:1
	s_waitcnt lgkmcnt(0)
	v_fma_f64 v[46:47], -v[18:19], v[60:61], v[46:47]
	v_fma_f64 v[46:47], -v[20:21], v[70:71], v[46:47]
	ds_read_b128 v[68:71], v82 offset:176
	s_waitcnt lgkmcnt(0)
	v_mul_f64 v[52:53], v[0:1], v[68:69]
	s_waitcnt vmcnt(0)
	v_fma_f64 v[52:53], s[0:1], v[72:73], -v[52:53]
	v_fma_f64 v[56:57], -v[2:3], v[50:51], v[52:53]
	v_mov_b32_e32 v50, 0xa48
	ds_read2_b64 v[50:53], v50 offset1:1
	s_waitcnt lgkmcnt(0)
	v_fma_f64 v[46:47], -v[22:23], v[50:51], v[46:47]
	v_fma_f64 v[60:61], -v[24:25], v[44:45], v[46:47]
	ds_read_b128 v[44:47], v82 offset:624
	s_waitcnt lgkmcnt(0)
	v_fma_f64 v[44:45], -v[4:5], v[44:45], v[56:57]
	v_fma_f64 v[56:57], -v[6:7], v[48:49], v[44:45]
	v_mov_b32_e32 v44, 0xc08
	ds_read2_b64 v[48:51], v44 offset1:1
	s_waitcnt lgkmcnt(0)
	v_fma_f64 v[44:45], -v[26:27], v[48:49], v[60:61]
	v_fma_f64 v[48:49], -v[28:29], v[42:43], v[44:45]
	ds_read_b128 v[42:45], v82 offset:1072
	s_waitcnt lgkmcnt(0)
	v_fma_f64 v[42:43], -v[8:9], v[42:43], v[56:57]
	v_mov_b32_e32 v56, 0xdc8
	v_fma_f64 v[42:43], -v[10:11], v[58:59], v[42:43]
	ds_read2_b64 v[56:59], v56 offset1:1
	s_waitcnt lgkmcnt(0)
	v_fma_f64 v[48:49], -v[30:31], v[56:57], v[48:49]
	v_fma_f64 v[48:49], -v[32:33], v[54:55], v[48:49]
	ds_read_b128 v[54:57], v82 offset:1520
	s_waitcnt lgkmcnt(0)
	v_fma_f64 v[42:43], -v[12:13], v[54:55], v[42:43]
	v_fma_f64 v[54:55], -v[14:15], v[40:41], v[42:43]
	v_mov_b32_e32 v40, 0xf88
	ds_read2_b64 v[40:43], v40 offset1:1
	s_waitcnt lgkmcnt(0)
	v_fma_f64 v[40:41], -v[34:35], v[40:41], v[48:49]
	v_fma_f64 v[40:41], -v[36:37], v[66:67], v[40:41]
	ds_read_b128 v[64:67], v82 offset:1968
	s_waitcnt lgkmcnt(0)
	v_fma_f64 v[48:49], -v[16:17], v[64:65], v[54:55]
	v_mov_b32_e32 v54, 0x1148
	v_fma_f64 v[48:49], -v[18:19], v[62:63], v[48:49]
	ds_read2_b64 v[60:63], v54 offset1:1
	s_waitcnt lgkmcnt(0)
	v_fma_f64 v[54:55], -v[38:39], v[60:61], v[40:41]
	v_mul_f64 v[40:41], v[76:77], v[83:84]
	ds_read_b128 v[83:86], v82 offset:4656
	v_fma_f64 v[68:69], -v[40:41], v[78:79], v[54:55]
	ds_read_b128 v[76:79], v82 offset:2416
	s_waitcnt lgkmcnt(0)
	v_fma_f64 v[48:49], -v[20:21], v[76:77], v[48:49]
	v_fma_f64 v[48:49], -v[22:23], v[52:53], v[48:49]
	v_mul_f64 v[52:53], v[0:1], v[70:71]
	ds_read2_b64 v[70:73], v82 offset0:219 offset1:220
	v_fma_f64 v[60:61], s[0:1], v[74:75], -v[52:53]
	ds_read_b128 v[52:55], v82 offset:2864
	s_waitcnt lgkmcnt(0)
	v_fma_f64 v[48:49], -v[24:25], v[52:53], v[48:49]
	v_fma_f64 v[52:53], -v[26:27], v[50:51], v[48:49]
	ds_read2_b64 v[48:51], v82 offset0:51 offset1:52
	s_waitcnt lgkmcnt(0)
	v_fma_f64 v[48:49], -v[2:3], v[48:49], v[60:61]
	v_fma_f64 v[64:65], -v[4:5], v[46:47], v[48:49]
	ds_read_b128 v[46:49], v82 offset:3312
	s_waitcnt lgkmcnt(0)
	v_fma_f64 v[46:47], -v[28:29], v[46:47], v[52:53]
	v_fma_f64 v[52:53], -v[30:31], v[58:59], v[46:47]
	ds_read2_b64 v[58:61], v82 offset0:107 offset1:108
	s_waitcnt lgkmcnt(0)
	v_fma_f64 v[46:47], -v[6:7], v[58:59], v[64:65]
	v_fma_f64 v[58:59], -v[8:9], v[44:45], v[46:47]
	;; [unrolled: 8-line block ×3, first 2 shown]
	ds_read_b128 v[56:59], v82 offset:4208
	s_waitcnt lgkmcnt(0)
	v_fma_f64 v[52:53], -v[36:37], v[56:57], v[52:53]
	v_fma_f64 v[42:43], -v[14:15], v[70:71], v[42:43]
	;; [unrolled: 1-line block ×4, first 2 shown]
	v_mov_b32_e32 v42, 0x1308
	ds_read2_b64 v[62:65], v42 offset1:1
	v_fma_f64 v[52:53], -v[40:41], v[83:84], v[52:53]
	s_waitcnt lgkmcnt(0)
	v_mul_f64 v[42:43], v[62:63], v[68:69]
	ds_read_b128 v[68:71], v82 offset:1088
	v_fma_f64 v[83:84], -v[42:43], v[64:65], v[52:53]
	v_mov_b32_e32 v52, 0x898
	ds_read2_b64 v[74:77], v52 offset1:1
	ds_read_b128 v[64:67], v82 offset:640
	s_waitcnt lgkmcnt(1)
	v_fma_f64 v[52:53], -v[18:19], v[74:75], v[56:57]
	v_fma_f64 v[56:57], -v[20:21], v[78:79], v[52:53]
	v_mul_f64 v[52:53], v[0:1], v[87:88]
	v_fma_f64 v[52:53], s[0:1], v[91:92], -v[52:53]
	v_fma_f64 v[62:63], -v[2:3], v[50:51], v[52:53]
	v_mov_b32_e32 v50, 0xa58
	ds_read2_b64 v[50:53], v50 offset1:1
	s_waitcnt lgkmcnt(0)
	v_fma_f64 v[50:51], -v[22:23], v[50:51], v[56:57]
	v_mov_b32_e32 v56, 0xc18
	ds_read2_b64 v[95:98], v56 offset1:1
	v_fma_f64 v[50:51], -v[24:25], v[54:55], v[50:51]
	v_fma_f64 v[54:55], -v[4:5], v[64:65], v[62:63]
	s_waitcnt lgkmcnt(0)
	v_fma_f64 v[50:51], -v[26:27], v[95:96], v[50:51]
	v_fma_f64 v[54:55], -v[6:7], v[60:61], v[54:55]
	;; [unrolled: 1-line block ×4, first 2 shown]
	ds_read_b128 v[54:57], v82 offset:1536
	v_fma_f64 v[44:45], -v[10:11], v[44:45], v[50:51]
	v_mov_b32_e32 v50, 0xdd8
	ds_read2_b64 v[99:102], v50 offset1:1
	s_waitcnt lgkmcnt(0)
	v_fma_f64 v[48:49], -v[30:31], v[99:100], v[48:49]
	v_fma_f64 v[44:45], -v[12:13], v[54:55], v[44:45]
	;; [unrolled: 1-line block ×3, first 2 shown]
	v_mov_b32_e32 v48, 0xf98
	v_fma_f64 v[44:45], -v[14:15], v[72:73], v[44:45]
	ds_read2_b64 v[72:75], v48 offset1:1
	v_mov_b32_e32 v48, 0x1158
	s_waitcnt lgkmcnt(0)
	v_fma_f64 v[46:47], -v[34:35], v[72:73], v[46:47]
	v_fma_f64 v[46:47], -v[36:37], v[58:59], v[46:47]
	ds_read_b128 v[58:61], v82 offset:1984
	s_waitcnt lgkmcnt(0)
	v_fma_f64 v[44:45], -v[16:17], v[58:59], v[44:45]
	v_fma_f64 v[44:45], -v[18:19], v[76:77], v[44:45]
	ds_read2_b64 v[76:79], v48 offset1:1
	ds_read_b128 v[48:51], v82 offset:2432
	s_waitcnt lgkmcnt(1)
	v_fma_f64 v[46:47], -v[38:39], v[76:77], v[46:47]
	s_waitcnt lgkmcnt(0)
	v_fma_f64 v[44:45], -v[20:21], v[48:49], v[44:45]
	v_fma_f64 v[46:47], -v[40:41], v[85:86], v[46:47]
	;; [unrolled: 1-line block ×3, first 2 shown]
	v_mov_b32_e32 v44, 0x1318
	ds_read2_b64 v[62:65], v44 offset1:1
	s_waitcnt lgkmcnt(0)
	v_fma_f64 v[52:53], -v[42:43], v[62:63], v[46:47]
	ds_read_b128 v[44:47], v82 offset:5104
	s_waitcnt lgkmcnt(0)
	v_mul_f64 v[44:45], v[44:45], v[83:84]
	ds_read2_b64 v[83:86], v82 offset0:53 offset1:54
	v_fma_f64 v[58:59], -v[44:45], v[46:47], v[52:53]
	ds_read_b128 v[52:55], v82 offset:2880
	s_waitcnt lgkmcnt(0)
	v_fma_f64 v[46:47], -v[24:25], v[52:53], v[48:49]
	v_fma_f64 v[62:63], -v[26:27], v[97:98], v[46:47]
	v_mul_f64 v[46:47], v[0:1], v[89:90]
	ds_read_b128 v[87:90], v82 offset:4672
	v_fma_f64 v[52:53], s[0:1], v[93:94], -v[46:47]
	ds_read_b128 v[46:49], v82 offset:3328
	global_load_dwordx4 v[91:94], v[80:81], off offset:208
	v_fma_f64 v[52:53], -v[2:3], v[83:84], v[52:53]
	v_fma_f64 v[52:53], -v[4:5], v[66:67], v[52:53]
	ds_read_b128 v[66:69], v82 offset:3776
	s_waitcnt lgkmcnt(1)
	v_fma_f64 v[46:47], -v[28:29], v[46:47], v[62:63]
	v_fma_f64 v[46:47], -v[30:31], v[101:102], v[46:47]
	s_waitcnt lgkmcnt(0)
	v_fma_f64 v[46:47], -v[32:33], v[66:67], v[46:47]
	v_fma_f64 v[46:47], -v[34:35], v[74:75], v[46:47]
	ds_read2_b64 v[72:75], v82 offset0:109 offset1:110
	s_waitcnt lgkmcnt(0)
	v_fma_f64 v[52:53], -v[6:7], v[72:73], v[52:53]
	v_fma_f64 v[52:53], -v[8:9], v[70:71], v[52:53]
	ds_read_b128 v[70:73], v82 offset:4224
	s_waitcnt lgkmcnt(0)
	v_fma_f64 v[46:47], -v[36:37], v[70:71], v[46:47]
	v_fma_f64 v[46:47], -v[38:39], v[78:79], v[46:47]
	ds_read2_b64 v[76:79], v82 offset0:165 offset1:166
	v_fma_f64 v[46:47], -v[40:41], v[87:88], v[46:47]
	v_fma_f64 v[66:67], -v[42:43], v[64:65], v[46:47]
	ds_read2_b64 v[62:65], v82 offset0:221 offset1:222
	s_waitcnt lgkmcnt(1)
	v_fma_f64 v[52:53], -v[10:11], v[76:77], v[52:53]
	v_fma_f64 v[52:53], -v[12:13], v[56:57], v[52:53]
	s_waitcnt lgkmcnt(0)
	v_fma_f64 v[46:47], -v[14:15], v[62:63], v[52:53]
	v_fma_f64 v[52:53], -v[16:17], v[60:61], v[46:47]
	v_mov_b32_e32 v46, 0x14d8
	ds_read2_b64 v[60:63], v46 offset1:1
	s_waitcnt lgkmcnt(0)
	v_mul_f64 v[46:47], v[60:61], v[58:59]
	ds_read_b128 v[56:59], v82 offset:5120
	s_waitcnt lgkmcnt(0)
	v_fma_f64 v[56:57], -v[44:45], v[56:57], v[66:67]
	v_fma_f64 v[87:88], -v[46:47], v[62:63], v[56:57]
	v_mov_b32_e32 v56, 0x8a8
	ds_read2_b64 v[60:63], v56 offset1:1
	s_waitcnt lgkmcnt(0)
	v_fma_f64 v[52:53], -v[18:19], v[60:61], v[52:53]
	v_mov_b32_e32 v60, 0xa68
	v_fma_f64 v[56:57], -v[20:21], v[50:51], v[52:53]
	ds_read_b128 v[50:53], v82 offset:208
	s_waitcnt lgkmcnt(0)
	v_mul_f64 v[50:51], v[0:1], v[50:51]
	v_mul_f64 v[52:53], v[0:1], v[52:53]
	s_waitcnt vmcnt(0)
	v_fma_f64 v[50:51], s[0:1], v[91:92], -v[50:51]
	v_fma_f64 v[50:51], -v[2:3], v[85:86], v[50:51]
	ds_read2_b64 v[83:86], v60 offset1:1
	s_waitcnt lgkmcnt(0)
	v_fma_f64 v[56:57], -v[22:23], v[83:84], v[56:57]
	v_fma_f64 v[60:61], -v[24:25], v[54:55], v[56:57]
	ds_read_b128 v[54:57], v82 offset:656
	s_waitcnt lgkmcnt(0)
	v_fma_f64 v[50:51], -v[4:5], v[54:55], v[50:51]
	v_fma_f64 v[54:55], -v[6:7], v[74:75], v[50:51]
	v_mov_b32_e32 v50, 0xc28
	ds_read2_b64 v[74:77], v50 offset1:1
	s_waitcnt lgkmcnt(0)
	v_fma_f64 v[50:51], -v[26:27], v[74:75], v[60:61]
	v_fma_f64 v[60:61], s[0:1], v[93:94], -v[52:53]
	ds_read_b128 v[91:94], v82 offset:2000
	v_fma_f64 v[70:71], -v[28:29], v[48:49], v[50:51]
	ds_read_b128 v[48:51], v82 offset:1104
	s_waitcnt lgkmcnt(0)
	v_fma_f64 v[48:49], -v[8:9], v[48:49], v[54:55]
	ds_read_b128 v[52:55], v82 offset:1552
	v_fma_f64 v[48:49], -v[10:11], v[78:79], v[48:49]
	s_waitcnt lgkmcnt(0)
	v_fma_f64 v[48:49], -v[12:13], v[52:53], v[48:49]
	v_fma_f64 v[48:49], -v[14:15], v[64:65], v[48:49]
	ds_read2_b64 v[64:67], v82 offset0:55 offset1:111
	s_waitcnt lgkmcnt(0)
	v_fma_f64 v[52:53], -v[2:3], v[64:65], v[60:61]
	v_fma_f64 v[48:49], -v[16:17], v[91:92], v[48:49]
	;; [unrolled: 1-line block ×5, first 2 shown]
	v_mov_b32_e32 v52, 0xde8
	ds_read2_b64 v[60:63], v52 offset1:1
	ds_read2_b64 v[64:67], v82 offset0:167 offset1:223
	s_waitcnt lgkmcnt(1)
	v_fma_f64 v[52:53], -v[30:31], v[60:61], v[70:71]
	v_fma_f64 v[60:61], -v[32:33], v[68:69], v[52:53]
	;; [unrolled: 1-line block ×3, first 2 shown]
	ds_read_b128 v[48:51], v82 offset:2448
	s_waitcnt lgkmcnt(0)
	v_fma_f64 v[48:49], -v[20:21], v[48:49], v[56:57]
	v_fma_f64 v[52:53], -v[10:11], v[64:65], v[52:53]
	;; [unrolled: 1-line block ×4, first 2 shown]
	v_mov_b32_e32 v52, 0xfa8
	ds_read2_b64 v[52:55], v52 offset1:1
	v_fma_f64 v[56:57], -v[14:15], v[66:67], v[56:57]
	ds_read_b128 v[64:67], v82 offset:2896
	s_waitcnt lgkmcnt(1)
	v_fma_f64 v[52:53], -v[34:35], v[52:53], v[60:61]
	s_waitcnt lgkmcnt(0)
	v_fma_f64 v[48:49], -v[24:25], v[64:65], v[48:49]
	v_fma_f64 v[52:53], -v[36:37], v[72:73], v[52:53]
	v_add_u32_e64 v72, s4, 0
	ds_read2_b64 v[68:71], v72 offset0:23 offset1:79
	s_movk_i32 s4, 0xc00
	v_fma_f64 v[60:61], -v[26:27], v[76:77], v[48:49]
	v_fma_f64 v[48:49], -v[16:17], v[93:94], v[56:57]
	s_waitcnt lgkmcnt(0)
	v_fma_f64 v[48:49], -v[18:19], v[68:69], v[48:49]
	v_fma_f64 v[56:57], -v[20:21], v[50:51], v[48:49]
	ds_read_b128 v[48:51], v82 offset:3344
	s_waitcnt lgkmcnt(0)
	v_fma_f64 v[48:49], -v[28:29], v[48:49], v[60:61]
	v_mov_b32_e32 v60, 0x1168
	v_fma_f64 v[56:57], -v[22:23], v[70:71], v[56:57]
	v_fma_f64 v[48:49], -v[30:31], v[62:63], v[48:49]
	ds_read2_b64 v[60:63], v60 offset1:1
	v_fma_f64 v[56:57], -v[24:25], v[66:67], v[56:57]
	ds_read_b128 v[64:67], v82 offset:3792
	s_waitcnt lgkmcnt(1)
	v_fma_f64 v[52:53], -v[38:39], v[60:61], v[52:53]
	s_waitcnt lgkmcnt(0)
	v_fma_f64 v[48:49], -v[32:33], v[64:65], v[48:49]
	v_fma_f64 v[60:61], -v[40:41], v[89:90], v[52:53]
	;; [unrolled: 1-line block ×3, first 2 shown]
	ds_read2_b64 v[52:55], v72 offset0:135 offset1:191
	s_waitcnt lgkmcnt(0)
	v_fma_f64 v[48:49], -v[26:27], v[52:53], v[56:57]
	v_fma_f64 v[52:53], -v[28:29], v[50:51], v[48:49]
	v_mov_b32_e32 v48, 0x1328
	ds_read2_b64 v[48:51], v48 offset1:1
	s_waitcnt lgkmcnt(0)
	v_fma_f64 v[48:49], -v[42:43], v[48:49], v[60:61]
	v_fma_f64 v[60:61], -v[44:45], v[58:59], v[48:49]
	;; [unrolled: 1-line block ×3, first 2 shown]
	ds_read_b128 v[52:55], v82 offset:4240
	s_waitcnt lgkmcnt(0)
	v_fma_f64 v[52:53], -v[36:37], v[52:53], v[64:65]
	v_fma_f64 v[48:49], -v[32:33], v[66:67], v[48:49]
	;; [unrolled: 1-line block ×3, first 2 shown]
	v_add_u32_e64 v52, s4, 0
	ds_read2_b64 v[56:59], v52 offset0:119 offset1:175
	s_movk_i32 s4, 0x1000
	s_waitcnt lgkmcnt(0)
	v_fma_f64 v[48:49], -v[34:35], v[56:57], v[48:49]
	v_fma_f64 v[56:57], -v[36:37], v[54:55], v[48:49]
	ds_read_b128 v[52:55], v82 offset:4688
	s_waitcnt lgkmcnt(0)
	v_fma_f64 v[48:49], -v[40:41], v[52:53], v[62:63]
	v_mov_b32_e32 v52, 0x14e8
	v_fma_f64 v[64:65], -v[38:39], v[58:59], v[56:57]
	ds_read2_b64 v[56:59], v52 offset1:1
	v_fma_f64 v[62:63], -v[42:43], v[50:51], v[48:49]
	ds_read_b128 v[48:51], v82 offset:5568
	s_waitcnt lgkmcnt(1)
	v_fma_f64 v[52:53], -v[46:47], v[56:57], v[60:61]
	v_fma_f64 v[60:61], -v[40:41], v[54:55], v[64:65]
	v_add_u32_e64 v54, s4, 0
	ds_read2_b64 v[54:57], v54 offset0:103 offset1:159
	s_waitcnt lgkmcnt(1)
	v_mul_f64 v[48:49], v[48:49], v[87:88]
	s_movk_i32 s4, 0x1400
	s_waitcnt lgkmcnt(0)
	v_fma_f64 v[54:55], -v[42:43], v[54:55], v[60:61]
	v_fma_f64 v[66:67], -v[48:49], v[50:51], v[52:53]
	ds_read_b128 v[50:53], v82 offset:5136
	s_waitcnt lgkmcnt(0)
	v_fma_f64 v[50:51], -v[44:45], v[50:51], v[62:63]
	v_fma_f64 v[64:65], -v[44:45], v[52:53], v[54:55]
	ds_read_b128 v[52:55], v82 offset:5584
	v_fma_f64 v[62:63], -v[46:47], v[58:59], v[50:51]
	v_mov_b32_e32 v50, 0x16a8
	ds_read2_b64 v[58:61], v50 offset1:1
	v_fma_f64 v[56:57], -v[46:47], v[56:57], v[64:65]
	s_waitcnt lgkmcnt(0)
	v_mul_f64 v[50:51], v[58:59], v[66:67]
	v_fma_f64 v[52:53], -v[48:49], v[52:53], v[62:63]
	v_fma_f64 v[62:63], -v[48:49], v[54:55], v[56:57]
	v_add_u32_e64 v54, s4, 0
	ds_read2_b64 v[54:57], v54 offset0:87 offset1:143
	s_mov_b32 s4, 28
	v_fma_f64 v[52:53], -v[50:51], v[60:61], v[52:53]
	ds_read_b128 v[58:61], v82 offset:6032
	global_store_dwordx4 v[80:81], v[0:3], off
	global_store_dwordx4 v[80:81], v[4:7], off offset:16
	global_store_dwordx4 v[80:81], v[8:11], off offset:32
	;; [unrolled: 1-line block ×5, first 2 shown]
	s_waitcnt lgkmcnt(1)
	v_fma_f64 v[54:55], -v[50:51], v[54:55], v[62:63]
	s_waitcnt lgkmcnt(0)
	v_mul_f64 v[52:53], v[58:59], v[52:53]
	v_fma_f64 v[54:55], -v[52:53], v[60:61], v[54:55]
	v_mul_f64 v[54:55], v[56:57], v[54:55]
	global_store_dwordx4 v[80:81], v[24:27], off offset:96
	global_store_dwordx4 v[80:81], v[28:31], off offset:112
	;; [unrolled: 1-line block ×8, first 2 shown]
.LBB100_33:
	s_cmp_lt_i32 s4, s24
	s_cbranch_scc0 .LBB100_44
; %bb.34:
	s_add_i32 s5, s4, 23
	s_cmp_ge_u32 s5, s24
	s_cbranch_scc1 .LBB100_39
; %bb.35:
	s_lshl_b32 s6, s4, 3
	v_add_co_u32_e32 v40, vcc, s6, v80
	v_addc_co_u32_e32 v41, vcc, 0, v81, vcc
	global_load_dwordx4 v[0:3], v[40:41], off
	global_load_dwordx4 v[6:9], v[40:41], off offset:16
	global_load_dwordx4 v[10:13], v[40:41], off offset:32
	;; [unrolled: 1-line block ×11, first 2 shown]
	s_andn2_b64 vcc, exec, s[2:3]
	s_waitcnt vmcnt(11)
	v_mul_f64 v[0:1], s[0:1], v[0:1]
	v_mul_f64 v[4:5], s[0:1], v[2:3]
	s_waitcnt vmcnt(10)
	v_mul_f64 v[2:3], s[0:1], v[6:7]
	v_mul_f64 v[8:9], s[0:1], v[8:9]
	s_waitcnt vmcnt(9)
	v_mul_f64 v[82:83], s[0:1], v[10:11]
	v_mul_f64 v[78:79], s[0:1], v[12:13]
	s_waitcnt vmcnt(8)
	v_mul_f64 v[76:77], s[0:1], v[14:15]
	v_mul_f64 v[74:75], s[0:1], v[16:17]
	s_waitcnt vmcnt(7)
	v_mul_f64 v[70:71], s[0:1], v[18:19]
	v_mul_f64 v[72:73], s[0:1], v[20:21]
	s_waitcnt vmcnt(6)
	v_mul_f64 v[68:69], s[0:1], v[22:23]
	v_mul_f64 v[66:67], s[0:1], v[24:25]
	s_waitcnt vmcnt(5)
	v_mul_f64 v[64:65], s[0:1], v[26:27]
	v_mul_f64 v[62:63], s[0:1], v[28:29]
	s_waitcnt vmcnt(4)
	v_mul_f64 v[60:61], s[0:1], v[30:31]
	v_mul_f64 v[58:59], s[0:1], v[32:33]
	s_waitcnt vmcnt(3)
	v_mul_f64 v[56:57], s[0:1], v[34:35]
	v_mul_f64 v[54:55], s[0:1], v[36:37]
	s_waitcnt vmcnt(2)
	v_mul_f64 v[52:53], s[0:1], v[42:43]
	v_mul_f64 v[50:51], s[0:1], v[44:45]
	s_waitcnt vmcnt(1)
	v_mul_f64 v[48:49], s[0:1], v[84:85]
	v_mul_f64 v[46:47], s[0:1], v[86:87]
	s_waitcnt vmcnt(0)
	v_mul_f64 v[44:45], s[0:1], v[88:89]
	v_mul_f64 v[42:43], s[0:1], v[90:91]
	s_cbranch_vccnz .LBB100_38
; %bb.36:
	v_mov_b32_e32 v6, v80
	v_mov_b32_e32 v7, v81
	s_mov_b32 s2, s4
.LBB100_37:                             ; =>This Inner Loop Header: Depth=1
	global_load_dwordx2 v[38:39], v[6:7], off
	v_mov_b32_e32 v100, s6
	ds_read_b128 v[10:13], v100
	ds_read_b128 v[14:17], v100 offset:16
	ds_read_b128 v[18:21], v100 offset:32
	;; [unrolled: 1-line block ×11, first 2 shown]
	s_add_i32 s2, s2, -1
	s_addk_i32 s6, 0xe0
	v_add_co_u32_e32 v6, vcc, 8, v6
	s_cmp_lg_u32 s2, 0
	v_addc_co_u32_e32 v7, vcc, 0, v7, vcc
	s_waitcnt vmcnt(0) lgkmcnt(11)
	v_fma_f64 v[0:1], -v[38:39], v[10:11], v[0:1]
	v_fma_f64 v[4:5], -v[38:39], v[12:13], v[4:5]
	s_waitcnt lgkmcnt(10)
	v_fma_f64 v[2:3], -v[38:39], v[14:15], v[2:3]
	v_fma_f64 v[8:9], -v[38:39], v[16:17], v[8:9]
	s_waitcnt lgkmcnt(9)
	;; [unrolled: 3-line block ×11, first 2 shown]
	v_fma_f64 v[44:45], -v[38:39], v[100:101], v[44:45]
	v_fma_f64 v[42:43], -v[38:39], v[102:103], v[42:43]
	s_cbranch_scc1 .LBB100_37
.LBB100_38:
	s_lshl_b32 s2, s4, 3
	s_mul_i32 s3, s4, 0xe0
	s_add_i32 s2, s2, s3
	v_mov_b32_e32 v88, s2
	ds_read_b128 v[10:13], v88
	ds_read_b128 v[14:17], v88 offset:16
	s_mul_i32 s3, s4, 0xe8
	s_add_i32 s6, s3, 0x828
	v_mov_b32_e32 v91, s6
	s_waitcnt lgkmcnt(1)
	v_mul_f64 v[0:1], v[10:11], v[0:1]
	v_mov_b32_e32 v89, s3
	s_add_i32 s7, s3, 0x9f8
	s_add_i32 s6, s2, 0x838
	v_mov_b32_e32 v90, s7
	s_add_i32 s7, s2, 0x848
	s_add_i32 s4, s4, 24
	v_fma_f64 v[18:19], -v[0:1], v[12:13], v[4:5]
	ds_read2_b64 v[10:13], v88 offset0:29 offset1:30
	ds_read2_b64 v[4:7], v88 offset0:31 offset1:32
	s_waitcnt lgkmcnt(2)
	v_fma_f64 v[14:15], -v[0:1], v[14:15], v[2:3]
	v_fma_f64 v[86:87], -v[0:1], v[16:17], v[8:9]
	ds_read_b128 v[28:31], v88 offset:32
	ds_read_b128 v[20:23], v88 offset:48
	;; [unrolled: 1-line block ×3, first 2 shown]
	s_waitcnt lgkmcnt(2)
	v_fma_f64 v[28:29], -v[0:1], v[28:29], v[82:83]
	v_mul_f64 v[2:3], v[10:11], v[18:19]
	v_fma_f64 v[112:113], -v[0:1], v[30:31], v[78:79]
	s_waitcnt lgkmcnt(1)
	v_fma_f64 v[20:21], -v[0:1], v[20:21], v[76:77]
	v_fma_f64 v[74:75], -v[0:1], v[22:23], v[74:75]
	;; [unrolled: 1-line block ×5, first 2 shown]
	ds_read2_b64 v[16:19], v88 offset0:87 offset1:88
	ds_read2_b64 v[8:11], v88 offset0:89 offset1:90
	ds_read_b128 v[24:27], v88 offset:480
	ds_read_b128 v[12:15], v88 offset:496
	ds_read2_b64 v[36:39], v88 offset0:49 offset1:50
	s_waitcnt lgkmcnt(5)
	v_mul_f64 v[4:5], v[32:33], v[84:85]
	ds_read_b128 v[82:85], v88 offset:928
	ds_read_b128 v[92:95], v88 offset:944
	ds_read_b128 v[96:99], v88 offset:1392
	ds_read2_b64 v[100:103], v88 offset0:33 offset1:34
	ds_read2_b64 v[104:107], v88 offset0:35 offset1:36
	;; [unrolled: 1-line block ×4, first 2 shown]
	s_waitcnt lgkmcnt(3)
	v_fma_f64 v[120:121], -v[2:3], v[100:101], v[112:113]
	s_waitcnt lgkmcnt(2)
	v_fma_f64 v[74:75], -v[2:3], v[104:105], v[74:75]
	v_fma_f64 v[86:87], -v[4:5], v[34:35], v[86:87]
	;; [unrolled: 1-line block ×3, first 2 shown]
	ds_read_b128 v[32:35], v88 offset:64
	ds_read_b128 v[76:79], v88 offset:80
	ds_read2_b64 v[112:115], v88 offset0:91 offset1:92
	ds_read2_b64 v[116:119], v88 offset0:93 offset1:94
	v_fma_f64 v[120:121], -v[4:5], v[26:27], v[120:121]
	s_waitcnt lgkmcnt(3)
	v_fma_f64 v[32:33], -v[0:1], v[32:33], v[70:71]
	v_fma_f64 v[124:125], -v[0:1], v[34:35], v[72:73]
	v_mul_f64 v[6:7], v[16:17], v[86:87]
	v_fma_f64 v[86:87], -v[2:3], v[102:103], v[20:21]
	ds_read2_b64 v[20:23], v88 offset0:203 offset1:204
	ds_read2_b64 v[100:103], v88 offset0:205 offset1:206
	s_waitcnt lgkmcnt(4)
	v_fma_f64 v[126:127], -v[0:1], v[76:77], v[68:69]
	v_fma_f64 v[78:79], -v[0:1], v[78:79], v[66:67]
	;; [unrolled: 1-line block ×7, first 2 shown]
	ds_read_b128 v[16:19], v88 offset:512
	ds_read_b128 v[24:27], v88 offset:528
	;; [unrolled: 1-line block ×3, first 2 shown]
	ds_read2_b64 v[32:35], v88 offset0:37 offset1:38
	ds_read2_b64 v[66:69], v88 offset0:39 offset1:40
	ds_read_b128 v[74:77], v88 offset:112
	s_waitcnt lgkmcnt(5)
	v_fma_f64 v[16:17], -v[4:5], v[16:17], v[104:105]
	v_mul_f64 v[8:9], v[82:83], v[122:123]
	s_waitcnt lgkmcnt(3)
	v_fma_f64 v[64:65], -v[0:1], v[70:71], v[64:65]
	v_fma_f64 v[10:11], -v[6:7], v[10:11], v[12:13]
	s_waitcnt lgkmcnt(2)
	v_fma_f64 v[32:33], -v[2:3], v[32:33], v[124:125]
	v_fma_f64 v[112:113], -v[6:7], v[112:113], v[106:107]
	;; [unrolled: 1-line block ×3, first 2 shown]
	s_waitcnt lgkmcnt(1)
	v_fma_f64 v[78:79], -v[2:3], v[66:67], v[78:79]
	v_fma_f64 v[114:115], -v[6:7], v[114:115], v[16:17]
	;; [unrolled: 1-line block ×3, first 2 shown]
	ds_read_b128 v[12:15], v88 offset:960
	ds_read_b128 v[82:85], v88 offset:976
	v_fma_f64 v[120:121], -v[8:9], v[92:93], v[10:11]
	v_fma_f64 v[32:33], -v[4:5], v[18:19], v[32:33]
	;; [unrolled: 1-line block ×5, first 2 shown]
	s_waitcnt lgkmcnt(1)
	v_fma_f64 v[114:115], -v[8:9], v[12:13], v[114:115]
	v_mul_f64 v[10:11], v[28:29], v[70:71]
	ds_read_b128 v[64:67], v88 offset:1408
	ds_read_b128 v[68:71], v88 offset:1424
	;; [unrolled: 1-line block ×4, first 2 shown]
	v_fma_f64 v[116:117], -v[6:7], v[116:117], v[32:33]
	v_fma_f64 v[78:79], -v[4:5], v[26:27], v[78:79]
	ds_read2_b64 v[92:95], v88 offset0:95 offset1:96
	ds_read2_b64 v[32:35], v88 offset0:161 offset1:162
	v_fma_f64 v[72:73], -v[0:1], v[72:73], v[62:63]
	v_fma_f64 v[120:121], -v[10:11], v[30:31], v[120:121]
	;; [unrolled: 1-line block ×3, first 2 shown]
	ds_read_b128 v[28:31], v88 offset:544
	v_fma_f64 v[14:15], -v[8:9], v[14:15], v[116:117]
	s_waitcnt lgkmcnt(2)
	v_fma_f64 v[78:79], -v[6:7], v[92:93], v[78:79]
	v_fma_f64 v[74:75], -v[0:1], v[74:75], v[60:61]
	;; [unrolled: 1-line block ×3, first 2 shown]
	v_mul_f64 v[12:13], v[96:97], v[120:121]
	v_fma_f64 v[120:121], -v[6:7], v[118:119], v[24:25]
	ds_read_b128 v[24:27], v88 offset:560
	s_waitcnt lgkmcnt(1)
	v_fma_f64 v[28:29], -v[4:5], v[28:29], v[86:87]
	v_fma_f64 v[86:87], -v[10:11], v[110:111], v[114:115]
	ds_read2_b64 v[108:111], v88 offset0:149 offset1:150
	ds_read2_b64 v[112:115], v88 offset0:151 offset1:152
	;; [unrolled: 1-line block ×3, first 2 shown]
	v_fma_f64 v[78:79], -v[8:9], v[84:85], v[78:79]
	v_fma_f64 v[122:123], -v[12:13], v[98:99], v[122:123]
	v_fma_f64 v[92:93], -v[8:9], v[82:83], v[120:121]
	s_waitcnt lgkmcnt(2)
	v_fma_f64 v[108:109], -v[10:11], v[108:109], v[14:15]
	v_fma_f64 v[28:29], -v[6:7], v[94:95], v[28:29]
	;; [unrolled: 1-line block ×3, first 2 shown]
	ds_read2_b64 v[82:85], v88 offset0:43 offset1:44
	s_waitcnt lgkmcnt(1)
	v_fma_f64 v[72:73], -v[2:3], v[116:117], v[72:73]
	ds_read2_b64 v[96:99], v88 offset0:97 offset1:98
	ds_read_b128 v[62:65], v88 offset:992
	v_mul_f64 v[14:15], v[20:21], v[122:123]
	v_fma_f64 v[116:117], -v[10:11], v[110:111], v[92:93]
	v_fma_f64 v[66:67], -v[12:13], v[66:67], v[108:109]
	;; [unrolled: 1-line block ×3, first 2 shown]
	s_waitcnt lgkmcnt(0)
	v_fma_f64 v[62:63], -v[8:9], v[62:63], v[28:29]
	v_fma_f64 v[72:73], -v[4:5], v[30:31], v[72:73]
	ds_read_b128 v[92:95], v88 offset:1008
	v_fma_f64 v[74:75], -v[2:3], v[118:119], v[74:75]
	v_fma_f64 v[86:87], -v[14:15], v[22:23], v[86:87]
	v_fma_f64 v[112:113], -v[12:13], v[68:69], v[116:117]
	v_fma_f64 v[100:101], -v[14:15], v[100:101], v[66:67]
	v_fma_f64 v[78:79], -v[12:13], v[70:71], v[78:79]
	ds_read2_b64 v[20:23], v91 offset1:1
	ds_read_b128 v[108:111], v89 offset:2320
	v_fma_f64 v[96:97], -v[6:7], v[96:97], v[72:73]
	ds_read_b128 v[28:31], v88 offset:1440
	ds_read2_b64 v[66:69], v88 offset0:153 offset1:154
	v_mul_f64 v[16:17], v[16:17], v[86:87]
	v_fma_f64 v[86:87], -v[10:11], v[114:115], v[62:63]
	v_fma_f64 v[112:113], -v[14:15], v[102:103], v[112:113]
	;; [unrolled: 1-line block ×3, first 2 shown]
	v_mov_b32_e32 v91, s6
	v_fma_f64 v[64:65], -v[8:9], v[64:65], v[96:97]
	v_fma_f64 v[58:59], -v[2:3], v[82:83], v[58:59]
	s_add_i32 s6, s2, 0xa08
	v_fma_f64 v[18:19], -v[16:17], v[18:19], v[100:101]
	ds_read2_b64 v[60:63], v88 offset0:207 offset1:208
	ds_read2_b64 v[70:73], v88 offset0:209 offset1:210
	ds_read_b128 v[100:103], v88 offset:1456
	s_waitcnt lgkmcnt(4)
	v_fma_f64 v[28:29], -v[12:13], v[28:29], v[86:87]
	v_fma_f64 v[24:25], -v[6:7], v[98:99], v[24:25]
	s_waitcnt lgkmcnt(2)
	v_fma_f64 v[60:61], -v[14:15], v[60:61], v[78:79]
	v_fma_f64 v[78:79], -v[16:17], v[104:105], v[112:113]
	;; [unrolled: 1-line block ×3, first 2 shown]
	ds_read2_b64 v[112:115], v88 offset0:155 offset1:156
	v_mul_f64 v[18:19], v[20:21], v[18:19]
	v_mov_b32_e32 v96, s6
	v_fma_f64 v[28:29], -v[14:15], v[62:63], v[28:29]
	v_fma_f64 v[24:25], -v[8:9], v[92:93], v[24:25]
	;; [unrolled: 1-line block ×3, first 2 shown]
	s_add_i32 s6, s3, 0xbc8
	v_fma_f64 v[30:31], -v[12:13], v[30:31], v[74:75]
	v_fma_f64 v[78:79], -v[18:19], v[22:23], v[78:79]
	ds_read_b128 v[20:23], v88 offset:1888
	ds_read_b128 v[60:63], v88 offset:1904
	ds_read2_b64 v[64:67], v91 offset1:1
	ds_read2_b64 v[104:107], v90 offset1:1
	v_mov_b32_e32 v90, s7
	s_waitcnt lgkmcnt(3)
	v_fma_f64 v[28:29], -v[16:17], v[20:21], v[28:29]
	v_fma_f64 v[24:25], -v[10:11], v[68:69], v[24:25]
	s_waitcnt lgkmcnt(1)
	v_fma_f64 v[64:65], -v[18:19], v[64:65], v[86:87]
	v_fma_f64 v[70:71], -v[14:15], v[70:71], v[30:31]
	v_mul_f64 v[20:21], v[108:109], v[78:79]
	v_fma_f64 v[78:79], -v[18:19], v[66:67], v[28:29]
	v_fma_f64 v[82:83], -v[16:17], v[22:23], v[70:71]
	;; [unrolled: 1-line block ×3, first 2 shown]
	ds_read_b128 v[28:31], v88 offset:2336
	ds_read_b128 v[64:67], v88 offset:2352
	ds_read2_b64 v[74:77], v88 offset0:99 offset1:100
	ds_read2_b64 v[90:93], v90 offset1:1
	ds_read_b128 v[108:111], v89 offset:3248
	s_waitcnt lgkmcnt(4)
	v_fma_f64 v[78:79], -v[20:21], v[28:29], v[78:79]
	ds_read_b128 v[68:71], v88 offset:128
	v_mul_f64 v[22:23], v[104:105], v[86:87]
	v_fma_f64 v[86:87], -v[4:5], v[26:27], v[58:59]
	s_waitcnt lgkmcnt(2)
	v_fma_f64 v[82:83], -v[18:19], v[90:91], v[82:83]
	v_fma_f64 v[90:91], -v[12:13], v[100:101], v[24:25]
	ds_read2_b64 v[26:29], v96 offset1:1
	ds_read_b128 v[96:99], v88 offset:144
	v_fma_f64 v[78:79], -v[22:23], v[106:107], v[78:79]
	ds_read_b128 v[104:107], v89 offset:2784
	v_fma_f64 v[74:75], -v[6:7], v[74:75], v[86:87]
	v_fma_f64 v[30:31], -v[20:21], v[30:31], v[82:83]
	s_waitcnt lgkmcnt(0)
	v_mul_f64 v[24:25], v[104:105], v[78:79]
	v_fma_f64 v[78:79], -v[14:15], v[72:73], v[90:91]
	v_fma_f64 v[86:87], -v[8:9], v[94:95], v[74:75]
	ds_read_b128 v[72:75], v88 offset:576
	v_fma_f64 v[68:69], -v[0:1], v[68:69], v[56:57]
	v_fma_f64 v[26:27], -v[22:23], v[26:27], v[30:31]
	ds_read2_b64 v[56:59], v88 offset0:101 offset1:102
	v_fma_f64 v[54:55], -v[0:1], v[70:71], v[54:55]
	v_fma_f64 v[60:61], -v[16:17], v[60:61], v[78:79]
	;; [unrolled: 1-line block ×4, first 2 shown]
	ds_read_b128 v[82:85], v88 offset:592
	v_fma_f64 v[60:61], -v[18:19], v[92:93], v[60:61]
	s_waitcnt lgkmcnt(2)
	v_fma_f64 v[30:31], -v[4:5], v[72:73], v[68:69]
	v_fma_f64 v[68:69], -v[10:11], v[112:113], v[86:87]
	v_mov_b32_e32 v72, s6
	ds_read2_b64 v[104:107], v72 offset1:1
	s_add_i32 s6, s2, 0x858
	v_fma_f64 v[60:61], -v[20:21], v[64:65], v[60:61]
	v_fma_f64 v[50:51], -v[0:1], v[98:99], v[50:51]
	;; [unrolled: 1-line block ×4, first 2 shown]
	ds_read_b128 v[76:79], v88 offset:1024
	ds_read2_b64 v[90:93], v88 offset0:211 offset1:212
	v_mov_b32_e32 v68, s6
	ds_read_b128 v[100:103], v88 offset:1040
	ds_read2_b64 v[116:119], v68 offset1:1
	ds_read2_b64 v[68:71], v88 offset0:45 offset1:46
	ds_read2_b64 v[120:123], v88 offset0:213 offset1:214
	v_fma_f64 v[86:87], -v[22:23], v[28:29], v[60:61]
	s_waitcnt lgkmcnt(5)
	v_fma_f64 v[30:31], -v[8:9], v[76:77], v[30:31]
	s_waitcnt lgkmcnt(4)
	v_fma_f64 v[64:65], -v[14:15], v[90:91], v[72:73]
	s_waitcnt lgkmcnt(1)
	v_fma_f64 v[68:69], -v[2:3], v[68:69], v[54:55]
	v_fma_f64 v[76:77], -v[0:1], v[96:97], v[52:53]
	ds_read_b128 v[52:55], v88 offset:2800
	v_mul_f64 v[26:27], v[104:105], v[26:27]
	s_add_i32 s6, s2, 0xa18
	v_fma_f64 v[72:73], -v[10:11], v[114:115], v[30:31]
	v_fma_f64 v[64:65], -v[16:17], v[62:63], v[64:65]
	s_waitcnt lgkmcnt(0)
	v_fma_f64 v[52:53], -v[24:25], v[52:53], v[86:87]
	ds_read_b128 v[28:31], v88 offset:1472
	v_fma_f64 v[74:75], -v[4:5], v[74:75], v[68:69]
	ds_read_b128 v[60:63], v88 offset:1488
	ds_read2_b64 v[112:115], v88 offset0:47 offset1:48
	v_fma_f64 v[64:65], -v[18:19], v[116:117], v[64:65]
	v_fma_f64 v[86:87], -v[26:27], v[106:107], v[52:53]
	;; [unrolled: 1-line block ×4, first 2 shown]
	ds_read_b128 v[64:67], v88 offset:1920
	s_waitcnt lgkmcnt(3)
	v_fma_f64 v[28:29], -v[12:13], v[28:29], v[72:73]
	v_fma_f64 v[72:73], -v[2:3], v[70:71], v[76:77]
	;; [unrolled: 1-line block ×3, first 2 shown]
	ds_read2_b64 v[76:79], v88 offset0:157 offset1:158
	v_mov_b32_e32 v56, s6
	s_add_i32 s6, s2, 0xbd8
	ds_read_b128 v[68:71], v88 offset:2816
	v_fma_f64 v[28:29], -v[14:15], v[92:93], v[28:29]
	v_fma_f64 v[82:83], -v[4:5], v[82:83], v[72:73]
	s_waitcnt lgkmcnt(1)
	v_fma_f64 v[76:77], -v[10:11], v[76:77], v[94:95]
	ds_read_b128 v[72:75], v88 offset:1936
	ds_read2_b64 v[90:93], v56 offset1:1
	v_fma_f64 v[28:29], -v[16:17], v[64:65], v[28:29]
	v_fma_f64 v[64:65], -v[6:7], v[58:59], v[82:83]
	;; [unrolled: 1-line block ×5, first 2 shown]
	v_mov_b32_e32 v28, s6
	ds_read2_b64 v[94:97], v28 offset1:1
	ds_read_b128 v[28:31], v88 offset:2368
	v_fma_f64 v[76:77], -v[14:15], v[120:121], v[76:77]
	s_waitcnt lgkmcnt(2)
	v_fma_f64 v[52:53], -v[22:23], v[90:91], v[52:53]
	s_add_i32 s6, s2, 0x868
	ds_read2_b64 v[56:59], v88 offset0:159 offset1:160
	v_fma_f64 v[64:65], -v[10:11], v[78:79], v[64:65]
	s_waitcnt lgkmcnt(1)
	v_fma_f64 v[82:83], -v[20:21], v[28:29], v[82:83]
	v_mul_f64 v[28:29], v[108:109], v[86:87]
	v_fma_f64 v[76:77], -v[16:17], v[66:67], v[76:77]
	v_fma_f64 v[90:91], -v[24:25], v[54:55], v[52:53]
	ds_read_b128 v[52:55], v88 offset:2384
	v_fma_f64 v[60:61], -v[12:13], v[60:61], v[64:65]
	v_mov_b32_e32 v64, s6
	v_fma_f64 v[78:79], -v[22:23], v[92:93], v[82:83]
	ds_read2_b64 v[64:67], v64 offset1:1
	s_add_i32 s6, s3, 0xd98
	v_fma_f64 v[82:83], -v[26:27], v[94:95], v[90:91]
	v_fma_f64 v[50:51], -v[2:3], v[112:113], v[50:51]
	ds_read_b128 v[90:93], v88 offset:3264
	v_fma_f64 v[60:61], -v[14:15], v[122:123], v[60:61]
	s_waitcnt lgkmcnt(1)
	v_fma_f64 v[64:65], -v[18:19], v[64:65], v[76:77]
	v_fma_f64 v[68:69], -v[24:25], v[68:69], v[78:79]
	v_mov_b32_e32 v76, s6
	s_add_i32 s6, s2, 0xa28
	ds_read2_b64 v[76:79], v76 offset1:1
	v_fma_f64 v[82:83], -v[28:29], v[110:111], v[82:83]
	v_fma_f64 v[60:61], -v[16:17], v[72:73], v[60:61]
	;; [unrolled: 1-line block ×3, first 2 shown]
	v_mov_b32_e32 v64, s6
	v_fma_f64 v[68:69], -v[26:27], v[96:97], v[68:69]
	ds_read2_b64 v[94:97], v64 offset1:1
	s_add_i32 s6, s2, 0xbe8
	v_mov_b32_e32 v64, s6
	s_add_i32 s6, s2, 0xda8
	v_fma_f64 v[60:61], -v[18:19], v[66:67], v[60:61]
	s_waitcnt lgkmcnt(0)
	v_fma_f64 v[72:73], -v[22:23], v[94:95], v[30:31]
	v_mul_f64 v[30:31], v[76:77], v[82:83]
	v_fma_f64 v[76:77], -v[4:5], v[84:85], v[50:51]
	ds_read2_b64 v[64:67], v64 offset1:1
	ds_read_b128 v[82:85], v88 offset:2864
	v_fma_f64 v[86:87], -v[28:29], v[90:91], v[68:69]
	v_fma_f64 v[60:61], -v[20:21], v[52:53], v[60:61]
	ds_read2_b64 v[50:53], v88 offset0:103 offset1:104
	v_fma_f64 v[72:73], -v[24:25], v[70:71], v[72:73]
	ds_read2_b64 v[68:71], v88 offset0:105 offset1:106
	s_waitcnt lgkmcnt(1)
	v_fma_f64 v[50:51], -v[6:7], v[50:51], v[76:77]
	v_fma_f64 v[86:87], -v[30:31], v[78:79], v[86:87]
	;; [unrolled: 1-line block ×3, first 2 shown]
	ds_read_b128 v[76:79], v88 offset:2832
	ds_read_b128 v[94:97], v89 offset:3712
	v_fma_f64 v[64:65], -v[26:27], v[64:65], v[72:73]
	ds_read_b128 v[98:101], v88 offset:2848
	v_fma_f64 v[72:73], -v[8:9], v[102:103], v[50:51]
	ds_read_b128 v[102:105], v89 offset:4176
	s_waitcnt lgkmcnt(3)
	v_fma_f64 v[60:61], -v[24:25], v[76:77], v[60:61]
	s_waitcnt lgkmcnt(2)
	v_mul_f64 v[50:51], v[94:95], v[86:87]
	v_fma_f64 v[76:77], -v[28:29], v[92:93], v[64:65]
	v_mov_b32_e32 v64, s6
	ds_read2_b64 v[90:93], v64 offset1:1
	s_add_i32 s6, s3, 0xf68
	v_fma_f64 v[56:57], -v[10:11], v[56:57], v[72:73]
	v_fma_f64 v[72:73], -v[26:27], v[66:67], v[60:61]
	v_mov_b32_e32 v60, s6
	ds_read2_b64 v[64:67], v60 offset1:1
	ds_read_b128 v[106:109], v88 offset:3280
	s_waitcnt lgkmcnt(2)
	v_fma_f64 v[76:77], -v[30:31], v[90:91], v[76:77]
	s_add_i32 s6, s2, 0x878
	v_fma_f64 v[56:57], -v[12:13], v[62:63], v[56:57]
	ds_read_b128 v[60:63], v88 offset:3296
	s_waitcnt lgkmcnt(1)
	v_fma_f64 v[72:73], -v[28:29], v[106:107], v[72:73]
	v_fma_f64 v[76:77], -v[50:51], v[96:97], v[76:77]
	ds_read2_b64 v[94:97], v88 offset0:215 offset1:216
	v_fma_f64 v[86:87], -v[30:31], v[92:93], v[72:73]
	ds_read2_b64 v[90:93], v88 offset0:217 offset1:218
	s_waitcnt lgkmcnt(1)
	v_fma_f64 v[56:57], -v[14:15], v[94:95], v[56:57]
	v_fma_f64 v[56:57], -v[16:17], v[74:75], v[56:57]
	ds_read_b128 v[72:75], v88 offset:160
	ds_read_b128 v[110:113], v88 offset:176
	s_waitcnt lgkmcnt(1)
	v_fma_f64 v[48:49], -v[0:1], v[72:73], v[48:49]
	v_mov_b32_e32 v72, s6
	s_add_i32 s6, s2, 0xa38
	v_mov_b32_e32 v73, s6
	s_add_i32 s6, s2, 0xbf8
	v_fma_f64 v[48:49], -v[2:3], v[114:115], v[48:49]
	ds_read2_b64 v[114:117], v72 offset1:1
	ds_read2_b64 v[118:121], v73 offset1:1
	s_waitcnt lgkmcnt(1)
	v_fma_f64 v[56:57], -v[18:19], v[114:115], v[56:57]
	v_fma_f64 v[72:73], -v[20:21], v[54:55], v[56:57]
	ds_read_b128 v[54:57], v88 offset:608
	ds_read_b128 v[122:125], v88 offset:624
	s_waitcnt lgkmcnt(1)
	v_fma_f64 v[48:49], -v[4:5], v[54:55], v[48:49]
	v_fma_f64 v[54:55], -v[0:1], v[74:75], v[46:47]
	;; [unrolled: 1-line block ×6, first 2 shown]
	ds_read_b128 v[46:49], v88 offset:1056
	ds_read_b128 v[72:75], v88 offset:1072
	v_fma_f64 v[36:37], -v[4:5], v[56:57], v[36:37]
	s_waitcnt lgkmcnt(1)
	v_fma_f64 v[46:47], -v[8:9], v[46:47], v[52:53]
	v_fma_f64 v[36:37], -v[6:7], v[68:69], v[36:37]
	;; [unrolled: 1-line block ×3, first 2 shown]
	ds_read_b128 v[52:55], v88 offset:1504
	ds_read_b128 v[56:59], v88 offset:1520
	v_fma_f64 v[48:49], -v[8:9], v[48:49], v[36:37]
	s_waitcnt lgkmcnt(1)
	v_fma_f64 v[46:47], -v[12:13], v[52:53], v[46:47]
	v_mul_f64 v[52:53], v[64:65], v[76:77]
	v_fma_f64 v[64:65], -v[0:1], v[110:111], v[44:45]
	v_fma_f64 v[32:33], -v[10:11], v[32:33], v[48:49]
	;; [unrolled: 1-line block ×3, first 2 shown]
	v_mov_b32_e32 v42, s6
	v_fma_f64 v[78:79], -v[14:15], v[96:97], v[46:47]
	ds_read_b128 v[44:47], v88 offset:1952
	v_fma_f64 v[64:65], -v[2:3], v[38:39], v[64:65]
	s_add_i32 s6, s2, 0xdb8
	ds_read_b128 v[36:39], v88 offset:1968
	v_fma_f64 v[32:33], -v[12:13], v[54:55], v[32:33]
	v_fma_f64 v[54:55], -v[4:5], v[122:123], v[64:65]
	v_mov_b32_e32 v64, s6
	ds_read2_b64 v[94:97], v64 offset1:1
	s_waitcnt lgkmcnt(2)
	v_fma_f64 v[68:69], -v[16:17], v[44:45], v[78:79]
	ds_read2_b64 v[76:79], v88 offset0:51 offset1:107
	v_fma_f64 v[32:33], -v[14:15], v[90:91], v[32:33]
	ds_read2_b64 v[42:45], v42 offset1:1
	s_add_i32 s6, s2, 0x888
	v_fma_f64 v[54:55], -v[6:7], v[70:71], v[54:55]
	s_waitcnt lgkmcnt(1)
	v_fma_f64 v[48:49], -v[2:3], v[76:77], v[48:49]
	v_fma_f64 v[110:111], -v[18:19], v[116:117], v[68:69]
	ds_read_b128 v[68:71], v88 offset:2400
	v_fma_f64 v[90:91], -v[16:17], v[46:47], v[32:33]
	v_mov_b32_e32 v32, s6
	s_add_i32 s6, s2, 0xa48
	v_fma_f64 v[54:55], -v[8:9], v[72:73], v[54:55]
	v_fma_f64 v[48:49], -v[4:5], v[124:125], v[48:49]
	v_mov_b32_e32 v72, s6
	s_waitcnt lgkmcnt(0)
	v_fma_f64 v[64:65], -v[20:21], v[68:69], v[110:111]
	ds_read_b128 v[110:113], v88 offset:3728
	s_add_i32 s6, s2, 0xf78
	v_fma_f64 v[54:55], -v[10:11], v[34:35], v[54:55]
	v_fma_f64 v[68:69], -v[6:7], v[78:79], v[48:49]
	ds_read2_b64 v[46:49], v32 offset1:1
	v_fma_f64 v[42:43], -v[26:27], v[42:43], v[106:107]
	ds_read_b128 v[76:79], v88 offset:3312
	v_fma_f64 v[64:65], -v[22:23], v[120:121], v[64:65]
	s_waitcnt lgkmcnt(2)
	v_fma_f64 v[86:87], -v[50:51], v[110:111], v[86:87]
	s_waitcnt lgkmcnt(1)
	v_fma_f64 v[46:47], -v[18:19], v[46:47], v[90:91]
	v_fma_f64 v[54:55], -v[12:13], v[56:57], v[54:55]
	;; [unrolled: 1-line block ×4, first 2 shown]
	ds_read_b128 v[106:109], v88 offset:2416
	ds_read2_b64 v[32:35], v88 offset0:163 offset1:219
	ds_read2_b64 v[72:75], v72 offset1:1
	v_fma_f64 v[64:65], -v[24:25], v[98:99], v[64:65]
	v_fma_f64 v[46:47], -v[20:21], v[70:71], v[46:47]
	;; [unrolled: 1-line block ×3, first 2 shown]
	s_waitcnt lgkmcnt(1)
	v_fma_f64 v[32:33], -v[10:11], v[32:33], v[68:69]
	v_fma_f64 v[56:57], -v[52:53], v[66:67], v[86:87]
	;; [unrolled: 1-line block ×3, first 2 shown]
	v_add_u32_e32 v86, 0x800, v88
	v_fma_f64 v[58:59], -v[12:13], v[58:59], v[32:33]
	v_mul_f64 v[32:33], v[102:103], v[56:57]
	v_fma_f64 v[66:67], -v[50:51], v[112:113], v[42:43]
	v_fma_f64 v[42:43], -v[26:27], v[44:45], v[64:65]
	s_waitcnt lgkmcnt(0)
	v_fma_f64 v[44:45], -v[22:23], v[72:73], v[46:47]
	v_fma_f64 v[46:47], -v[16:17], v[36:37], v[54:55]
	v_mov_b32_e32 v56, s6
	s_add_i32 s6, s3, 0x1138
	v_fma_f64 v[54:55], -v[14:15], v[34:35], v[58:59]
	ds_read2_b64 v[34:37], v56 offset1:1
	v_mov_b32_e32 v70, s6
	s_add_i32 s6, s2, 0xc08
	v_fma_f64 v[58:59], -v[24:25], v[100:101], v[44:45]
	v_fma_f64 v[56:57], -v[18:19], v[48:49], v[46:47]
	v_mov_b32_e32 v46, s6
	v_fma_f64 v[64:65], -v[28:29], v[60:61], v[42:43]
	v_fma_f64 v[38:39], -v[16:17], v[38:39], v[54:55]
	ds_read2_b64 v[42:45], v86 offset0:19 offset1:75
	ds_read2_b64 v[46:49], v46 offset1:1
	s_waitcnt lgkmcnt(2)
	v_fma_f64 v[34:35], -v[52:53], v[34:35], v[66:67]
	s_add_i32 s6, s2, 0xdc8
	v_mov_b32_e32 v54, s6
	v_fma_f64 v[68:69], -v[20:21], v[106:107], v[56:57]
	ds_read2_b64 v[54:57], v54 offset1:1
	s_add_i32 s6, s2, 0xf88
	s_waitcnt lgkmcnt(2)
	v_fma_f64 v[38:39], -v[18:19], v[42:43], v[38:39]
	s_waitcnt lgkmcnt(1)
	v_fma_f64 v[42:43], -v[26:27], v[46:47], v[58:59]
	v_fma_f64 v[46:47], -v[30:31], v[96:97], v[64:65]
	;; [unrolled: 1-line block ×3, first 2 shown]
	ds_read_b128 v[64:67], v88 offset:3744
	v_fma_f64 v[72:73], -v[22:23], v[74:75], v[68:69]
	ds_read2_b64 v[58:61], v70 offset1:1
	ds_read_b128 v[68:71], v88 offset:3760
	v_fma_f64 v[38:39], -v[20:21], v[108:109], v[38:39]
	v_fma_f64 v[42:43], -v[28:29], v[62:63], v[42:43]
	s_waitcnt lgkmcnt(2)
	v_fma_f64 v[46:47], -v[50:51], v[64:65], v[46:47]
	s_waitcnt lgkmcnt(1)
	v_mul_f64 v[34:35], v[58:59], v[34:35]
	s_addk_i32 s2, 0x1148
	v_fma_f64 v[62:63], -v[24:25], v[82:83], v[72:73]
	v_fma_f64 v[38:39], -v[22:23], v[44:45], v[38:39]
	;; [unrolled: 1-line block ×4, first 2 shown]
	v_mov_b32_e32 v46, s6
	v_fma_f64 v[58:59], -v[26:27], v[48:49], v[62:63]
	ds_read2_b64 v[46:49], v46 offset1:1
	v_fma_f64 v[62:63], -v[24:25], v[84:85], v[38:39]
	v_fma_f64 v[66:67], -v[50:51], v[66:67], v[42:43]
	ds_read2_b64 v[42:45], v86 offset0:131 offset1:187
	ds_read_b128 v[36:39], v88 offset:4192
	v_fma_f64 v[58:59], -v[28:29], v[76:77], v[58:59]
	s_waitcnt lgkmcnt(1)
	v_fma_f64 v[42:43], -v[26:27], v[42:43], v[62:63]
	ds_read_b128 v[62:65], v88 offset:4208
	s_waitcnt lgkmcnt(1)
	v_fma_f64 v[36:37], -v[32:33], v[36:37], v[54:55]
	v_mov_b32_e32 v54, s2
	ds_read2_b64 v[72:75], v54 offset1:1
	v_fma_f64 v[54:55], -v[30:31], v[56:57], v[58:59]
	v_fma_f64 v[46:47], -v[52:53], v[46:47], v[66:67]
	s_add_i32 s2, s3, 0x1308
	v_fma_f64 v[42:43], -v[28:29], v[78:79], v[42:43]
	v_fma_f64 v[56:57], -v[34:35], v[60:61], v[36:37]
	;; [unrolled: 1-line block ×5, first 2 shown]
	ds_read_b128 v[36:39], v89 offset:4640
	ds_read_b128 v[42:45], v89 offset:5104
	s_waitcnt lgkmcnt(1)
	v_mul_f64 v[36:37], v[36:37], v[56:57]
	v_fma_f64 v[54:55], -v[52:53], v[48:49], v[54:55]
	v_fma_f64 v[56:57], -v[50:51], v[70:71], v[58:59]
	;; [unrolled: 1-line block ×3, first 2 shown]
	v_add_u32_e32 v46, 0xc00, v88
	ds_read2_b64 v[46:49], v46 offset0:115 offset1:171
	v_fma_f64 v[60:61], -v[32:33], v[62:63], v[54:55]
	v_mov_b32_e32 v54, s2
	s_waitcnt lgkmcnt(0)
	v_fma_f64 v[46:47], -v[52:53], v[46:47], v[56:57]
	v_fma_f64 v[38:39], -v[36:37], v[38:39], v[58:59]
	ds_read2_b64 v[54:57], v54 offset1:1
	s_mul_i32 s2, s5, 0xe8
	v_fma_f64 v[62:63], -v[34:35], v[74:75], v[60:61]
	ds_read_b128 v[58:61], v88 offset:4656
	v_fma_f64 v[46:47], -v[32:33], v[64:65], v[46:47]
	v_mov_b32_e32 v64, s2
	ds_read_b64 v[64:65], v64
	s_waitcnt lgkmcnt(2)
	v_mul_f64 v[38:39], v[54:55], v[38:39]
	ds_read_b64 v[54:55], v88 offset:4888
	global_store_dwordx4 v[40:41], v[0:3], off
	global_store_dwordx4 v[40:41], v[4:7], off offset:16
	global_store_dwordx4 v[40:41], v[8:11], off offset:32
	global_store_dwordx4 v[40:41], v[12:15], off offset:48
	s_waitcnt lgkmcnt(2)
	v_fma_f64 v[58:59], -v[36:37], v[58:59], v[62:63]
	v_fma_f64 v[46:47], -v[34:35], v[48:49], v[46:47]
	;; [unrolled: 1-line block ×4, first 2 shown]
	v_mul_f64 v[42:43], v[42:43], v[48:49]
	s_waitcnt lgkmcnt(0)
	v_fma_f64 v[46:47], -v[38:39], v[54:55], v[46:47]
	v_fma_f64 v[44:45], -v[42:43], v[44:45], v[46:47]
	v_mul_f64 v[44:45], v[64:65], v[44:45]
	global_store_dwordx4 v[40:41], v[16:19], off offset:64
	global_store_dwordx4 v[40:41], v[20:23], off offset:80
	;; [unrolled: 1-line block ×8, first 2 shown]
.LBB100_39:
	s_cmp_ge_i32 s4, s24
	s_cbranch_scc1 .LBB100_44
; %bb.40:
	s_lshl_b32 s2, s4, 3
	s_mov_b32 s5, 0
	s_branch .LBB100_42
.LBB100_41:                             ;   in Loop: Header=BB100_42 Depth=1
	s_mul_i32 s3, s4, 0xe8
	v_mov_b32_e32 v4, s3
	ds_read_b64 v[4:5], v4
	s_add_i32 s4, s4, 1
	s_add_i32 s2, s2, 8
	s_cmp_ge_i32 s4, s24
	s_waitcnt lgkmcnt(0)
	v_mul_f64 v[2:3], v[4:5], v[2:3]
	global_store_dwordx2 v[0:1], v[2:3], off
	s_cbranch_scc1 .LBB100_44
.LBB100_42:                             ; =>This Loop Header: Depth=1
                                        ;     Child Loop BB100_43 Depth 2
	s_lshl_b64 s[6:7], s[4:5], 3
	v_mov_b32_e32 v1, s7
	v_add_co_u32_e32 v0, vcc, s6, v80
	v_addc_co_u32_e32 v1, vcc, v81, v1, vcc
	global_load_dwordx2 v[2:3], v[0:1], off
	v_mov_b32_e32 v4, v80
	s_cmp_eq_u32 s4, 0
	v_mov_b32_e32 v5, v81
	s_mov_b32 s3, s2
	s_mov_b32 s6, s4
	s_waitcnt vmcnt(0)
	v_mul_f64 v[2:3], s[0:1], v[2:3]
	s_cbranch_scc1 .LBB100_41
.LBB100_43:                             ;   Parent Loop BB100_42 Depth=1
                                        ; =>  This Inner Loop Header: Depth=2
	global_load_dwordx2 v[6:7], v[4:5], off
	v_mov_b32_e32 v8, s3
	ds_read_b64 v[8:9], v8
	s_add_i32 s6, s6, -1
	s_addk_i32 s3, 0xe0
	v_add_co_u32_e32 v4, vcc, 8, v4
	s_cmp_lg_u32 s6, 0
	v_addc_co_u32_e32 v5, vcc, 0, v5, vcc
	s_waitcnt vmcnt(0) lgkmcnt(0)
	v_fma_f64 v[2:3], -v[6:7], v[8:9], v[2:3]
	s_cbranch_scc1 .LBB100_43
	s_branch .LBB100_41
.LBB100_44:
	s_endpgm
	.section	.rodata,"a",@progbits
	.p2align	6, 0x0
	.amdhsa_kernel _ZL30rocblas_trsm_small_left_deviceILi28ELi28ELb1EddPKdPdEv13rocblas_fill_18rocblas_operation_17rocblas_diagonal_iiT3_T4_lilT5_lili
		.amdhsa_group_segment_fixed_size 6272
		.amdhsa_private_segment_fixed_size 0
		.amdhsa_kernarg_size 360
		.amdhsa_user_sgpr_count 6
		.amdhsa_user_sgpr_private_segment_buffer 1
		.amdhsa_user_sgpr_dispatch_ptr 0
		.amdhsa_user_sgpr_queue_ptr 0
		.amdhsa_user_sgpr_kernarg_segment_ptr 1
		.amdhsa_user_sgpr_dispatch_id 0
		.amdhsa_user_sgpr_flat_scratch_init 0
		.amdhsa_user_sgpr_private_segment_size 0
		.amdhsa_uses_dynamic_stack 0
		.amdhsa_system_sgpr_private_segment_wavefront_offset 0
		.amdhsa_system_sgpr_workgroup_id_x 1
		.amdhsa_system_sgpr_workgroup_id_y 0
		.amdhsa_system_sgpr_workgroup_id_z 1
		.amdhsa_system_sgpr_workgroup_info 0
		.amdhsa_system_vgpr_workitem_id 0
		.amdhsa_next_free_vgpr 128
		.amdhsa_next_free_sgpr 98
		.amdhsa_reserve_vcc 1
		.amdhsa_reserve_flat_scratch 0
		.amdhsa_float_round_mode_32 0
		.amdhsa_float_round_mode_16_64 0
		.amdhsa_float_denorm_mode_32 3
		.amdhsa_float_denorm_mode_16_64 3
		.amdhsa_dx10_clamp 1
		.amdhsa_ieee_mode 1
		.amdhsa_fp16_overflow 0
		.amdhsa_exception_fp_ieee_invalid_op 0
		.amdhsa_exception_fp_denorm_src 0
		.amdhsa_exception_fp_ieee_div_zero 0
		.amdhsa_exception_fp_ieee_overflow 0
		.amdhsa_exception_fp_ieee_underflow 0
		.amdhsa_exception_fp_ieee_inexact 0
		.amdhsa_exception_int_div_zero 0
	.end_amdhsa_kernel
	.section	.text._ZL30rocblas_trsm_small_left_deviceILi28ELi28ELb1EddPKdPdEv13rocblas_fill_18rocblas_operation_17rocblas_diagonal_iiT3_T4_lilT5_lili,"axG",@progbits,_ZL30rocblas_trsm_small_left_deviceILi28ELi28ELb1EddPKdPdEv13rocblas_fill_18rocblas_operation_17rocblas_diagonal_iiT3_T4_lilT5_lili,comdat
.Lfunc_end100:
	.size	_ZL30rocblas_trsm_small_left_deviceILi28ELi28ELb1EddPKdPdEv13rocblas_fill_18rocblas_operation_17rocblas_diagonal_iiT3_T4_lilT5_lili, .Lfunc_end100-_ZL30rocblas_trsm_small_left_deviceILi28ELi28ELb1EddPKdPdEv13rocblas_fill_18rocblas_operation_17rocblas_diagonal_iiT3_T4_lilT5_lili
                                        ; -- End function
	.set _ZL30rocblas_trsm_small_left_deviceILi28ELi28ELb1EddPKdPdEv13rocblas_fill_18rocblas_operation_17rocblas_diagonal_iiT3_T4_lilT5_lili.num_vgpr, 128
	.set _ZL30rocblas_trsm_small_left_deviceILi28ELi28ELb1EddPKdPdEv13rocblas_fill_18rocblas_operation_17rocblas_diagonal_iiT3_T4_lilT5_lili.num_agpr, 0
	.set _ZL30rocblas_trsm_small_left_deviceILi28ELi28ELb1EddPKdPdEv13rocblas_fill_18rocblas_operation_17rocblas_diagonal_iiT3_T4_lilT5_lili.numbered_sgpr, 31
	.set _ZL30rocblas_trsm_small_left_deviceILi28ELi28ELb1EddPKdPdEv13rocblas_fill_18rocblas_operation_17rocblas_diagonal_iiT3_T4_lilT5_lili.num_named_barrier, 0
	.set _ZL30rocblas_trsm_small_left_deviceILi28ELi28ELb1EddPKdPdEv13rocblas_fill_18rocblas_operation_17rocblas_diagonal_iiT3_T4_lilT5_lili.private_seg_size, 0
	.set _ZL30rocblas_trsm_small_left_deviceILi28ELi28ELb1EddPKdPdEv13rocblas_fill_18rocblas_operation_17rocblas_diagonal_iiT3_T4_lilT5_lili.uses_vcc, 1
	.set _ZL30rocblas_trsm_small_left_deviceILi28ELi28ELb1EddPKdPdEv13rocblas_fill_18rocblas_operation_17rocblas_diagonal_iiT3_T4_lilT5_lili.uses_flat_scratch, 0
	.set _ZL30rocblas_trsm_small_left_deviceILi28ELi28ELb1EddPKdPdEv13rocblas_fill_18rocblas_operation_17rocblas_diagonal_iiT3_T4_lilT5_lili.has_dyn_sized_stack, 0
	.set _ZL30rocblas_trsm_small_left_deviceILi28ELi28ELb1EddPKdPdEv13rocblas_fill_18rocblas_operation_17rocblas_diagonal_iiT3_T4_lilT5_lili.has_recursion, 0
	.set _ZL30rocblas_trsm_small_left_deviceILi28ELi28ELb1EddPKdPdEv13rocblas_fill_18rocblas_operation_17rocblas_diagonal_iiT3_T4_lilT5_lili.has_indirect_call, 0
	.section	.AMDGPU.csdata,"",@progbits
; Kernel info:
; codeLenInByte = 26404
; TotalNumSgprs: 35
; NumVgprs: 128
; ScratchSize: 0
; MemoryBound: 1
; FloatMode: 240
; IeeeMode: 1
; LDSByteSize: 6272 bytes/workgroup (compile time only)
; SGPRBlocks: 12
; VGPRBlocks: 31
; NumSGPRsForWavesPerEU: 102
; NumVGPRsForWavesPerEU: 128
; Occupancy: 2
; WaveLimiterHint : 1
; COMPUTE_PGM_RSRC2:SCRATCH_EN: 0
; COMPUTE_PGM_RSRC2:USER_SGPR: 6
; COMPUTE_PGM_RSRC2:TRAP_HANDLER: 0
; COMPUTE_PGM_RSRC2:TGID_X_EN: 1
; COMPUTE_PGM_RSRC2:TGID_Y_EN: 0
; COMPUTE_PGM_RSRC2:TGID_Z_EN: 1
; COMPUTE_PGM_RSRC2:TIDIG_COMP_CNT: 0
	.section	.text._ZL31rocblas_trsm_small_right_deviceIddPKdPdLi28EEv13rocblas_fill_18rocblas_operation_17rocblas_diagonal_iiT0_T1_lilT2_lili,"axG",@progbits,_ZL31rocblas_trsm_small_right_deviceIddPKdPdLi28EEv13rocblas_fill_18rocblas_operation_17rocblas_diagonal_iiT0_T1_lilT2_lili,comdat
	.globl	_ZL31rocblas_trsm_small_right_deviceIddPKdPdLi28EEv13rocblas_fill_18rocblas_operation_17rocblas_diagonal_iiT0_T1_lilT2_lili ; -- Begin function _ZL31rocblas_trsm_small_right_deviceIddPKdPdLi28EEv13rocblas_fill_18rocblas_operation_17rocblas_diagonal_iiT0_T1_lilT2_lili
	.p2align	8
	.type	_ZL31rocblas_trsm_small_right_deviceIddPKdPdLi28EEv13rocblas_fill_18rocblas_operation_17rocblas_diagonal_iiT0_T1_lilT2_lili,@function
_ZL31rocblas_trsm_small_right_deviceIddPKdPdLi28EEv13rocblas_fill_18rocblas_operation_17rocblas_diagonal_iiT0_T1_lilT2_lili: ; @_ZL31rocblas_trsm_small_right_deviceIddPKdPdLi28EEv13rocblas_fill_18rocblas_operation_17rocblas_diagonal_iiT0_T1_lilT2_lili
; %bb.0:
	s_load_dwordx4 s[8:11], s[4:5], 0x0
	s_load_dword s22, s[4:5], 0x10
	s_load_dwordx4 s[12:15], s[4:5], 0x18
	s_load_dwordx2 s[20:21], s[4:5], 0x28
	s_load_dwordx4 s[0:3], s[4:5], 0x38
	s_load_dwordx2 s[16:17], s[4:5], 0x48
	s_waitcnt lgkmcnt(0)
	s_min_i32 s23, s22, 28
	v_cmp_gt_i32_e32 vcc, s23, v0
	s_and_saveexec_b64 s[18:19], vcc
	s_cbranch_execz .LBB101_5
; %bb.1:
	s_load_dword s24, s[4:5], 0x30
	s_mul_i32 s1, s1, s7
	s_mul_hi_u32 s25, s0, s7
	s_mul_i32 s0, s0, s7
	s_add_i32 s1, s25, s1
	s_waitcnt lgkmcnt(0)
	s_ashr_i32 s25, s24, 31
	s_lshl_b64 s[0:1], s[0:1], 3
	s_add_u32 s14, s14, s0
	s_addc_u32 s15, s15, s1
	s_lshl_b64 s[0:1], s[20:21], 3
	s_add_u32 s0, s14, s0
	s_addc_u32 s1, s15, s1
	v_lshlrev_b32_e32 v3, 3, v0
	v_mov_b32_e32 v2, s1
	v_add_co_u32_e32 v1, vcc, s0, v3
	s_lshl_b64 s[0:1], s[24:25], 3
	v_addc_co_u32_e32 v2, vcc, 0, v2, vcc
	v_mov_b32_e32 v4, s1
	v_mov_b32_e32 v5, v3
	s_mov_b32 s1, s23
.LBB101_2:                              ; =>This Inner Loop Header: Depth=1
	global_load_dwordx2 v[6:7], v[1:2], off
	v_add_co_u32_e32 v1, vcc, s0, v1
	s_add_i32 s1, s1, -1
	v_addc_co_u32_e32 v2, vcc, v2, v4, vcc
	s_cmp_eq_u32 s1, 0
	s_waitcnt vmcnt(0)
	ds_write_b64 v5, v[6:7]
	v_add_u32_e32 v5, 0xe0, v5
	s_cbranch_scc0 .LBB101_2
; %bb.3:
	s_cmpk_eq_i32 s10, 0x84
	s_cbranch_scc0 .LBB101_5
; %bb.4:
	s_movk_i32 s0, 0xe0
	v_mad_u32_u24 v3, v0, s0, v3
	v_mov_b32_e32 v1, 0
	v_mov_b32_e32 v2, 0x3ff00000
	ds_write_b64 v3, v[1:2]
.LBB101_5:
	s_or_b64 exec, exec, s[18:19]
	s_load_dword s0, s[4:5], 0x68
	s_load_dwordx2 s[14:15], s[4:5], 0x58
	s_load_dword s10, s[4:5], 0x50
	s_waitcnt lgkmcnt(0)
	s_mul_i32 s1, s15, s7
	s_mul_hi_u32 s5, s14, s7
	s_mul_i32 s4, s14, s7
	s_add_i32 s5, s5, s1
	s_lshl_b64 s[4:5], s[4:5], 3
	s_add_u32 s1, s2, s4
	s_addc_u32 s4, s3, s5
	s_lshl_b64 s[2:3], s[16:17], 3
	s_add_u32 s1, s1, s2
	s_addc_u32 s2, s4, s3
	s_mul_i32 s3, s6, 0xffffffe4
	s_add_i32 s0, s0, -1
	s_add_i32 s3, s11, s3
	s_cmp_ge_u32 s6, s0
	s_cselect_b32 s0, s3, 28
	s_mul_hi_i32 s3, s6, 0xe0
	s_mulk_i32 s6, 0xe0
	s_add_u32 s14, s1, s6
	s_addc_u32 s15, s2, s3
	v_cmp_gt_i32_e64 s[0:1], s0, v0
	s_and_saveexec_b64 s[2:3], s[0:1]
	s_cbranch_execz .LBB101_9
; %bb.6:
	s_cmp_lt_i32 s22, 1
	s_cbranch_scc1 .LBB101_9
; %bb.7:
	s_ashr_i32 s11, s10, 31
	v_lshlrev_b32_e32 v3, 3, v0
	v_mov_b32_e32 v2, s15
	v_add_co_u32_e32 v1, vcc, s14, v3
	s_lshl_b64 s[4:5], s[10:11], 3
	v_addc_co_u32_e32 v2, vcc, 0, v2, vcc
	v_add_u32_e32 v3, 0x1880, v3
	v_mov_b32_e32 v4, s5
	s_mov_b32 s5, s22
.LBB101_8:                              ; =>This Inner Loop Header: Depth=1
	global_load_dwordx2 v[5:6], v[1:2], off
	s_add_i32 s5, s5, -1
	v_add_co_u32_e32 v1, vcc, s4, v1
	v_addc_co_u32_e32 v2, vcc, v2, v4, vcc
	s_cmp_lg_u32 s5, 0
	s_waitcnt vmcnt(0)
	v_mul_f64 v[5:6], s[12:13], v[5:6]
	ds_write_b64 v3, v[5:6]
	v_add_u32_e32 v3, 0xe0, v3
	s_cbranch_scc1 .LBB101_8
.LBB101_9:
	s_or_b64 exec, exec, s[2:3]
	s_cmpk_eq_i32 s9, 0x6f
	s_cselect_b64 s[2:3], -1, 0
	s_cmpk_lg_i32 s8, 0x79
	s_cselect_b64 s[4:5], -1, 0
	s_cmpk_eq_i32 s8, 0x79
	s_cselect_b64 s[6:7], -1, 0
	s_and_b64 s[6:7], s[6:7], s[2:3]
	s_andn2_b64 vcc, exec, s[6:7]
	s_mov_b64 s[6:7], -1
	s_waitcnt lgkmcnt(0)
	; wave barrier
	s_cbranch_vccz .LBB101_66
; %bb.10:
	s_cmpk_lg_i32 s8, 0x7a
	s_cselect_b64 s[12:13], -1, 0
	s_xor_b64 s[2:3], s[2:3], -1
	s_add_i32 s8, s23, -1
	s_or_b64 s[12:13], s[12:13], s[2:3]
	v_mov_b32_e32 v1, 0x1880
	s_cmp_gt_i32 s22, 3
	v_lshl_add_u32 v9, v0, 3, v1
	s_cselect_b64 s[2:3], -1, 0
	s_and_b64 vcc, exec, s[12:13]
	s_cbranch_vccz .LBB101_45
; %bb.11:
	s_andn2_b64 vcc, exec, s[4:5]
	s_mov_b64 s[4:5], -1
	s_cbranch_vccnz .LBB101_24
; %bb.12:
	s_andn2_b64 vcc, exec, s[2:3]
	s_mov_b32 s6, 0
	s_cbranch_vccnz .LBB101_18
; %bb.13:
	v_mov_b32_e32 v1, 0x1880
	v_lshl_add_u32 v10, v0, 3, v1
	s_mov_b32 s4, 0
	s_mov_b32 s5, 0
.LBB101_14:                             ; =>This Loop Header: Depth=1
                                        ;     Child Loop BB101_15 Depth 2
	s_or_b32 s7, s5, 3
	s_mul_i32 s6, s5, 0xe0
	v_add_u32_e32 v11, s6, v9
	s_mulk_i32 s7, 0xe0
	ds_read2_b64 v[1:4], v11 offset1:28
	v_add_u32_e32 v12, s7, v9
	ds_read_b64 v[7:8], v11 offset:448
	ds_read_b64 v[5:6], v12
	s_cmp_eq_u32 s5, 0
	v_mov_b32_e32 v13, v10
	s_mov_b32 s7, s4
	s_mov_b32 s9, s5
	s_cbranch_scc1 .LBB101_16
.LBB101_15:                             ;   Parent Loop BB101_14 Depth=1
                                        ; =>  This Inner Loop Header: Depth=2
	v_mov_b32_e32 v18, s7
	ds_read_b64 v[22:23], v13
	ds_read_b128 v[14:17], v18
	ds_read_b128 v[18:21], v18 offset:16
	s_add_i32 s9, s9, -1
	s_addk_i32 s7, 0xe0
	s_cmp_eq_u32 s9, 0
	s_waitcnt lgkmcnt(1)
	v_fma_f64 v[1:2], -v[22:23], v[14:15], v[1:2]
	v_fma_f64 v[3:4], -v[22:23], v[16:17], v[3:4]
	s_waitcnt lgkmcnt(0)
	v_fma_f64 v[7:8], -v[22:23], v[18:19], v[7:8]
	v_fma_f64 v[5:6], -v[22:23], v[20:21], v[5:6]
	v_add_u32_e32 v13, 0xe0, v13
	s_cbranch_scc0 .LBB101_15
.LBB101_16:                             ;   in Loop: Header=BB101_14 Depth=1
	s_lshl_b32 s9, s5, 3
	s_add_i32 s11, s9, s6
	v_mov_b32_e32 v33, s11
	ds_read_b128 v[13:16], v33
	ds_read_b128 v[17:20], v33 offset:16
	s_addk_i32 s11, 0xe8
	s_add_i32 s4, s4, 32
	s_waitcnt lgkmcnt(1)
	v_div_scale_f64 v[21:22], s[6:7], v[13:14], v[13:14], v[1:2]
	v_rcp_f64_e32 v[23:24], v[21:22]
	v_fma_f64 v[25:26], -v[21:22], v[23:24], 1.0
	v_fma_f64 v[23:24], v[23:24], v[25:26], v[23:24]
	v_div_scale_f64 v[25:26], vcc, v[1:2], v[13:14], v[1:2]
	v_fma_f64 v[27:28], -v[21:22], v[23:24], 1.0
	v_fma_f64 v[23:24], v[23:24], v[27:28], v[23:24]
	v_mul_f64 v[27:28], v[25:26], v[23:24]
	v_fma_f64 v[21:22], -v[21:22], v[27:28], v[25:26]
	v_div_fmas_f64 v[21:22], v[21:22], v[23:24], v[27:28]
	v_div_fixup_f64 v[21:22], v[21:22], v[13:14], v[1:2]
	v_fma_f64 v[23:24], -v[21:22], v[15:16], v[3:4]
	ds_read2_b64 v[1:4], v33 offset0:29 offset1:30
	ds_read_b128 v[13:16], v33 offset:464
	s_waitcnt lgkmcnt(2)
	v_fma_f64 v[7:8], -v[21:22], v[17:18], v[7:8]
	v_fma_f64 v[5:6], -v[21:22], v[19:20], v[5:6]
	s_waitcnt lgkmcnt(1)
	v_div_scale_f64 v[25:26], s[6:7], v[1:2], v[1:2], v[23:24]
	v_rcp_f64_e32 v[27:28], v[25:26]
	v_fma_f64 v[29:30], -v[25:26], v[27:28], 1.0
	v_fma_f64 v[27:28], v[27:28], v[29:30], v[27:28]
	v_div_scale_f64 v[29:30], vcc, v[23:24], v[1:2], v[23:24]
	v_fma_f64 v[31:32], -v[25:26], v[27:28], 1.0
	v_fma_f64 v[27:28], v[27:28], v[31:32], v[27:28]
	v_mul_f64 v[31:32], v[29:30], v[27:28]
	v_fma_f64 v[25:26], -v[25:26], v[31:32], v[29:30]
	v_div_fmas_f64 v[25:26], v[25:26], v[27:28], v[31:32]
	v_div_fixup_f64 v[1:2], v[25:26], v[1:2], v[23:24]
	v_fma_f64 v[3:4], -v[1:2], v[3:4], v[7:8]
	s_waitcnt lgkmcnt(0)
	v_div_scale_f64 v[7:8], s[6:7], v[13:14], v[13:14], v[3:4]
	s_or_b32 s6, s9, 8
	s_sub_i32 s6, s11, s6
	s_add_i32 s6, s6, s9
	v_rcp_f64_e32 v[17:18], v[7:8]
	v_fma_f64 v[23:24], -v[7:8], v[17:18], 1.0
	v_fma_f64 v[17:18], v[17:18], v[23:24], v[17:18]
	v_div_scale_f64 v[23:24], vcc, v[3:4], v[13:14], v[3:4]
	v_fma_f64 v[25:26], -v[7:8], v[17:18], 1.0
	v_fma_f64 v[17:18], v[17:18], v[25:26], v[17:18]
	v_mul_f64 v[25:26], v[23:24], v[17:18]
	v_fma_f64 v[7:8], -v[7:8], v[25:26], v[23:24]
	v_div_fmas_f64 v[7:8], v[7:8], v[17:18], v[25:26]
	v_mov_b32_e32 v17, s6
	ds_read_b64 v[17:18], v17 offset:24
	ds_read_b64 v[19:20], v33 offset:696
	s_waitcnt lgkmcnt(1)
	v_fma_f64 v[5:6], -v[1:2], v[17:18], v[5:6]
	v_div_fixup_f64 v[3:4], v[7:8], v[13:14], v[3:4]
	ds_write2_b64 v11, v[21:22], v[1:2] offset1:28
	ds_write_b64 v11, v[3:4] offset:448
	v_fma_f64 v[5:6], -v[3:4], v[15:16], v[5:6]
	s_waitcnt lgkmcnt(2)
	v_div_scale_f64 v[7:8], s[6:7], v[19:20], v[19:20], v[5:6]
	v_div_scale_f64 v[17:18], vcc, v[5:6], v[19:20], v[5:6]
	s_add_i32 s6, s5, 4
	s_add_i32 s5, s5, 7
	s_cmp_ge_i32 s5, s23
	v_rcp_f64_e32 v[13:14], v[7:8]
	v_fma_f64 v[15:16], -v[7:8], v[13:14], 1.0
	v_fma_f64 v[13:14], v[13:14], v[15:16], v[13:14]
	v_fma_f64 v[15:16], -v[7:8], v[13:14], 1.0
	v_fma_f64 v[13:14], v[13:14], v[15:16], v[13:14]
	v_mul_f64 v[15:16], v[17:18], v[13:14]
	v_fma_f64 v[7:8], -v[7:8], v[15:16], v[17:18]
	v_div_fmas_f64 v[7:8], v[7:8], v[13:14], v[15:16]
	v_div_fixup_f64 v[5:6], v[7:8], v[19:20], v[5:6]
	ds_write_b64 v12, v[5:6]
	s_cbranch_scc1 .LBB101_18
; %bb.17:                               ;   in Loop: Header=BB101_14 Depth=1
	s_mov_b32 s5, s6
	s_branch .LBB101_14
.LBB101_18:
	s_cmp_ge_i32 s6, s23
	s_cbranch_scc1 .LBB101_23
; %bb.19:
	v_mov_b32_e32 v1, 0x1880
	s_lshl_b32 s4, s6, 3
	v_lshl_add_u32 v3, v0, 3, v1
	s_branch .LBB101_21
.LBB101_20:                             ;   in Loop: Header=BB101_21 Depth=1
	s_lshl_b32 s7, s6, 3
	s_add_i32 s5, s7, s5
	v_mov_b32_e32 v5, s5
	ds_read_b64 v[5:6], v5
	s_add_i32 s6, s6, 1
	s_add_i32 s4, s4, 8
	s_cmp_ge_i32 s6, s23
	s_waitcnt lgkmcnt(0)
	v_div_scale_f64 v[7:8], s[12:13], v[5:6], v[5:6], v[1:2]
	v_div_scale_f64 v[14:15], vcc, v[1:2], v[5:6], v[1:2]
	v_rcp_f64_e32 v[10:11], v[7:8]
	v_fma_f64 v[12:13], -v[7:8], v[10:11], 1.0
	v_fma_f64 v[10:11], v[10:11], v[12:13], v[10:11]
	v_fma_f64 v[12:13], -v[7:8], v[10:11], 1.0
	v_fma_f64 v[10:11], v[10:11], v[12:13], v[10:11]
	v_mul_f64 v[12:13], v[14:15], v[10:11]
	v_fma_f64 v[7:8], -v[7:8], v[12:13], v[14:15]
	v_div_fmas_f64 v[7:8], v[7:8], v[10:11], v[12:13]
	v_div_fixup_f64 v[1:2], v[7:8], v[5:6], v[1:2]
	ds_write_b64 v4, v[1:2]
	s_cbranch_scc1 .LBB101_23
.LBB101_21:                             ; =>This Loop Header: Depth=1
                                        ;     Child Loop BB101_22 Depth 2
	s_mul_i32 s5, s6, 0xe0
	v_add_u32_e32 v4, s5, v9
	ds_read_b64 v[1:2], v4
	s_cmp_eq_u32 s6, 0
	v_mov_b32_e32 v5, v3
	s_mov_b32 s7, s4
	s_mov_b32 s9, s6
	s_cbranch_scc1 .LBB101_20
.LBB101_22:                             ;   Parent Loop BB101_21 Depth=1
                                        ; =>  This Inner Loop Header: Depth=2
	v_mov_b32_e32 v8, s7
	ds_read_b64 v[6:7], v5
	ds_read_b64 v[10:11], v8
	s_add_i32 s9, s9, -1
	s_addk_i32 s7, 0xe0
	s_cmp_eq_u32 s9, 0
	v_add_u32_e32 v5, 0xe0, v5
	s_waitcnt lgkmcnt(0)
	v_fma_f64 v[1:2], -v[6:7], v[10:11], v[1:2]
	s_cbranch_scc0 .LBB101_22
	s_branch .LBB101_20
.LBB101_23:
	s_mov_b64 s[4:5], 0
.LBB101_24:
	s_and_b64 vcc, exec, s[4:5]
	s_cbranch_vccz .LBB101_44
; %bb.25:
	s_andn2_b64 vcc, exec, s[2:3]
	s_mov_b32 s6, s8
	s_cbranch_vccnz .LBB101_31
; %bb.26:
	s_mul_i32 s5, s23, 0xe0
	s_mul_i32 s4, s23, 0xe8
	v_lshl_add_u32 v1, v0, 3, s5
	s_addk_i32 s4, 0xff00
	v_add_u32_e32 v10, 0x17a0, v1
	s_mov_b32 s5, s8
.LBB101_27:                             ; =>This Loop Header: Depth=1
                                        ;     Child Loop BB101_28 Depth 2
	s_mul_i32 s6, s5, 0xe0
	v_add_u32_e32 v11, s6, v9
	s_add_i32 s7, s6, 0xfffffd60
	v_add_u32_e32 v13, 0xffffff20, v11
	v_add_u32_e32 v14, 0xfffffe40, v11
	;; [unrolled: 1-line block ×3, first 2 shown]
	ds_read_b64 v[7:8], v11
	ds_read_b64 v[5:6], v13
	;; [unrolled: 1-line block ×4, first 2 shown]
	s_cmp_le_i32 s8, s5
	v_mov_b32_e32 v15, v10
	s_mov_b32 s9, s4
	s_mov_b32 s11, s8
	s_cbranch_scc1 .LBB101_29
.LBB101_28:                             ;   Parent Loop BB101_27 Depth=1
                                        ; =>  This Inner Loop Header: Depth=2
	v_mov_b32_e32 v20, s9
	ds_read_b64 v[24:25], v15
	ds_read2_b64 v[16:19], v20 offset0:2 offset1:3
	ds_read2_b64 v[20:23], v20 offset1:1
	s_add_i32 s11, s11, -1
	s_addk_i32 s9, 0xff20
	s_cmp_le_i32 s11, s5
	s_waitcnt lgkmcnt(1)
	v_fma_f64 v[7:8], -v[24:25], v[18:19], v[7:8]
	v_fma_f64 v[5:6], -v[24:25], v[16:17], v[5:6]
	s_waitcnt lgkmcnt(0)
	v_fma_f64 v[3:4], -v[24:25], v[22:23], v[3:4]
	v_fma_f64 v[1:2], -v[24:25], v[20:21], v[1:2]
	v_add_u32_e32 v15, 0xffffff20, v15
	s_cbranch_scc0 .LBB101_28
.LBB101_29:                             ;   in Loop: Header=BB101_27 Depth=1
	s_lshl_b32 s11, s5, 3
	s_add_i32 s16, s11, s6
	s_add_i32 s12, s16, -8
	v_mov_b32_e32 v15, s12
	ds_read2_b64 v[15:18], v15 offset1:1
	s_add_i32 s12, s16, 0xffffff18
	v_mov_b32_e32 v19, s12
	ds_read_b64 v[19:20], v19
	s_add_i32 s9, s5, -3
	s_waitcnt lgkmcnt(1)
	v_div_scale_f64 v[21:22], s[12:13], v[17:18], v[17:18], v[7:8]
	s_lshl_b32 s9, s9, 3
	s_add_i32 s6, s6, s9
	s_add_i32 s9, s6, 0xffffff20
	s_addk_i32 s6, 0xfe40
	s_add_i32 s11, s11, s7
	s_sub_i32 s4, s4, 32
	v_rcp_f64_e32 v[23:24], v[21:22]
	v_fma_f64 v[25:26], -v[21:22], v[23:24], 1.0
	v_fma_f64 v[23:24], v[23:24], v[25:26], v[23:24]
	v_div_scale_f64 v[25:26], vcc, v[7:8], v[17:18], v[7:8]
	v_fma_f64 v[27:28], -v[21:22], v[23:24], 1.0
	v_fma_f64 v[23:24], v[23:24], v[27:28], v[23:24]
	v_mul_f64 v[27:28], v[25:26], v[23:24]
	v_fma_f64 v[21:22], -v[21:22], v[27:28], v[25:26]
	v_div_fmas_f64 v[21:22], v[21:22], v[23:24], v[27:28]
	v_div_fixup_f64 v[21:22], v[21:22], v[17:18], v[7:8]
	v_fma_f64 v[23:24], -v[21:22], v[15:16], v[5:6]
	s_waitcnt lgkmcnt(0)
	v_div_scale_f64 v[5:6], s[12:13], v[19:20], v[19:20], v[23:24]
	s_sub_i32 s12, s16, 24
	v_rcp_f64_e32 v[7:8], v[5:6]
	v_fma_f64 v[15:16], -v[5:6], v[7:8], 1.0
	v_fma_f64 v[7:8], v[7:8], v[15:16], v[7:8]
	v_div_scale_f64 v[15:16], vcc, v[23:24], v[19:20], v[23:24]
	v_fma_f64 v[17:18], -v[5:6], v[7:8], 1.0
	v_fma_f64 v[7:8], v[7:8], v[17:18], v[7:8]
	v_mul_f64 v[17:18], v[15:16], v[7:8]
	v_fma_f64 v[5:6], -v[5:6], v[17:18], v[15:16]
	v_mov_b32_e32 v15, s9
	v_div_fmas_f64 v[25:26], v[5:6], v[7:8], v[17:18]
	v_mov_b32_e32 v5, s12
	ds_read2_b64 v[5:8], v5 offset1:1
	ds_read2_b64 v[15:18], v15 offset1:1
	s_waitcnt lgkmcnt(1)
	v_fma_f64 v[3:4], -v[21:22], v[7:8], v[3:4]
	v_fma_f64 v[1:2], -v[21:22], v[5:6], v[1:2]
	v_div_fixup_f64 v[7:8], v[25:26], v[19:20], v[23:24]
	s_waitcnt lgkmcnt(0)
	v_fma_f64 v[3:4], -v[7:8], v[17:18], v[3:4]
	v_mov_b32_e32 v17, s6
	ds_read2_b64 v[17:20], v17 offset1:1
	s_sub_i32 s6, s11, 24
	v_mov_b32_e32 v23, s6
	ds_read_b64 v[23:24], v23
	v_fma_f64 v[1:2], -v[7:8], v[15:16], v[1:2]
	s_waitcnt lgkmcnt(1)
	v_div_scale_f64 v[25:26], s[6:7], v[19:20], v[19:20], v[3:4]
	v_rcp_f64_e32 v[27:28], v[25:26]
	v_fma_f64 v[29:30], -v[25:26], v[27:28], 1.0
	v_fma_f64 v[27:28], v[27:28], v[29:30], v[27:28]
	v_div_scale_f64 v[29:30], vcc, v[3:4], v[19:20], v[3:4]
	v_fma_f64 v[31:32], -v[25:26], v[27:28], 1.0
	v_fma_f64 v[27:28], v[27:28], v[31:32], v[27:28]
	v_mul_f64 v[31:32], v[29:30], v[27:28]
	v_fma_f64 v[25:26], -v[25:26], v[31:32], v[29:30]
	v_div_fmas_f64 v[25:26], v[25:26], v[27:28], v[31:32]
	v_div_fixup_f64 v[3:4], v[25:26], v[19:20], v[3:4]
	ds_write_b64 v11, v[21:22]
	ds_write_b64 v13, v[7:8]
	;; [unrolled: 1-line block ×3, first 2 shown]
	v_fma_f64 v[1:2], -v[3:4], v[17:18], v[1:2]
	s_waitcnt lgkmcnt(3)
	v_div_scale_f64 v[5:6], s[6:7], v[23:24], v[23:24], v[1:2]
	v_div_scale_f64 v[19:20], vcc, v[1:2], v[23:24], v[1:2]
	s_add_i32 s6, s5, -4
	s_cmp_lt_i32 s5, 7
	v_rcp_f64_e32 v[15:16], v[5:6]
	v_fma_f64 v[17:18], -v[5:6], v[15:16], 1.0
	v_fma_f64 v[15:16], v[15:16], v[17:18], v[15:16]
	v_fma_f64 v[17:18], -v[5:6], v[15:16], 1.0
	v_fma_f64 v[15:16], v[15:16], v[17:18], v[15:16]
	v_mul_f64 v[17:18], v[19:20], v[15:16]
	v_fma_f64 v[5:6], -v[5:6], v[17:18], v[19:20]
	v_div_fmas_f64 v[5:6], v[5:6], v[15:16], v[17:18]
	v_div_fixup_f64 v[1:2], v[5:6], v[23:24], v[1:2]
	ds_write_b64 v12, v[1:2]
	s_cbranch_scc1 .LBB101_31
; %bb.30:                               ;   in Loop: Header=BB101_27 Depth=1
	s_mov_b32 s5, s6
	s_branch .LBB101_27
.LBB101_31:
	s_cmp_lt_i32 s6, 0
	s_cbranch_scc1 .LBB101_44
; %bb.32:
	s_bitcmp1_b32 s6, 0
	s_cselect_b64 s[4:5], -1, 0
	s_and_b64 vcc, exec, s[4:5]
	s_mov_b32 s4, s6
	s_cbranch_vccnz .LBB101_37
; %bb.33:
	s_mul_i32 s4, s6, 0xe0
	v_add_u32_e32 v3, s4, v9
	ds_read_b64 v[1:2], v3
	s_cmp_le_i32 s8, s6
	s_cbranch_scc1 .LBB101_36
; %bb.34:
	s_mul_i32 s7, s23, 0xe0
	s_lshl_b32 s5, s6, 3
	s_add_i32 s5, s7, s5
	v_lshl_add_u32 v4, v0, 3, s7
	s_addk_i32 s5, 0xff20
	v_add_u32_e32 v4, 0x17a0, v4
	s_mov_b32 s7, s8
.LBB101_35:                             ; =>This Inner Loop Header: Depth=1
	v_mov_b32_e32 v7, s5
	ds_read_b64 v[5:6], v4
	ds_read_b64 v[7:8], v7
	s_add_i32 s7, s7, -1
	s_addk_i32 s5, 0xff20
	s_cmp_gt_u32 s7, s6
	v_add_u32_e32 v4, 0xffffff20, v4
	s_waitcnt lgkmcnt(0)
	v_fma_f64 v[1:2], -v[5:6], v[7:8], v[1:2]
	s_cbranch_scc1 .LBB101_35
.LBB101_36:
	s_lshl_b32 s5, s6, 3
	s_add_i32 s4, s5, s4
	v_mov_b32_e32 v4, s4
	ds_read_b64 v[4:5], v4
	s_waitcnt lgkmcnt(0)
	v_div_scale_f64 v[6:7], s[4:5], v[4:5], v[4:5], v[1:2]
	s_add_i32 s4, s6, -1
	v_rcp_f64_e32 v[10:11], v[6:7]
	v_fma_f64 v[12:13], -v[6:7], v[10:11], 1.0
	v_fma_f64 v[10:11], v[10:11], v[12:13], v[10:11]
	v_div_scale_f64 v[12:13], vcc, v[1:2], v[4:5], v[1:2]
	v_fma_f64 v[14:15], -v[6:7], v[10:11], 1.0
	v_fma_f64 v[10:11], v[10:11], v[14:15], v[10:11]
	v_mul_f64 v[14:15], v[12:13], v[10:11]
	v_fma_f64 v[6:7], -v[6:7], v[14:15], v[12:13]
	v_div_fmas_f64 v[6:7], v[6:7], v[10:11], v[14:15]
	v_div_fixup_f64 v[1:2], v[6:7], v[4:5], v[1:2]
	ds_write_b64 v3, v[1:2]
.LBB101_37:
	s_cmp_eq_u32 s6, 0
	s_cbranch_scc1 .LBB101_44
; %bb.38:
	s_mul_i32 s6, s23, 0xe0
	s_lshl_b32 s5, s4, 3
	s_add_i32 s7, s6, s5
	v_lshl_add_u32 v1, v0, 3, s6
	s_add_i32 s5, s7, 0xffffff20
	v_add_u32_e32 v5, 0x17a0, v1
	s_add_i32 s6, s7, 0xffffff18
	s_branch .LBB101_40
.LBB101_39:                             ;   in Loop: Header=BB101_40 Depth=1
	s_mul_i32 s11, s9, 0xe0
	s_add_i32 s7, s7, s11
	s_add_i32 s7, s7, -8
	v_mov_b32_e32 v3, s7
	ds_read_b64 v[3:4], v3
	s_add_i32 s4, s4, -2
	s_add_i32 s5, s5, -16
	;; [unrolled: 1-line block ×3, first 2 shown]
	s_cmp_eq_u32 s9, 0
	s_waitcnt lgkmcnt(0)
	v_div_scale_f64 v[10:11], s[12:13], v[3:4], v[3:4], v[1:2]
	v_div_scale_f64 v[16:17], vcc, v[1:2], v[3:4], v[1:2]
	v_rcp_f64_e32 v[12:13], v[10:11]
	v_fma_f64 v[14:15], -v[10:11], v[12:13], 1.0
	v_fma_f64 v[12:13], v[12:13], v[14:15], v[12:13]
	v_fma_f64 v[14:15], -v[10:11], v[12:13], 1.0
	v_fma_f64 v[12:13], v[12:13], v[14:15], v[12:13]
	v_mul_f64 v[14:15], v[16:17], v[12:13]
	v_fma_f64 v[10:11], -v[10:11], v[14:15], v[16:17]
	v_div_fmas_f64 v[10:11], v[10:11], v[12:13], v[14:15]
	v_div_fixup_f64 v[1:2], v[10:11], v[3:4], v[1:2]
	ds_write_b64 v7, v[1:2]
	s_cbranch_scc1 .LBB101_44
.LBB101_40:                             ; =>This Loop Header: Depth=1
                                        ;     Child Loop BB101_41 Depth 2
                                        ;     Child Loop BB101_43 Depth 2
	s_mul_i32 s9, s4, 0xe0
	v_add_u32_e32 v6, s9, v9
	ds_read_b64 v[3:4], v6
	s_cmp_le_i32 s8, s4
	v_mov_b32_e32 v1, v5
	s_mov_b32 s7, s5
	s_mov_b32 s11, s8
	s_cbranch_scc1 .LBB101_42
.LBB101_41:                             ;   Parent Loop BB101_40 Depth=1
                                        ; =>  This Inner Loop Header: Depth=2
	v_mov_b32_e32 v2, s7
	ds_read_b64 v[7:8], v1
	ds_read_b64 v[10:11], v2
	s_add_i32 s11, s11, -1
	s_addk_i32 s7, 0xff20
	s_cmp_le_u32 s11, s4
	v_add_u32_e32 v1, 0xffffff20, v1
	s_waitcnt lgkmcnt(0)
	v_fma_f64 v[3:4], -v[7:8], v[10:11], v[3:4]
	s_cbranch_scc0 .LBB101_41
.LBB101_42:                             ;   in Loop: Header=BB101_40 Depth=1
	s_lshl_b32 s7, s4, 3
	s_add_i32 s11, s7, s9
	v_mov_b32_e32 v1, s11
	ds_read_b64 v[10:11], v1
	s_addk_i32 s9, 0xff20
	v_add_u32_e32 v7, s9, v9
	ds_read_b64 v[1:2], v7
	s_add_i32 s9, s4, -1
	s_waitcnt lgkmcnt(1)
	v_div_scale_f64 v[12:13], s[12:13], v[10:11], v[10:11], v[3:4]
	s_mov_b32 s11, s6
	s_cmp_le_i32 s23, s4
	s_mov_b32 s12, s8
	v_rcp_f64_e32 v[14:15], v[12:13]
	v_fma_f64 v[16:17], -v[12:13], v[14:15], 1.0
	v_fma_f64 v[14:15], v[14:15], v[16:17], v[14:15]
	v_div_scale_f64 v[16:17], vcc, v[3:4], v[10:11], v[3:4]
	v_fma_f64 v[18:19], -v[12:13], v[14:15], 1.0
	v_fma_f64 v[14:15], v[14:15], v[18:19], v[14:15]
	v_mul_f64 v[18:19], v[16:17], v[14:15]
	v_fma_f64 v[12:13], -v[12:13], v[18:19], v[16:17]
	v_div_fmas_f64 v[12:13], v[12:13], v[14:15], v[18:19]
	v_div_fixup_f64 v[10:11], v[12:13], v[10:11], v[3:4]
	v_mov_b32_e32 v3, v5
	ds_write_b64 v6, v[10:11]
	s_cbranch_scc1 .LBB101_39
.LBB101_43:                             ;   Parent Loop BB101_40 Depth=1
                                        ; =>  This Inner Loop Header: Depth=2
	v_mov_b32_e32 v4, s11
	ds_read_b64 v[10:11], v3
	ds_read_b64 v[12:13], v4
	s_add_i32 s12, s12, -1
	s_addk_i32 s11, 0xff20
	s_cmp_gt_u32 s12, s9
	v_add_u32_e32 v3, 0xffffff20, v3
	s_waitcnt lgkmcnt(0)
	v_fma_f64 v[1:2], -v[10:11], v[12:13], v[1:2]
	s_cbranch_scc1 .LBB101_43
	s_branch .LBB101_39
.LBB101_44:
	s_mov_b64 s[6:7], 0
.LBB101_45:
	s_andn2_b64 vcc, exec, s[6:7]
	s_cbranch_vccnz .LBB101_65
; %bb.46:
	s_andn2_b64 vcc, exec, s[2:3]
	s_mov_b32 s4, s8
	s_cbranch_vccnz .LBB101_52
; %bb.47:
	s_mul_i32 s2, s23, 0xe0
	v_lshl_add_u32 v1, v0, 3, s2
	s_mul_i32 s2, s23, 0xe8
	v_add_u32_e32 v10, 0x17a0, v1
	s_addk_i32 s2, 0xfc78
	s_mov_b32 s3, s8
.LBB101_48:                             ; =>This Loop Header: Depth=1
                                        ;     Child Loop BB101_49 Depth 2
	s_mul_i32 s4, s3, 28
	v_lshl_add_u32 v12, s4, 3, v9
	v_add_u32_e32 v13, 0xffffff20, v12
	v_add_u32_e32 v14, 0xfffffe40, v12
	;; [unrolled: 1-line block ×3, first 2 shown]
	ds_read_b64 v[7:8], v12
	ds_read_b64 v[5:6], v13
	;; [unrolled: 1-line block ×4, first 2 shown]
	s_cmp_le_i32 s8, s3
	s_mov_b32 s5, s2
	v_mov_b32_e32 v15, v10
	s_mov_b32 s6, s8
	s_cbranch_scc1 .LBB101_50
.LBB101_49:                             ;   Parent Loop BB101_48 Depth=1
                                        ; =>  This Inner Loop Header: Depth=2
	v_mov_b32_e32 v20, s5
	ds_read_b64 v[24:25], v15
	ds_read2_b64 v[16:19], v20 offset0:56 offset1:84
	ds_read2_b64 v[20:23], v20 offset1:28
	s_add_i32 s6, s6, -1
	s_add_i32 s5, s5, -8
	s_cmp_le_i32 s6, s3
	s_waitcnt lgkmcnt(1)
	v_fma_f64 v[7:8], -v[24:25], v[18:19], v[7:8]
	v_fma_f64 v[5:6], -v[24:25], v[16:17], v[5:6]
	s_waitcnt lgkmcnt(0)
	v_fma_f64 v[3:4], -v[24:25], v[22:23], v[3:4]
	v_fma_f64 v[1:2], -v[24:25], v[20:21], v[1:2]
	v_add_u32_e32 v15, 0xffffff20, v15
	s_cbranch_scc0 .LBB101_49
.LBB101_50:                             ;   in Loop: Header=BB101_48 Depth=1
	s_mul_i32 s5, s3, 0xe8
	v_mov_b32_e32 v15, s5
	ds_read_b64 v[19:20], v15
	s_lshl_b32 s4, s4, 3
	s_lshl_b32 s5, s3, 3
	s_add_i32 s6, s4, s5
	s_add_i32 s4, s6, 0xffffff18
	v_mov_b32_e32 v15, s4
	s_waitcnt lgkmcnt(0)
	v_div_scale_f64 v[21:22], s[4:5], v[19:20], v[19:20], v[7:8]
	ds_read2_b64 v[15:18], v15 offset1:1
	s_addk_i32 s2, 0xfc80
	v_rcp_f64_e32 v[23:24], v[21:22]
	v_fma_f64 v[25:26], -v[21:22], v[23:24], 1.0
	v_fma_f64 v[23:24], v[23:24], v[25:26], v[23:24]
	v_div_scale_f64 v[25:26], vcc, v[7:8], v[19:20], v[7:8]
	v_fma_f64 v[27:28], -v[21:22], v[23:24], 1.0
	v_fma_f64 v[23:24], v[23:24], v[27:28], v[23:24]
	v_mul_f64 v[27:28], v[25:26], v[23:24]
	v_fma_f64 v[21:22], -v[21:22], v[27:28], v[25:26]
	v_div_fmas_f64 v[21:22], v[21:22], v[23:24], v[27:28]
	v_div_fixup_f64 v[23:24], v[21:22], v[19:20], v[7:8]
	s_waitcnt lgkmcnt(0)
	v_fma_f64 v[17:18], -v[23:24], v[17:18], v[5:6]
	v_div_scale_f64 v[5:6], s[4:5], v[15:16], v[15:16], v[17:18]
	s_add_i32 s4, s6, 0xfffffe40
	v_rcp_f64_e32 v[7:8], v[5:6]
	v_fma_f64 v[19:20], -v[5:6], v[7:8], 1.0
	v_fma_f64 v[7:8], v[7:8], v[19:20], v[7:8]
	v_div_scale_f64 v[19:20], vcc, v[17:18], v[15:16], v[17:18]
	v_fma_f64 v[21:22], -v[5:6], v[7:8], 1.0
	v_fma_f64 v[7:8], v[7:8], v[21:22], v[7:8]
	v_mul_f64 v[21:22], v[19:20], v[7:8]
	v_fma_f64 v[5:6], -v[5:6], v[21:22], v[19:20]
	v_div_fmas_f64 v[19:20], v[5:6], v[7:8], v[21:22]
	v_mov_b32_e32 v5, s4
	ds_read_b64 v[21:22], v5
	s_add_i32 s4, s6, 0xfffffe30
	v_mov_b32_e32 v5, s4
	ds_read2_b64 v[5:8], v5 offset1:1
	s_waitcnt lgkmcnt(1)
	v_fma_f64 v[3:4], -v[23:24], v[21:22], v[3:4]
	v_div_fixup_f64 v[25:26], v[19:20], v[15:16], v[17:18]
	s_waitcnt lgkmcnt(0)
	v_fma_f64 v[3:4], -v[25:26], v[7:8], v[3:4]
	v_div_scale_f64 v[7:8], s[4:5], v[5:6], v[5:6], v[3:4]
	s_add_i32 s4, s6, 0xfffffd58
	v_rcp_f64_e32 v[15:16], v[7:8]
	v_fma_f64 v[17:18], -v[7:8], v[15:16], 1.0
	v_fma_f64 v[15:16], v[15:16], v[17:18], v[15:16]
	v_div_scale_f64 v[17:18], vcc, v[3:4], v[5:6], v[3:4]
	v_fma_f64 v[19:20], -v[7:8], v[15:16], 1.0
	v_fma_f64 v[15:16], v[15:16], v[19:20], v[15:16]
	v_mul_f64 v[19:20], v[17:18], v[15:16]
	v_fma_f64 v[7:8], -v[7:8], v[19:20], v[17:18]
	v_div_fmas_f64 v[7:8], v[7:8], v[15:16], v[19:20]
	v_mov_b32_e32 v15, s4
	ds_read2_b64 v[15:18], v15 offset1:1
	s_add_i32 s4, s6, 0xfffffd48
	v_mov_b32_e32 v19, s4
	ds_read2_b64 v[19:22], v19 offset1:1
	s_waitcnt lgkmcnt(1)
	v_fma_f64 v[1:2], -v[23:24], v[17:18], v[1:2]
	v_fma_f64 v[1:2], -v[25:26], v[15:16], v[1:2]
	v_div_fixup_f64 v[3:4], v[7:8], v[5:6], v[3:4]
	ds_write_b64 v12, v[23:24]
	ds_write_b64 v13, v[25:26]
	;; [unrolled: 1-line block ×3, first 2 shown]
	s_waitcnt lgkmcnt(3)
	v_fma_f64 v[1:2], -v[3:4], v[21:22], v[1:2]
	v_div_scale_f64 v[5:6], s[4:5], v[19:20], v[19:20], v[1:2]
	v_div_scale_f64 v[17:18], vcc, v[1:2], v[19:20], v[1:2]
	s_add_i32 s4, s3, -4
	s_cmp_lt_i32 s3, 7
	v_rcp_f64_e32 v[7:8], v[5:6]
	v_fma_f64 v[15:16], -v[5:6], v[7:8], 1.0
	v_fma_f64 v[7:8], v[7:8], v[15:16], v[7:8]
	v_fma_f64 v[15:16], -v[5:6], v[7:8], 1.0
	v_fma_f64 v[7:8], v[7:8], v[15:16], v[7:8]
	v_mul_f64 v[15:16], v[17:18], v[7:8]
	v_fma_f64 v[5:6], -v[5:6], v[15:16], v[17:18]
	v_div_fmas_f64 v[5:6], v[5:6], v[7:8], v[15:16]
	v_div_fixup_f64 v[1:2], v[5:6], v[19:20], v[1:2]
	ds_write_b64 v11, v[1:2]
	s_cbranch_scc1 .LBB101_52
; %bb.51:                               ;   in Loop: Header=BB101_48 Depth=1
	s_mov_b32 s3, s4
	s_branch .LBB101_48
.LBB101_52:
	s_cmp_lt_i32 s4, 0
	s_cbranch_scc1 .LBB101_65
; %bb.53:
	s_bitcmp1_b32 s4, 0
	s_cselect_b64 s[2:3], -1, 0
	s_and_b64 vcc, exec, s[2:3]
	s_mov_b32 s2, s4
	s_cbranch_vccnz .LBB101_58
; %bb.54:
	s_mul_i32 s2, s4, 0xe0
	v_add_u32_e32 v3, s2, v9
	ds_read_b64 v[1:2], v3
	s_cmp_le_i32 s8, s4
	s_cbranch_scc1 .LBB101_57
; %bb.55:
	s_lshl_b32 s3, s23, 3
	s_add_i32 s2, s2, s3
	s_mul_i32 s3, s23, 0xe0
	v_lshl_add_u32 v4, v0, 3, s3
	s_add_i32 s2, s2, -8
	v_add_u32_e32 v4, 0x17a0, v4
	s_mov_b32 s3, s8
.LBB101_56:                             ; =>This Inner Loop Header: Depth=1
	v_mov_b32_e32 v7, s2
	ds_read_b64 v[5:6], v4
	ds_read_b64 v[7:8], v7
	s_add_i32 s3, s3, -1
	s_add_i32 s2, s2, -8
	s_cmp_gt_u32 s3, s4
	v_add_u32_e32 v4, 0xffffff20, v4
	s_waitcnt lgkmcnt(0)
	v_fma_f64 v[1:2], -v[5:6], v[7:8], v[1:2]
	s_cbranch_scc1 .LBB101_56
.LBB101_57:
	s_mul_i32 s2, s4, 0xe8
	v_mov_b32_e32 v4, s2
	ds_read_b64 v[4:5], v4
	s_waitcnt lgkmcnt(0)
	v_div_scale_f64 v[6:7], s[2:3], v[4:5], v[4:5], v[1:2]
	s_add_i32 s2, s4, -1
	v_rcp_f64_e32 v[10:11], v[6:7]
	v_fma_f64 v[12:13], -v[6:7], v[10:11], 1.0
	v_fma_f64 v[10:11], v[10:11], v[12:13], v[10:11]
	v_div_scale_f64 v[12:13], vcc, v[1:2], v[4:5], v[1:2]
	v_fma_f64 v[14:15], -v[6:7], v[10:11], 1.0
	v_fma_f64 v[10:11], v[10:11], v[14:15], v[10:11]
	v_mul_f64 v[14:15], v[12:13], v[10:11]
	v_fma_f64 v[6:7], -v[6:7], v[14:15], v[12:13]
	v_div_fmas_f64 v[6:7], v[6:7], v[10:11], v[14:15]
	v_div_fixup_f64 v[1:2], v[6:7], v[4:5], v[1:2]
	ds_write_b64 v3, v[1:2]
.LBB101_58:
	s_cmp_eq_u32 s4, 0
	s_cbranch_scc1 .LBB101_65
; %bb.59:
	s_mul_i32 s3, s23, 0xe0
	v_lshl_add_u32 v1, v0, 3, s3
	s_mul_i32 s3, s2, 0xe0
	s_lshl_b32 s4, s23, 3
	s_add_i32 s4, s3, s4
	v_add_u32_e32 v5, 0x17a0, v1
	s_add_i32 s3, s4, -8
	s_addk_i32 s4, 0xff18
	s_branch .LBB101_61
.LBB101_60:                             ;   in Loop: Header=BB101_61 Depth=1
	s_addk_i32 s5, 0xff18
	v_mov_b32_e32 v3, s5
	ds_read_b64 v[3:4], v3
	s_add_i32 s2, s2, -2
	s_addk_i32 s3, 0xfe40
	s_addk_i32 s4, 0xfe40
	s_cmp_eq_u32 s6, 0
	s_waitcnt lgkmcnt(0)
	v_div_scale_f64 v[10:11], s[12:13], v[3:4], v[3:4], v[1:2]
	v_div_scale_f64 v[16:17], vcc, v[1:2], v[3:4], v[1:2]
	v_rcp_f64_e32 v[12:13], v[10:11]
	v_fma_f64 v[14:15], -v[10:11], v[12:13], 1.0
	v_fma_f64 v[12:13], v[12:13], v[14:15], v[12:13]
	v_fma_f64 v[14:15], -v[10:11], v[12:13], 1.0
	v_fma_f64 v[12:13], v[12:13], v[14:15], v[12:13]
	v_mul_f64 v[14:15], v[16:17], v[12:13]
	v_fma_f64 v[10:11], -v[10:11], v[14:15], v[16:17]
	v_div_fmas_f64 v[10:11], v[10:11], v[12:13], v[14:15]
	v_div_fixup_f64 v[1:2], v[10:11], v[3:4], v[1:2]
	ds_write_b64 v7, v[1:2]
	s_cbranch_scc1 .LBB101_65
.LBB101_61:                             ; =>This Loop Header: Depth=1
                                        ;     Child Loop BB101_62 Depth 2
                                        ;     Child Loop BB101_64 Depth 2
	s_mul_i32 s5, s2, 0xe0
	v_add_u32_e32 v6, s5, v9
	ds_read_b64 v[3:4], v6
	s_cmp_le_i32 s8, s2
	s_mov_b32 s5, s3
	v_mov_b32_e32 v1, v5
	s_mov_b32 s6, s8
	s_cbranch_scc1 .LBB101_63
.LBB101_62:                             ;   Parent Loop BB101_61 Depth=1
                                        ; =>  This Inner Loop Header: Depth=2
	v_mov_b32_e32 v2, s5
	ds_read_b64 v[7:8], v1
	ds_read_b64 v[10:11], v2
	s_add_i32 s6, s6, -1
	s_add_i32 s5, s5, -8
	s_cmp_le_u32 s6, s2
	v_add_u32_e32 v1, 0xffffff20, v1
	s_waitcnt lgkmcnt(0)
	v_fma_f64 v[3:4], -v[7:8], v[10:11], v[3:4]
	s_cbranch_scc0 .LBB101_62
.LBB101_63:                             ;   in Loop: Header=BB101_61 Depth=1
	s_mul_i32 s5, s2, 0xe8
	v_mov_b32_e32 v1, s5
	ds_read_b64 v[10:11], v1
	v_add_u32_e32 v7, 0xffffff20, v6
	ds_read_b64 v[1:2], v7
	s_mov_b32 s9, s8
	s_waitcnt lgkmcnt(1)
	v_div_scale_f64 v[12:13], s[6:7], v[10:11], v[10:11], v[3:4]
	s_add_i32 s6, s2, -1
	s_mov_b32 s7, s4
	s_cmp_le_i32 s23, s2
	v_rcp_f64_e32 v[14:15], v[12:13]
	v_fma_f64 v[16:17], -v[12:13], v[14:15], 1.0
	v_fma_f64 v[14:15], v[14:15], v[16:17], v[14:15]
	v_div_scale_f64 v[16:17], vcc, v[3:4], v[10:11], v[3:4]
	v_fma_f64 v[18:19], -v[12:13], v[14:15], 1.0
	v_fma_f64 v[14:15], v[14:15], v[18:19], v[14:15]
	v_mul_f64 v[18:19], v[16:17], v[14:15]
	v_fma_f64 v[12:13], -v[12:13], v[18:19], v[16:17]
	v_div_fmas_f64 v[12:13], v[12:13], v[14:15], v[18:19]
	v_div_fixup_f64 v[10:11], v[12:13], v[10:11], v[3:4]
	v_mov_b32_e32 v3, v5
	ds_write_b64 v6, v[10:11]
	s_cbranch_scc1 .LBB101_60
.LBB101_64:                             ;   Parent Loop BB101_61 Depth=1
                                        ; =>  This Inner Loop Header: Depth=2
	v_mov_b32_e32 v4, s7
	ds_read_b64 v[10:11], v3
	ds_read_b64 v[12:13], v4
	s_add_i32 s9, s9, -1
	s_add_i32 s7, s7, -8
	s_cmp_gt_u32 s9, s6
	v_add_u32_e32 v3, 0xffffff20, v3
	s_waitcnt lgkmcnt(0)
	v_fma_f64 v[1:2], -v[10:11], v[12:13], v[1:2]
	s_cbranch_scc1 .LBB101_64
	s_branch .LBB101_60
.LBB101_65:
	s_mov_b64 s[6:7], 0
.LBB101_66:
	s_andn2_b64 vcc, exec, s[6:7]
	s_cbranch_vccnz .LBB101_78
; %bb.67:
	v_mov_b32_e32 v1, 0x1880
	v_lshl_add_u32 v9, v0, 3, v1
	s_cmp_lt_i32 s22, 4
	s_mov_b32 s4, 0
	s_cbranch_scc1 .LBB101_73
; %bb.68:
	s_mov_b32 s2, 0
	s_mov_b32 s3, 0
.LBB101_69:                             ; =>This Loop Header: Depth=1
                                        ;     Child Loop BB101_70 Depth 2
	s_mul_i32 s4, s3, 28
	v_lshl_add_u32 v10, s4, 3, v9
	ds_read2_b64 v[5:8], v10 offset1:28
	ds_read2_b64 v[1:4], v10 offset0:56 offset1:84
	s_cmp_eq_u32 s3, 0
	s_mov_b32 s5, s2
	v_mov_b32_e32 v11, v9
	s_mov_b32 s6, s3
	s_cbranch_scc1 .LBB101_71
.LBB101_70:                             ;   Parent Loop BB101_69 Depth=1
                                        ; =>  This Inner Loop Header: Depth=2
	v_mov_b32_e32 v16, s5
	ds_read_b64 v[20:21], v11
	ds_read2_b64 v[12:15], v16 offset1:28
	ds_read2_b64 v[16:19], v16 offset0:56 offset1:84
	s_add_i32 s6, s6, -1
	s_add_i32 s5, s5, 8
	s_cmp_eq_u32 s6, 0
	s_waitcnt lgkmcnt(1)
	v_fma_f64 v[5:6], -v[20:21], v[12:13], v[5:6]
	v_fma_f64 v[7:8], -v[20:21], v[14:15], v[7:8]
	s_waitcnt lgkmcnt(0)
	v_fma_f64 v[1:2], -v[20:21], v[16:17], v[1:2]
	v_fma_f64 v[3:4], -v[20:21], v[18:19], v[3:4]
	v_add_u32_e32 v11, 0xe0, v11
	s_cbranch_scc0 .LBB101_70
.LBB101_71:                             ;   in Loop: Header=BB101_69 Depth=1
	s_mul_i32 s5, s3, 0xe8
	v_mov_b32_e32 v11, s5
	ds_read_b64 v[15:16], v11
	s_lshl_b32 s4, s4, 3
	s_lshl_b32 s5, s3, 3
	s_add_i32 s4, s4, s5
	v_mov_b32_e32 v25, s4
	s_waitcnt lgkmcnt(0)
	v_div_scale_f64 v[17:18], s[4:5], v[15:16], v[15:16], v[5:6]
	ds_read_b128 v[11:14], v25 offset:224
	s_addk_i32 s2, 0x380
	v_rcp_f64_e32 v[19:20], v[17:18]
	v_fma_f64 v[21:22], -v[17:18], v[19:20], 1.0
	v_fma_f64 v[19:20], v[19:20], v[21:22], v[19:20]
	v_div_scale_f64 v[21:22], vcc, v[5:6], v[15:16], v[5:6]
	v_fma_f64 v[23:24], -v[17:18], v[19:20], 1.0
	v_fma_f64 v[19:20], v[19:20], v[23:24], v[19:20]
	v_mul_f64 v[23:24], v[21:22], v[19:20]
	v_fma_f64 v[17:18], -v[17:18], v[23:24], v[21:22]
	v_div_fmas_f64 v[17:18], v[17:18], v[19:20], v[23:24]
	v_div_fixup_f64 v[15:16], v[17:18], v[15:16], v[5:6]
	s_waitcnt lgkmcnt(0)
	v_fma_f64 v[11:12], -v[15:16], v[11:12], v[7:8]
	v_div_scale_f64 v[5:6], s[4:5], v[13:14], v[13:14], v[11:12]
	v_rcp_f64_e32 v[7:8], v[5:6]
	v_fma_f64 v[17:18], -v[5:6], v[7:8], 1.0
	v_fma_f64 v[7:8], v[7:8], v[17:18], v[7:8]
	v_div_scale_f64 v[17:18], vcc, v[11:12], v[13:14], v[11:12]
	v_fma_f64 v[19:20], -v[5:6], v[7:8], 1.0
	v_fma_f64 v[7:8], v[7:8], v[19:20], v[7:8]
	v_mul_f64 v[19:20], v[17:18], v[7:8]
	v_fma_f64 v[5:6], -v[5:6], v[19:20], v[17:18]
	v_div_fmas_f64 v[17:18], v[5:6], v[7:8], v[19:20]
	ds_read_b128 v[5:8], v25 offset:448
	ds_read_b64 v[19:20], v25 offset:464
	s_waitcnt lgkmcnt(1)
	v_fma_f64 v[1:2], -v[15:16], v[5:6], v[1:2]
	v_div_fixup_f64 v[17:18], v[17:18], v[13:14], v[11:12]
	v_fma_f64 v[1:2], -v[17:18], v[7:8], v[1:2]
	s_waitcnt lgkmcnt(0)
	v_div_scale_f64 v[5:6], s[4:5], v[19:20], v[19:20], v[1:2]
	v_rcp_f64_e32 v[7:8], v[5:6]
	v_fma_f64 v[11:12], -v[5:6], v[7:8], 1.0
	v_fma_f64 v[7:8], v[7:8], v[11:12], v[7:8]
	v_div_scale_f64 v[11:12], vcc, v[1:2], v[19:20], v[1:2]
	v_fma_f64 v[13:14], -v[5:6], v[7:8], 1.0
	v_fma_f64 v[7:8], v[7:8], v[13:14], v[7:8]
	v_mul_f64 v[13:14], v[11:12], v[7:8]
	v_fma_f64 v[5:6], -v[5:6], v[13:14], v[11:12]
	v_div_fmas_f64 v[21:22], v[5:6], v[7:8], v[13:14]
	ds_read_b128 v[5:8], v25 offset:672
	ds_read_b128 v[11:14], v25 offset:688
	ds_write2_b64 v10, v[15:16], v[17:18] offset1:28
	s_waitcnt lgkmcnt(2)
	v_fma_f64 v[3:4], -v[15:16], v[5:6], v[3:4]
	v_fma_f64 v[3:4], -v[17:18], v[7:8], v[3:4]
	v_div_fixup_f64 v[1:2], v[21:22], v[19:20], v[1:2]
	s_waitcnt lgkmcnt(1)
	v_fma_f64 v[3:4], -v[1:2], v[11:12], v[3:4]
	v_div_scale_f64 v[5:6], s[4:5], v[13:14], v[13:14], v[3:4]
	v_div_scale_f64 v[19:20], vcc, v[3:4], v[13:14], v[3:4]
	s_add_i32 s4, s3, 4
	s_add_i32 s3, s3, 7
	s_cmp_ge_i32 s3, s23
	v_rcp_f64_e32 v[7:8], v[5:6]
	v_fma_f64 v[11:12], -v[5:6], v[7:8], 1.0
	v_fma_f64 v[7:8], v[7:8], v[11:12], v[7:8]
	v_fma_f64 v[11:12], -v[5:6], v[7:8], 1.0
	v_fma_f64 v[7:8], v[7:8], v[11:12], v[7:8]
	v_mul_f64 v[11:12], v[19:20], v[7:8]
	v_fma_f64 v[5:6], -v[5:6], v[11:12], v[19:20]
	v_div_fmas_f64 v[5:6], v[5:6], v[7:8], v[11:12]
	v_div_fixup_f64 v[3:4], v[5:6], v[13:14], v[3:4]
	ds_write2_b64 v10, v[1:2], v[3:4] offset0:56 offset1:84
	s_cbranch_scc1 .LBB101_73
; %bb.72:                               ;   in Loop: Header=BB101_69 Depth=1
	s_mov_b32 s3, s4
	s_branch .LBB101_69
.LBB101_73:
	s_cmp_ge_i32 s4, s23
	s_cbranch_scc1 .LBB101_78
; %bb.74:
	v_mov_b32_e32 v1, 0x1880
	v_lshl_add_u32 v3, v0, 3, v1
	s_mul_i32 s2, s4, 0xe0
	s_branch .LBB101_76
.LBB101_75:                             ;   in Loop: Header=BB101_76 Depth=1
	s_mul_i32 s3, s4, 0xe8
	v_mov_b32_e32 v5, s3
	ds_read_b64 v[5:6], v5
	s_add_i32 s4, s4, 1
	s_addk_i32 s2, 0xe0
	s_cmp_ge_i32 s4, s23
	s_waitcnt lgkmcnt(0)
	v_div_scale_f64 v[7:8], s[6:7], v[5:6], v[5:6], v[1:2]
	v_div_scale_f64 v[14:15], vcc, v[1:2], v[5:6], v[1:2]
	v_rcp_f64_e32 v[10:11], v[7:8]
	v_fma_f64 v[12:13], -v[7:8], v[10:11], 1.0
	v_fma_f64 v[10:11], v[10:11], v[12:13], v[10:11]
	v_fma_f64 v[12:13], -v[7:8], v[10:11], 1.0
	v_fma_f64 v[10:11], v[10:11], v[12:13], v[10:11]
	v_mul_f64 v[12:13], v[14:15], v[10:11]
	v_fma_f64 v[7:8], -v[7:8], v[12:13], v[14:15]
	v_div_fmas_f64 v[7:8], v[7:8], v[10:11], v[12:13]
	v_div_fixup_f64 v[1:2], v[7:8], v[5:6], v[1:2]
	ds_write_b64 v4, v[1:2]
	s_cbranch_scc1 .LBB101_78
.LBB101_76:                             ; =>This Loop Header: Depth=1
                                        ;     Child Loop BB101_77 Depth 2
	s_mul_i32 s3, s4, 0xe0
	v_add_u32_e32 v4, s3, v9
	ds_read_b64 v[1:2], v4
	s_cmp_eq_u32 s4, 0
	s_mov_b32 s3, s2
	v_mov_b32_e32 v5, v3
	s_mov_b32 s5, s4
	s_cbranch_scc1 .LBB101_75
.LBB101_77:                             ;   Parent Loop BB101_76 Depth=1
                                        ; =>  This Inner Loop Header: Depth=2
	v_mov_b32_e32 v8, s3
	ds_read_b64 v[6:7], v5
	ds_read_b64 v[10:11], v8
	s_add_i32 s5, s5, -1
	s_add_i32 s3, s3, 8
	s_cmp_eq_u32 s5, 0
	v_add_u32_e32 v5, 0xe0, v5
	s_waitcnt lgkmcnt(0)
	v_fma_f64 v[1:2], -v[6:7], v[10:11], v[1:2]
	s_cbranch_scc0 .LBB101_77
	s_branch .LBB101_75
.LBB101_78:
	s_and_saveexec_b64 s[2:3], s[0:1]
	s_cbranch_execz .LBB101_82
; %bb.79:
	s_cmp_lt_i32 s22, 1
	s_cbranch_scc1 .LBB101_82
; %bb.80:
	s_ashr_i32 s11, s10, 31
	v_lshlrev_b32_e32 v2, 3, v0
	v_mov_b32_e32 v1, s15
	v_add_co_u32_e32 v0, vcc, s14, v2
	s_lshl_b64 s[0:1], s[10:11], 3
	v_addc_co_u32_e32 v1, vcc, 0, v1, vcc
	v_add_u32_e32 v2, 0x1880, v2
	v_mov_b32_e32 v3, s1
.LBB101_81:                             ; =>This Inner Loop Header: Depth=1
	ds_read_b64 v[4:5], v2
	s_add_i32 s22, s22, -1
	v_add_u32_e32 v2, 0xe0, v2
	s_cmp_lg_u32 s22, 0
	s_waitcnt lgkmcnt(0)
	global_store_dwordx2 v[0:1], v[4:5], off
	v_add_co_u32_e32 v0, vcc, s0, v0
	v_addc_co_u32_e32 v1, vcc, v1, v3, vcc
	s_cbranch_scc1 .LBB101_81
.LBB101_82:
	s_endpgm
	.section	.rodata,"a",@progbits
	.p2align	6, 0x0
	.amdhsa_kernel _ZL31rocblas_trsm_small_right_deviceIddPKdPdLi28EEv13rocblas_fill_18rocblas_operation_17rocblas_diagonal_iiT0_T1_lilT2_lili
		.amdhsa_group_segment_fixed_size 12544
		.amdhsa_private_segment_fixed_size 0
		.amdhsa_kernarg_size 360
		.amdhsa_user_sgpr_count 6
		.amdhsa_user_sgpr_private_segment_buffer 1
		.amdhsa_user_sgpr_dispatch_ptr 0
		.amdhsa_user_sgpr_queue_ptr 0
		.amdhsa_user_sgpr_kernarg_segment_ptr 1
		.amdhsa_user_sgpr_dispatch_id 0
		.amdhsa_user_sgpr_flat_scratch_init 0
		.amdhsa_user_sgpr_private_segment_size 0
		.amdhsa_uses_dynamic_stack 0
		.amdhsa_system_sgpr_private_segment_wavefront_offset 0
		.amdhsa_system_sgpr_workgroup_id_x 1
		.amdhsa_system_sgpr_workgroup_id_y 0
		.amdhsa_system_sgpr_workgroup_id_z 1
		.amdhsa_system_sgpr_workgroup_info 0
		.amdhsa_system_vgpr_workitem_id 0
		.amdhsa_next_free_vgpr 85
		.amdhsa_next_free_sgpr 98
		.amdhsa_reserve_vcc 1
		.amdhsa_reserve_flat_scratch 0
		.amdhsa_float_round_mode_32 0
		.amdhsa_float_round_mode_16_64 0
		.amdhsa_float_denorm_mode_32 3
		.amdhsa_float_denorm_mode_16_64 3
		.amdhsa_dx10_clamp 1
		.amdhsa_ieee_mode 1
		.amdhsa_fp16_overflow 0
		.amdhsa_exception_fp_ieee_invalid_op 0
		.amdhsa_exception_fp_denorm_src 0
		.amdhsa_exception_fp_ieee_div_zero 0
		.amdhsa_exception_fp_ieee_overflow 0
		.amdhsa_exception_fp_ieee_underflow 0
		.amdhsa_exception_fp_ieee_inexact 0
		.amdhsa_exception_int_div_zero 0
	.end_amdhsa_kernel
	.section	.text._ZL31rocblas_trsm_small_right_deviceIddPKdPdLi28EEv13rocblas_fill_18rocblas_operation_17rocblas_diagonal_iiT0_T1_lilT2_lili,"axG",@progbits,_ZL31rocblas_trsm_small_right_deviceIddPKdPdLi28EEv13rocblas_fill_18rocblas_operation_17rocblas_diagonal_iiT0_T1_lilT2_lili,comdat
.Lfunc_end101:
	.size	_ZL31rocblas_trsm_small_right_deviceIddPKdPdLi28EEv13rocblas_fill_18rocblas_operation_17rocblas_diagonal_iiT0_T1_lilT2_lili, .Lfunc_end101-_ZL31rocblas_trsm_small_right_deviceIddPKdPdLi28EEv13rocblas_fill_18rocblas_operation_17rocblas_diagonal_iiT0_T1_lilT2_lili
                                        ; -- End function
	.set _ZL31rocblas_trsm_small_right_deviceIddPKdPdLi28EEv13rocblas_fill_18rocblas_operation_17rocblas_diagonal_iiT0_T1_lilT2_lili.num_vgpr, 34
	.set _ZL31rocblas_trsm_small_right_deviceIddPKdPdLi28EEv13rocblas_fill_18rocblas_operation_17rocblas_diagonal_iiT0_T1_lilT2_lili.num_agpr, 0
	.set _ZL31rocblas_trsm_small_right_deviceIddPKdPdLi28EEv13rocblas_fill_18rocblas_operation_17rocblas_diagonal_iiT0_T1_lilT2_lili.numbered_sgpr, 26
	.set _ZL31rocblas_trsm_small_right_deviceIddPKdPdLi28EEv13rocblas_fill_18rocblas_operation_17rocblas_diagonal_iiT0_T1_lilT2_lili.num_named_barrier, 0
	.set _ZL31rocblas_trsm_small_right_deviceIddPKdPdLi28EEv13rocblas_fill_18rocblas_operation_17rocblas_diagonal_iiT0_T1_lilT2_lili.private_seg_size, 0
	.set _ZL31rocblas_trsm_small_right_deviceIddPKdPdLi28EEv13rocblas_fill_18rocblas_operation_17rocblas_diagonal_iiT0_T1_lilT2_lili.uses_vcc, 1
	.set _ZL31rocblas_trsm_small_right_deviceIddPKdPdLi28EEv13rocblas_fill_18rocblas_operation_17rocblas_diagonal_iiT0_T1_lilT2_lili.uses_flat_scratch, 0
	.set _ZL31rocblas_trsm_small_right_deviceIddPKdPdLi28EEv13rocblas_fill_18rocblas_operation_17rocblas_diagonal_iiT0_T1_lilT2_lili.has_dyn_sized_stack, 0
	.set _ZL31rocblas_trsm_small_right_deviceIddPKdPdLi28EEv13rocblas_fill_18rocblas_operation_17rocblas_diagonal_iiT0_T1_lilT2_lili.has_recursion, 0
	.set _ZL31rocblas_trsm_small_right_deviceIddPKdPdLi28EEv13rocblas_fill_18rocblas_operation_17rocblas_diagonal_iiT0_T1_lilT2_lili.has_indirect_call, 0
	.section	.AMDGPU.csdata,"",@progbits
; Kernel info:
; codeLenInByte = 5924
; TotalNumSgprs: 30
; NumVgprs: 34
; ScratchSize: 0
; MemoryBound: 0
; FloatMode: 240
; IeeeMode: 1
; LDSByteSize: 12544 bytes/workgroup (compile time only)
; SGPRBlocks: 12
; VGPRBlocks: 21
; NumSGPRsForWavesPerEU: 102
; NumVGPRsForWavesPerEU: 85
; Occupancy: 2
; WaveLimiterHint : 0
; COMPUTE_PGM_RSRC2:SCRATCH_EN: 0
; COMPUTE_PGM_RSRC2:USER_SGPR: 6
; COMPUTE_PGM_RSRC2:TRAP_HANDLER: 0
; COMPUTE_PGM_RSRC2:TGID_X_EN: 1
; COMPUTE_PGM_RSRC2:TGID_Y_EN: 0
; COMPUTE_PGM_RSRC2:TGID_Z_EN: 1
; COMPUTE_PGM_RSRC2:TIDIG_COMP_CNT: 0
	.section	.text._ZL38rocblas_trsm_small_left_device_sharedBILi32ELi32ELb0EddPKdPdEv13rocblas_fill_18rocblas_operation_17rocblas_diagonal_iiT3_T4_lilT5_lili,"axG",@progbits,_ZL38rocblas_trsm_small_left_device_sharedBILi32ELi32ELb0EddPKdPdEv13rocblas_fill_18rocblas_operation_17rocblas_diagonal_iiT3_T4_lilT5_lili,comdat
	.globl	_ZL38rocblas_trsm_small_left_device_sharedBILi32ELi32ELb0EddPKdPdEv13rocblas_fill_18rocblas_operation_17rocblas_diagonal_iiT3_T4_lilT5_lili ; -- Begin function _ZL38rocblas_trsm_small_left_device_sharedBILi32ELi32ELb0EddPKdPdEv13rocblas_fill_18rocblas_operation_17rocblas_diagonal_iiT3_T4_lilT5_lili
	.p2align	8
	.type	_ZL38rocblas_trsm_small_left_device_sharedBILi32ELi32ELb0EddPKdPdEv13rocblas_fill_18rocblas_operation_17rocblas_diagonal_iiT3_T4_lilT5_lili,@function
_ZL38rocblas_trsm_small_left_device_sharedBILi32ELi32ELb0EddPKdPdEv13rocblas_fill_18rocblas_operation_17rocblas_diagonal_iiT3_T4_lilT5_lili: ; @_ZL38rocblas_trsm_small_left_device_sharedBILi32ELi32ELb0EddPKdPdEv13rocblas_fill_18rocblas_operation_17rocblas_diagonal_iiT3_T4_lilT5_lili
; %bb.0:
	s_load_dwordx4 s[8:11], s[4:5], 0x4
	s_load_dwordx4 s[12:15], s[4:5], 0x18
	s_load_dwordx2 s[20:21], s[4:5], 0x28
	s_load_dwordx4 s[0:3], s[4:5], 0x38
	s_load_dwordx2 s[16:17], s[4:5], 0x48
	s_waitcnt lgkmcnt(0)
	s_min_i32 s22, s10, 32
	v_cmp_gt_i32_e32 vcc, s22, v0
	s_and_saveexec_b64 s[18:19], vcc
	s_cbranch_execz .LBB102_6
; %bb.1:
	s_load_dword s24, s[4:5], 0x30
	s_mul_i32 s1, s1, s7
	s_mul_hi_u32 s23, s0, s7
	s_mul_i32 s0, s0, s7
	s_add_i32 s1, s23, s1
	s_waitcnt lgkmcnt(0)
	s_ashr_i32 s25, s24, 31
	s_lshl_b64 s[0:1], s[0:1], 3
	s_add_u32 s14, s14, s0
	s_addc_u32 s15, s15, s1
	s_lshl_b64 s[0:1], s[20:21], 3
	s_add_u32 s0, s14, s0
	s_addc_u32 s1, s15, s1
	v_lshlrev_b32_e32 v3, 3, v0
	v_mov_b32_e32 v2, s1
	v_add_co_u32_e32 v1, vcc, s0, v3
	s_lshl_b64 s[0:1], s[24:25], 3
	v_addc_co_u32_e32 v2, vcc, 0, v2, vcc
	v_mov_b32_e32 v4, s1
	v_mov_b32_e32 v5, v3
	s_mov_b32 s1, s22
.LBB102_2:                              ; =>This Inner Loop Header: Depth=1
	global_load_dwordx2 v[6:7], v[1:2], off
	v_add_co_u32_e32 v1, vcc, s0, v1
	s_add_i32 s1, s1, -1
	v_addc_co_u32_e32 v2, vcc, v2, v4, vcc
	s_cmp_eq_u32 s1, 0
	s_waitcnt vmcnt(0)
	ds_write_b64 v5, v[6:7]
	v_add_u32_e32 v5, 0x100, v5
	s_cbranch_scc0 .LBB102_2
; %bb.3:
	v_lshlrev_b32_e32 v4, 8, v0
	v_mov_b32_e32 v1, 0
	s_cmpk_lg_i32 s9, 0x84
	v_mov_b32_e32 v2, 0x3ff00000
	v_add_u32_e32 v3, v3, v4
	s_cbranch_scc0 .LBB102_5
; %bb.4:
	ds_read_b64 v[1:2], v3
	s_waitcnt lgkmcnt(0)
	v_div_scale_f64 v[4:5], s[0:1], v[1:2], v[1:2], 1.0
	v_div_scale_f64 v[10:11], vcc, 1.0, v[1:2], 1.0
	v_rcp_f64_e32 v[6:7], v[4:5]
	v_fma_f64 v[8:9], -v[4:5], v[6:7], 1.0
	v_fma_f64 v[6:7], v[6:7], v[8:9], v[6:7]
	v_fma_f64 v[8:9], -v[4:5], v[6:7], 1.0
	v_fma_f64 v[6:7], v[6:7], v[8:9], v[6:7]
	v_mul_f64 v[8:9], v[10:11], v[6:7]
	v_fma_f64 v[4:5], -v[4:5], v[8:9], v[10:11]
	v_div_fmas_f64 v[4:5], v[4:5], v[6:7], v[8:9]
	v_div_fixup_f64 v[1:2], v[4:5], v[1:2], 1.0
.LBB102_5:
	ds_write_b64 v3, v[1:2]
.LBB102_6:
	s_or_b64 exec, exec, s[18:19]
	s_load_dword s0, s[4:5], 0x68
	s_load_dwordx2 s[14:15], s[4:5], 0x58
	s_load_dword s9, s[4:5], 0x50
	s_waitcnt lgkmcnt(0)
	s_mul_i32 s1, s15, s7
	s_mul_hi_u32 s5, s14, s7
	s_mul_i32 s4, s14, s7
	s_add_i32 s5, s5, s1
	s_lshl_b64 s[4:5], s[4:5], 3
	s_add_u32 s1, s2, s4
	s_addc_u32 s4, s3, s5
	s_lshl_b64 s[2:3], s[16:17], 3
	s_add_u32 s2, s1, s2
	s_addc_u32 s3, s4, s3
	s_lshl_b32 s4, s6, 5
	s_add_i32 s0, s0, -1
	s_sub_i32 s1, s11, s4
	s_cmp_ge_u32 s6, s0
	s_cselect_b32 s5, s1, 32
	s_mul_hi_i32 s1, s9, s4
	s_mul_i32 s0, s9, s4
	s_lshl_b64 s[0:1], s[0:1], 3
	s_add_u32 s6, s2, s0
	s_addc_u32 s7, s3, s1
	s_cmp_gt_i32 s10, 0
	v_cmp_gt_i32_e64 s[0:1], s5, v0
	s_cselect_b64 s[2:3], -1, 0
	s_and_b64 s[14:15], s[0:1], s[2:3]
	s_and_saveexec_b64 s[4:5], s[14:15]
	s_cbranch_execz .LBB102_9
; %bb.7:
	v_mad_i64_i32 v[1:2], s[14:15], s9, v0, 0
	v_mov_b32_e32 v3, s7
	s_mov_b32 s11, s22
	v_lshlrev_b64 v[1:2], 3, v[1:2]
	v_add_co_u32_e32 v1, vcc, s6, v1
	v_addc_co_u32_e32 v2, vcc, v3, v2, vcc
	v_mov_b32_e32 v3, 0x2000
	v_lshl_or_b32 v3, v0, 3, v3
.LBB102_8:                              ; =>This Inner Loop Header: Depth=1
	global_load_dwordx2 v[4:5], v[1:2], off
	s_add_i32 s11, s11, -1
	v_add_co_u32_e32 v1, vcc, 8, v1
	v_addc_co_u32_e32 v2, vcc, 0, v2, vcc
	s_cmp_lg_u32 s11, 0
	s_waitcnt vmcnt(0)
	v_mul_f64 v[4:5], s[12:13], v[4:5]
	ds_write_b64 v3, v[4:5]
	v_add_u32_e32 v3, 0x100, v3
	s_cbranch_scc1 .LBB102_8
.LBB102_9:
	s_or_b64 exec, exec, s[4:5]
	v_mov_b32_e32 v1, 0x2000
	s_cmpk_eq_i32 s8, 0x6f
	v_lshl_or_b32 v57, v0, 3, v1
	s_mov_b64 s[4:5], -1
	s_waitcnt lgkmcnt(0)
	; wave barrier
	s_cbranch_scc1 .LBB102_24
; %bb.10:
	s_cmp_gt_i32 s10, 31
	s_cselect_b64 s[4:5], -1, 0
	s_mov_b32 s14, 0
	s_and_b64 vcc, exec, s[4:5]
	s_cbranch_vccz .LBB102_12
; %bb.11:
	v_mov_b32_e32 v54, 0
	ds_read2_b64 v[1:4], v57 offset1:32
	ds_read2_b64 v[7:10], v54 offset1:66
	ds_read_b128 v[11:14], v54 offset:256
	ds_read2_b64 v[15:18], v57 offset0:64 offset1:96
	ds_read_b128 v[19:22], v54 offset:512
	v_add_u32_e32 v55, 0x800, v57
	ds_read2_b64 v[23:26], v57 offset0:128 offset1:160
	ds_read2_b64 v[27:30], v57 offset0:192 offset1:224
	v_add_u32_e32 v53, 0x1000, v57
	s_waitcnt lgkmcnt(5)
	v_mul_f64 v[5:6], v[7:8], v[1:2]
	ds_read2_b64 v[31:34], v55 offset1:32
	s_movk_i32 s8, 0x800
	v_add_u32_e64 v56, s8, 0
	s_movk_i32 s8, 0x1000
	s_mov_b32 s14, 32
	s_waitcnt lgkmcnt(5)
	v_fma_f64 v[1:2], -v[5:6], v[11:12], v[3:4]
	s_waitcnt lgkmcnt(3)
	v_fma_f64 v[15:16], -v[5:6], v[19:20], v[15:16]
	v_mul_f64 v[7:8], v[13:14], v[1:2]
	ds_read2_b64 v[35:38], v55 offset0:64 offset1:96
	ds_read_b128 v[11:14], v54 offset:768
	ds_read2_b64 v[39:42], v55 offset0:128 offset1:160
	ds_read2_b64 v[43:46], v55 offset0:192 offset1:224
	ds_read2_b64 v[1:4], v53 offset1:32
	ds_read_b128 v[47:50], v54 offset:784
	s_waitcnt lgkmcnt(4)
	v_fma_f64 v[11:12], -v[5:6], v[11:12], v[17:18]
	v_fma_f64 v[51:52], -v[7:8], v[21:22], v[15:16]
	ds_read_b128 v[15:18], v54 offset:1024
	ds_read_b128 v[19:22], v54 offset:1040
	ds_read2_b64 v[58:61], v54 offset0:132 offset1:198
	ds_read_b128 v[62:65], v54 offset:1280
	ds_read_b128 v[66:69], v54 offset:1296
	s_waitcnt lgkmcnt(4)
	v_fma_f64 v[15:16], -v[5:6], v[15:16], v[23:24]
	v_fma_f64 v[23:24], -v[7:8], v[13:14], v[11:12]
	ds_read_b128 v[70:73], v54 offset:1312
	ds_read_b128 v[11:14], v54 offset:1536
	ds_read_b128 v[74:77], v54 offset:1552
	ds_read_b128 v[78:81], v54 offset:1568
	ds_read_b128 v[82:85], v54 offset:1792
	ds_read_b128 v[86:89], v54 offset:1808
	s_waitcnt lgkmcnt(4)
	v_fma_f64 v[27:28], -v[5:6], v[11:12], v[27:28]
	s_waitcnt lgkmcnt(1)
	v_fma_f64 v[82:83], -v[5:6], v[82:83], v[29:30]
	v_mul_f64 v[9:10], v[9:10], v[51:52]
	v_fma_f64 v[51:52], -v[5:6], v[62:63], v[25:26]
	v_fma_f64 v[62:63], -v[7:8], v[17:18], v[15:16]
	;; [unrolled: 1-line block ×6, first 2 shown]
	ds_read_b128 v[23:26], v54 offset:1824
	ds_read_b128 v[90:93], v54 offset:1840
	;; [unrolled: 1-line block ×4, first 2 shown]
	v_fma_f64 v[74:75], -v[9:10], v[74:75], v[13:14]
	s_waitcnt lgkmcnt(1)
	v_fma_f64 v[15:16], -v[5:6], v[15:16], v[31:32]
	v_mul_f64 v[11:12], v[49:50], v[47:48]
	v_fma_f64 v[51:52], -v[9:10], v[66:67], v[51:52]
	v_fma_f64 v[31:32], -v[7:8], v[84:85], v[82:83]
	ds_read_b128 v[47:50], v54 offset:2080
	ds_read_b128 v[62:65], v54 offset:2096
	;; [unrolled: 1-line block ×4, first 2 shown]
	v_fma_f64 v[15:16], -v[7:8], v[17:18], v[15:16]
	v_fma_f64 v[66:67], -v[11:12], v[21:22], v[19:20]
	;; [unrolled: 1-line block ×5, first 2 shown]
	ds_read_b128 v[19:22], v54 offset:2336
	ds_read_b128 v[27:30], v54 offset:2352
	;; [unrolled: 1-line block ×4, first 2 shown]
	s_waitcnt lgkmcnt(8)
	v_fma_f64 v[94:95], -v[9:10], v[94:95], v[15:16]
	v_mul_f64 v[13:14], v[58:59], v[66:67]
	s_waitcnt lgkmcnt(5)
	v_fma_f64 v[58:59], -v[5:6], v[98:99], v[33:34]
	s_waitcnt lgkmcnt(0)
	v_fma_f64 v[35:36], -v[5:6], v[110:111], v[35:36]
	v_fma_f64 v[17:18], -v[11:12], v[88:89], v[17:18]
	ds_read_b128 v[66:69], v54 offset:2576
	ds_read_b128 v[82:85], v54 offset:2592
	;; [unrolled: 1-line block ×6, first 2 shown]
	v_fma_f64 v[94:95], -v[11:12], v[96:97], v[94:95]
	v_fma_f64 v[51:52], -v[13:14], v[70:71], v[51:52]
	;; [unrolled: 1-line block ×4, first 2 shown]
	s_waitcnt lgkmcnt(1)
	v_fma_f64 v[31:32], -v[5:6], v[31:32], v[37:38]
	v_fma_f64 v[17:18], -v[13:14], v[23:24], v[17:18]
	;; [unrolled: 1-line block ×3, first 2 shown]
	v_mul_f64 v[15:16], v[72:73], v[51:52]
	v_fma_f64 v[51:52], -v[7:8], v[112:113], v[35:36]
	v_fma_f64 v[58:59], -v[9:10], v[102:103], v[58:59]
	ds_read_b128 v[70:73], v54 offset:3072
	ds_read_b128 v[86:89], v54 offset:3088
	v_fma_f64 v[31:32], -v[7:8], v[33:34], v[31:32]
	ds_read_b128 v[35:38], v54 offset:3328
	v_add_u32_e64 v94, s8, 0
	s_waitcnt lgkmcnt(2)
	v_fma_f64 v[39:40], -v[5:6], v[70:71], v[39:40]
	v_fma_f64 v[23:24], -v[15:16], v[80:81], v[78:79]
	;; [unrolled: 1-line block ×7, first 2 shown]
	s_movk_i32 s8, 0x1800
	v_mul_f64 v[17:18], v[60:61], v[23:24]
	ds_read_b128 v[23:26], v54 offset:3344
	s_waitcnt lgkmcnt(1)
	v_fma_f64 v[35:36], -v[5:6], v[35:36], v[41:42]
	v_fma_f64 v[60:61], -v[7:8], v[72:73], v[39:40]
	;; [unrolled: 1-line block ×5, first 2 shown]
	ds_read_b128 v[31:34], v54 offset:2848
	ds_read_b128 v[39:42], v54 offset:2864
	v_fma_f64 v[49:50], -v[17:18], v[90:91], v[58:59]
	v_fma_f64 v[62:63], -v[17:18], v[62:63], v[47:48]
	;; [unrolled: 1-line block ×6, first 2 shown]
	s_waitcnt lgkmcnt(1)
	v_fma_f64 v[31:32], -v[13:14], v[31:32], v[66:67]
	v_mul_f64 v[19:20], v[92:93], v[49:50]
	ds_read_b128 v[35:38], v54 offset:3104
	ds_read_b128 v[47:50], v54 offset:3120
	;; [unrolled: 1-line block ×3, first 2 shown]
	v_fma_f64 v[23:24], -v[9:10], v[23:24], v[51:52]
	v_fma_f64 v[51:52], -v[11:12], v[88:89], v[70:71]
	;; [unrolled: 1-line block ×6, first 2 shown]
	ds_read_b128 v[62:65], v54 offset:3584
	ds_read2_b64 v[66:69], v56 offset0:8 offset1:74
	v_fma_f64 v[23:24], -v[11:12], v[25:26], v[23:24]
	s_waitcnt lgkmcnt(4)
	v_fma_f64 v[51:52], -v[13:14], v[35:36], v[51:52]
	v_fma_f64 v[70:71], -v[17:18], v[114:115], v[70:71]
	;; [unrolled: 1-line block ×3, first 2 shown]
	s_waitcnt lgkmcnt(1)
	v_fma_f64 v[43:44], -v[5:6], v[62:63], v[43:44]
	s_waitcnt lgkmcnt(0)
	v_mul_f64 v[21:22], v[66:67], v[27:28]
	ds_read_b128 v[25:28], v54 offset:2880
	ds_read_b128 v[29:32], v54 offset:2896
	v_fma_f64 v[23:24], -v[13:14], v[58:59], v[23:24]
	v_fma_f64 v[51:52], -v[15:16], v[37:38], v[51:52]
	;; [unrolled: 1-line block ×5, first 2 shown]
	ds_read_b128 v[33:36], v54 offset:3376
	ds_read_b128 v[37:40], v54 offset:3600
	v_fma_f64 v[70:71], -v[21:22], v[106:107], v[74:75]
	v_fma_f64 v[74:75], -v[15:16], v[60:61], v[23:24]
	;; [unrolled: 1-line block ×5, first 2 shown]
	s_waitcnt lgkmcnt(0)
	v_fma_f64 v[37:38], -v[9:10], v[37:38], v[72:73]
	ds_read_b128 v[62:65], v54 offset:3840
	ds_read_b128 v[58:61], v54 offset:3856
	v_mul_f64 v[23:24], v[108:109], v[70:71]
	v_fma_f64 v[33:34], -v[17:18], v[33:34], v[74:75]
	ds_read_b128 v[41:44], v54 offset:3616
	s_waitcnt lgkmcnt(2)
	v_fma_f64 v[62:63], -v[5:6], v[62:63], v[45:46]
	v_fma_f64 v[25:26], -v[21:22], v[25:26], v[51:52]
	;; [unrolled: 1-line block ×3, first 2 shown]
	ds_read_b128 v[45:48], v54 offset:3136
	v_fma_f64 v[51:52], -v[23:24], v[120:121], v[66:67]
	v_fma_f64 v[66:67], -v[11:12], v[39:40], v[37:38]
	v_fma_f64 v[72:73], -v[19:20], v[35:36], v[33:34]
	v_fma_f64 v[70:71], -v[7:8], v[64:65], v[62:63]
	v_fma_f64 v[27:28], -v[23:24], v[27:28], v[25:26]
	ds_read_b128 v[33:36], v54 offset:3392
	ds_read_b128 v[37:40], v54 offset:3152
	s_waitcnt lgkmcnt(2)
	v_fma_f64 v[45:46], -v[21:22], v[45:46], v[49:50]
	v_mul_f64 v[25:26], v[68:69], v[51:52]
	v_fma_f64 v[41:42], -v[13:14], v[41:42], v[66:67]
	ds_read_b128 v[49:52], v54 offset:3408
	ds_read_b128 v[62:65], v54 offset:4096
	v_fma_f64 v[58:59], -v[9:10], v[58:59], v[70:71]
	s_waitcnt lgkmcnt(3)
	v_fma_f64 v[33:34], -v[21:22], v[33:34], v[72:73]
	v_fma_f64 v[66:67], -v[23:24], v[47:48], v[45:46]
	;; [unrolled: 1-line block ×4, first 2 shown]
	ds_read_b128 v[45:48], v54 offset:3632
	s_waitcnt lgkmcnt(1)
	v_fma_f64 v[1:2], -v[5:6], v[62:63], v[1:2]
	v_fma_f64 v[62:63], -v[11:12], v[60:61], v[58:59]
	;; [unrolled: 1-line block ×3, first 2 shown]
	ds_read_b128 v[41:44], v54 offset:4112
	v_fma_f64 v[66:67], -v[25:26], v[37:38], v[66:67]
	v_mul_f64 v[27:28], v[31:32], v[27:28]
	ds_read_b128 v[31:34], v54 offset:3648
	s_waitcnt lgkmcnt(2)
	v_fma_f64 v[29:30], -v[17:18], v[45:46], v[29:30]
	ds_read_b128 v[35:38], v54 offset:3872
	ds_read_b128 v[58:61], v54 offset:3888
	v_fma_f64 v[1:2], -v[7:8], v[64:65], v[1:2]
	v_fma_f64 v[49:50], -v[25:26], v[49:50], v[68:69]
	s_waitcnt lgkmcnt(1)
	v_fma_f64 v[35:36], -v[13:14], v[35:36], v[62:63]
	v_fma_f64 v[66:67], -v[27:28], v[39:40], v[66:67]
	;; [unrolled: 1-line block ×3, first 2 shown]
	ds_read2_b64 v[45:48], v56 offset0:140 offset1:206
	v_add_u32_e32 v56, 0x1800, v57
	v_fma_f64 v[70:71], -v[9:10], v[41:42], v[1:2]
	ds_read_b128 v[39:42], v54 offset:4352
	ds_read_b128 v[62:65], v54 offset:4368
	v_fma_f64 v[49:50], -v[27:28], v[51:52], v[49:50]
	v_fma_f64 v[72:73], -v[15:16], v[37:38], v[35:36]
	s_waitcnt lgkmcnt(2)
	v_mul_f64 v[29:30], v[45:46], v[66:67]
	v_fma_f64 v[31:32], -v[21:22], v[31:32], v[68:69]
	s_waitcnt lgkmcnt(1)
	v_fma_f64 v[39:40], -v[5:6], v[39:40], v[3:4]
	ds_read_b128 v[1:4], v54 offset:3424
	v_fma_f64 v[51:52], -v[11:12], v[43:44], v[70:71]
	ds_read2_b64 v[35:38], v53 offset0:64 offset1:96
	ds_read_b128 v[43:46], v54 offset:4128
	v_fma_f64 v[58:59], -v[17:18], v[58:59], v[72:73]
	s_waitcnt lgkmcnt(2)
	v_fma_f64 v[1:2], -v[29:30], v[1:2], v[49:50]
	v_fma_f64 v[70:71], -v[23:24], v[33:34], v[31:32]
	;; [unrolled: 1-line block ×3, first 2 shown]
	ds_read_b128 v[39:42], v54 offset:4144
	s_waitcnt lgkmcnt(1)
	v_fma_f64 v[43:44], -v[13:14], v[43:44], v[51:52]
	ds_read_b128 v[31:34], v54 offset:3664
	ds_read_b128 v[49:52], v54 offset:3680
	v_fma_f64 v[74:75], -v[19:20], v[60:61], v[58:59]
	ds_read_b128 v[58:61], v54 offset:3904
	ds_read_b128 v[66:69], v54 offset:4608
	s_waitcnt lgkmcnt(3)
	v_fma_f64 v[70:71], -v[25:26], v[31:32], v[70:71]
	v_fma_f64 v[62:63], -v[9:10], v[62:63], v[72:73]
	v_mul_f64 v[31:32], v[3:4], v[1:2]
	v_fma_f64 v[72:73], -v[15:16], v[45:46], v[43:44]
	s_waitcnt lgkmcnt(0)
	v_fma_f64 v[35:36], -v[5:6], v[66:67], v[35:36]
	ds_read_b128 v[43:46], v54 offset:3920
	ds_read_b128 v[1:4], v54 offset:4384
	v_fma_f64 v[58:59], -v[21:22], v[58:59], v[74:75]
	v_fma_f64 v[62:63], -v[11:12], v[64:65], v[62:63]
	v_fma_f64 v[64:65], -v[27:28], v[33:34], v[70:71]
	v_fma_f64 v[39:40], -v[17:18], v[39:40], v[72:73]
	v_fma_f64 v[66:67], -v[7:8], v[68:69], v[35:36]
	v_fma_f64 v[68:69], -v[23:24], v[60:61], v[58:59]
	ds_read_b128 v[33:36], v54 offset:4400
	ds_read_b128 v[58:61], v54 offset:4624
	s_waitcnt lgkmcnt(2)
	v_fma_f64 v[1:2], -v[13:14], v[1:2], v[62:63]
	v_fma_f64 v[49:50], -v[29:30], v[49:50], v[64:65]
	;; [unrolled: 1-line block ×3, first 2 shown]
	ds_read_b128 v[62:65], v54 offset:4160
	s_waitcnt lgkmcnt(1)
	v_fma_f64 v[58:59], -v[9:10], v[58:59], v[66:67]
	ds_read_b128 v[39:42], v54 offset:4640
	v_fma_f64 v[43:44], -v[25:26], v[43:44], v[68:69]
	v_fma_f64 v[66:67], -v[15:16], v[3:4], v[1:2]
	;; [unrolled: 1-line block ×3, first 2 shown]
	ds_read_b128 v[49:52], v54 offset:4864
	ds_read_b128 v[1:4], v54 offset:4176
	s_waitcnt lgkmcnt(3)
	v_fma_f64 v[62:63], -v[21:22], v[62:63], v[70:71]
	v_fma_f64 v[70:71], -v[11:12], v[60:61], v[58:59]
	ds_read_b128 v[58:61], v54 offset:4880
	s_waitcnt lgkmcnt(2)
	v_fma_f64 v[49:50], -v[5:6], v[49:50], v[37:38]
	v_fma_f64 v[72:73], -v[27:28], v[45:46], v[43:44]
	v_fma_f64 v[66:67], -v[17:18], v[33:34], v[66:67]
	ds_read_b128 v[43:46], v54 offset:3936
	v_mul_f64 v[33:34], v[47:48], v[68:69]
	v_fma_f64 v[74:75], -v[23:24], v[64:65], v[62:63]
	ds_read_b128 v[62:65], v54 offset:3952
	v_fma_f64 v[51:52], -v[7:8], v[51:52], v[49:50]
	ds_read_b128 v[47:50], v54 offset:4416
	v_fma_f64 v[70:71], -v[13:14], v[39:40], v[70:71]
	s_waitcnt lgkmcnt(2)
	v_fma_f64 v[43:44], -v[29:30], v[43:44], v[72:73]
	v_fma_f64 v[35:36], -v[19:20], v[35:36], v[66:67]
	;; [unrolled: 1-line block ×3, first 2 shown]
	ds_read2_b64 v[37:40], v53 offset0:128 offset1:160
	v_fma_f64 v[51:52], -v[9:10], v[58:59], v[51:52]
	v_fma_f64 v[70:71], -v[15:16], v[41:42], v[70:71]
	;; [unrolled: 1-line block ×3, first 2 shown]
	ds_read_b128 v[41:44], v54 offset:4432
	ds_read_b128 v[66:69], v54 offset:4656
	s_waitcnt lgkmcnt(3)
	v_fma_f64 v[35:36], -v[21:22], v[47:48], v[35:36]
	v_fma_f64 v[58:59], -v[27:28], v[3:4], v[1:2]
	ds_read_b128 v[1:4], v54 offset:4672
	v_fma_f64 v[82:83], -v[11:12], v[60:61], v[51:52]
	s_waitcnt lgkmcnt(1)
	v_fma_f64 v[66:67], -v[17:18], v[66:67], v[70:71]
	ds_read_b128 v[45:48], v54 offset:5120
	ds_read_b128 v[70:73], v54 offset:4192
	;; [unrolled: 1-line block ×3, first 2 shown]
	v_fma_f64 v[62:63], -v[33:34], v[62:63], v[78:79]
	v_fma_f64 v[80:81], -v[23:24], v[49:50], v[35:36]
	s_waitcnt lgkmcnt(2)
	v_fma_f64 v[45:46], -v[5:6], v[45:46], v[37:38]
	ds_read_b128 v[35:38], v54 offset:4896
	s_waitcnt lgkmcnt(2)
	v_fma_f64 v[70:71], -v[29:30], v[70:71], v[58:59]
	ds_read_b128 v[58:61], v54 offset:4912
	v_fma_f64 v[66:67], -v[19:20], v[68:69], v[66:67]
	ds_read_b128 v[49:52], v54 offset:5136
	s_waitcnt lgkmcnt(2)
	v_fma_f64 v[35:36], -v[13:14], v[35:36], v[82:83]
	v_fma_f64 v[41:42], -v[25:26], v[41:42], v[80:81]
	;; [unrolled: 1-line block ×6, first 2 shown]
	v_mul_f64 v[35:36], v[64:65], v[62:63]
	s_waitcnt lgkmcnt(0)
	v_fma_f64 v[49:50], -v[9:10], v[49:50], v[45:46]
	v_fma_f64 v[62:63], -v[27:28], v[43:44], v[41:42]
	;; [unrolled: 1-line block ×4, first 2 shown]
	ds_read_b128 v[1:4], v54 offset:4448
	ds_read_b128 v[41:44], v54 offset:4464
	v_fma_f64 v[37:38], -v[17:18], v[58:59], v[37:38]
	ds_read_b128 v[45:48], v54 offset:4688
	v_fma_f64 v[68:69], -v[11:12], v[51:52], v[49:50]
	s_waitcnt lgkmcnt(2)
	v_fma_f64 v[1:2], -v[29:30], v[1:2], v[62:63]
	ds_read_b128 v[49:52], v54 offset:4704
	ds_read_b128 v[62:65], v54 offset:5152
	v_fma_f64 v[74:75], -v[35:36], v[76:77], v[70:71]
	s_waitcnt lgkmcnt(2)
	v_fma_f64 v[45:46], -v[25:26], v[45:46], v[66:67]
	v_fma_f64 v[37:38], -v[19:20], v[60:61], v[37:38]
	ds_read_b128 v[58:61], v54 offset:5168
	s_waitcnt lgkmcnt(1)
	v_fma_f64 v[62:63], -v[13:14], v[62:63], v[68:69]
	ds_read_b128 v[66:69], v54 offset:4928
	v_fma_f64 v[76:77], -v[31:32], v[3:4], v[1:2]
	ds_read_b128 v[1:4], v54 offset:4944
	;; [unrolled: 2-line block ×3, first 2 shown]
	s_waitcnt lgkmcnt(2)
	v_fma_f64 v[37:38], -v[21:22], v[66:67], v[37:38]
	v_fma_f64 v[66:67], -v[15:16], v[64:65], v[62:63]
	ds_read2_b64 v[62:65], v94 offset0:16 offset1:82
	ds_read_b128 v[70:73], v54 offset:5392
	s_waitcnt lgkmcnt(2)
	v_fma_f64 v[45:46], -v[5:6], v[45:46], v[39:40]
	v_fma_f64 v[76:77], -v[33:34], v[41:42], v[76:77]
	;; [unrolled: 1-line block ×4, first 2 shown]
	s_waitcnt lgkmcnt(1)
	v_mul_f64 v[37:38], v[62:63], v[74:75]
	v_fma_f64 v[58:59], -v[17:18], v[58:59], v[66:67]
	ds_read_b128 v[39:42], v54 offset:4480
	ds_read2_b64 v[66:69], v53 offset0:192 offset1:224
	v_fma_f64 v[62:63], -v[7:8], v[47:48], v[45:46]
	v_fma_f64 v[86:87], -v[35:36], v[43:44], v[76:77]
	;; [unrolled: 1-line block ×5, first 2 shown]
	ds_read_b128 v[43:46], v54 offset:4720
	ds_read_b128 v[47:50], v54 offset:4736
	;; [unrolled: 1-line block ×3, first 2 shown]
	s_waitcnt lgkmcnt(5)
	v_fma_f64 v[62:63], -v[9:10], v[70:71], v[62:63]
	ds_read_b128 v[74:77], v54 offset:5632
	s_waitcnt lgkmcnt(3)
	v_fma_f64 v[43:44], -v[33:34], v[43:44], v[51:52]
	v_fma_f64 v[39:40], -v[37:38], v[39:40], v[86:87]
	;; [unrolled: 1-line block ×3, first 2 shown]
	ds_read_b128 v[1:4], v54 offset:5200
	s_waitcnt lgkmcnt(2)
	v_fma_f64 v[58:59], -v[21:22], v[58:59], v[78:79]
	ds_read_b128 v[78:81], v54 offset:4960
	v_fma_f64 v[51:52], -v[11:12], v[72:73], v[62:63]
	ds_read_b128 v[70:73], v54 offset:4976
	v_mul_f64 v[39:40], v[41:42], v[39:40]
	s_waitcnt lgkmcnt(1)
	v_fma_f64 v[62:63], -v[29:30], v[78:79], v[82:83]
	ds_read_b128 v[82:85], v54 offset:5408
	v_fma_f64 v[66:67], -v[5:6], v[74:75], v[66:67]
	v_fma_f64 v[78:79], -v[23:24], v[60:61], v[58:59]
	ds_read_b128 v[58:61], v54 offset:5424
	s_waitcnt lgkmcnt(1)
	v_fma_f64 v[51:52], -v[13:14], v[82:83], v[51:52]
	v_fma_f64 v[82:83], -v[35:36], v[45:46], v[43:44]
	ds_read_b128 v[43:46], v54 offset:5664
	v_fma_f64 v[62:63], -v[31:32], v[80:81], v[62:63]
	v_fma_f64 v[66:67], -v[7:8], v[76:77], v[66:67]
	ds_read_b128 v[74:77], v54 offset:5648
	v_fma_f64 v[51:52], -v[15:16], v[84:85], v[51:52]
	v_fma_f64 v[41:42], -v[37:38], v[47:48], v[82:83]
	;; [unrolled: 1-line block ×3, first 2 shown]
	s_waitcnt lgkmcnt(0)
	v_fma_f64 v[66:67], -v[9:10], v[74:75], v[66:67]
	v_fma_f64 v[86:87], -v[39:40], v[49:50], v[41:42]
	ds_read_b128 v[47:50], v54 offset:5232
	v_fma_f64 v[1:2], -v[25:26], v[1:2], v[78:79]
	v_fma_f64 v[66:67], -v[11:12], v[76:77], v[66:67]
	;; [unrolled: 1-line block ×4, first 2 shown]
	ds_read_b128 v[1:4], v54 offset:5216
	v_fma_f64 v[51:52], -v[17:18], v[58:59], v[51:52]
	v_fma_f64 v[70:71], -v[13:14], v[43:44], v[66:67]
	ds_read_b128 v[41:44], v54 offset:5904
	s_waitcnt lgkmcnt(1)
	v_fma_f64 v[1:2], -v[29:30], v[1:2], v[74:75]
	ds_read_b128 v[74:77], v54 offset:5888
	v_fma_f64 v[51:52], -v[19:20], v[60:61], v[51:52]
	v_fma_f64 v[45:46], -v[15:16], v[45:46], v[70:71]
	s_waitcnt lgkmcnt(0)
	v_fma_f64 v[74:75], -v[5:6], v[74:75], v[68:69]
	ds_read_b128 v[58:61], v54 offset:5440
	ds_read_b128 v[66:69], v54 offset:4992
	;; [unrolled: 1-line block ×4, first 2 shown]
	v_fma_f64 v[88:89], -v[31:32], v[3:4], v[1:2]
	s_waitcnt lgkmcnt(3)
	v_fma_f64 v[51:52], -v[21:22], v[58:59], v[51:52]
	s_waitcnt lgkmcnt(2)
	;; [unrolled: 2-line block ×3, first 2 shown]
	v_fma_f64 v[66:67], -v[17:18], v[70:71], v[45:46]
	v_fma_f64 v[58:59], -v[7:8], v[76:77], v[74:75]
	ds_read_b128 v[1:4], v54 offset:5456
	ds_read_b128 v[74:77], v54 offset:5008
	ds_read2_b64 v[82:85], v56 offset1:32
	v_fma_f64 v[70:71], -v[33:34], v[47:48], v[88:89]
	v_fma_f64 v[51:52], -v[23:24], v[60:61], v[51:52]
	ds_read_b128 v[45:48], v54 offset:6144
	v_fma_f64 v[90:91], -v[39:40], v[68:69], v[62:63]
	v_fma_f64 v[88:89], -v[9:10], v[41:42], v[58:59]
	;; [unrolled: 1-line block ×3, first 2 shown]
	ds_read_b128 v[58:61], v54 offset:6160
	s_waitcnt lgkmcnt(1)
	v_fma_f64 v[66:67], -v[5:6], v[45:46], v[82:83]
	v_fma_f64 v[68:69], -v[35:36], v[49:50], v[70:71]
	;; [unrolled: 1-line block ×3, first 2 shown]
	v_mul_f64 v[41:42], v[64:65], v[86:87]
	v_fma_f64 v[70:71], -v[11:12], v[43:44], v[88:89]
	ds_read_b128 v[43:46], v54 offset:5248
	ds_read_b128 v[49:52], v54 offset:5264
	v_fma_f64 v[72:73], -v[21:22], v[78:79], v[62:63]
	ds_read_b128 v[62:65], v54 offset:5920
	v_fma_f64 v[47:48], -v[7:8], v[47:48], v[66:67]
	v_fma_f64 v[82:83], -v[27:28], v[3:4], v[1:2]
	ds_read_b128 v[1:4], v54 offset:5936
	s_waitcnt lgkmcnt(3)
	v_fma_f64 v[43:44], -v[37:38], v[43:44], v[68:69]
	s_waitcnt lgkmcnt(1)
	v_fma_f64 v[62:63], -v[13:14], v[62:63], v[70:71]
	ds_read_b128 v[66:69], v54 offset:5472
	v_fma_f64 v[92:93], -v[23:24], v[80:81], v[72:73]
	ds_read_b128 v[70:73], v54 offset:5488
	v_fma_f64 v[47:48], -v[9:10], v[58:59], v[47:48]
	ds_read_b128 v[78:81], v54 offset:5712
	ds_read_b128 v[86:89], v54 offset:5536
	s_waitcnt lgkmcnt(3)
	v_fma_f64 v[58:59], -v[29:30], v[66:67], v[82:83]
	v_fma_f64 v[66:67], -v[15:16], v[64:65], v[62:63]
	;; [unrolled: 1-line block ×3, first 2 shown]
	s_waitcnt lgkmcnt(1)
	v_fma_f64 v[78:79], -v[25:26], v[78:79], v[92:93]
	v_fma_f64 v[82:83], -v[39:40], v[45:46], v[43:44]
	;; [unrolled: 1-line block ×3, first 2 shown]
	ds_read_b128 v[43:46], v54 offset:6176
	ds_read_b128 v[62:65], v54 offset:5728
	v_fma_f64 v[90:91], -v[31:32], v[68:69], v[58:59]
	v_fma_f64 v[1:2], -v[17:18], v[1:2], v[66:67]
	ds_read_b128 v[66:69], v54 offset:6192
	v_fma_f64 v[78:79], -v[27:28], v[80:81], v[78:79]
	v_fma_f64 v[82:83], -v[41:42], v[49:50], v[82:83]
	ds_read2_b64 v[58:61], v56 offset0:64 offset1:96
	v_fma_f64 v[70:71], -v[33:34], v[70:71], v[90:91]
	v_fma_f64 v[90:91], -v[19:20], v[3:4], v[1:2]
	ds_read_b128 v[1:4], v54 offset:6400
	s_waitcnt lgkmcnt(4)
	v_fma_f64 v[80:81], -v[13:14], v[43:44], v[47:48]
	v_mul_f64 v[43:44], v[76:77], v[74:75]
	ds_read_b128 v[47:50], v54 offset:5952
	ds_read_b128 v[74:77], v54 offset:6416
	s_waitcnt lgkmcnt(2)
	v_fma_f64 v[1:2], -v[5:6], v[1:2], v[84:85]
	v_fma_f64 v[70:71], -v[35:36], v[72:73], v[70:71]
	s_waitcnt lgkmcnt(1)
	v_fma_f64 v[84:85], -v[21:22], v[47:48], v[90:91]
	v_fma_f64 v[92:93], -v[15:16], v[45:46], v[80:81]
	;; [unrolled: 1-line block ×3, first 2 shown]
	ds_read_b128 v[45:48], v54 offset:5504
	v_fma_f64 v[82:83], -v[7:8], v[3:4], v[1:2]
	ds_read_b128 v[1:4], v54 offset:5744
	v_fma_f64 v[62:63], -v[29:30], v[62:63], v[78:79]
	v_fma_f64 v[84:85], -v[23:24], v[49:50], v[84:85]
	;; [unrolled: 1-line block ×3, first 2 shown]
	ds_read_b128 v[49:52], v54 offset:5520
	s_waitcnt lgkmcnt(2)
	v_fma_f64 v[45:46], -v[37:38], v[45:46], v[70:71]
	ds_read_b128 v[78:81], v54 offset:5968
	v_fma_f64 v[72:73], -v[31:32], v[64:65], v[62:63]
	ds_read_b128 v[62:65], v54 offset:5760
	;; [unrolled: 2-line block ×3, first 2 shown]
	s_waitcnt lgkmcnt(2)
	v_fma_f64 v[78:79], -v[25:26], v[78:79], v[84:85]
	v_fma_f64 v[1:2], -v[33:34], v[1:2], v[72:73]
	ds_read2_b64 v[70:73], v94 offset0:148 offset1:214
	v_fma_f64 v[94:95], -v[39:40], v[47:48], v[45:46]
	ds_read_b128 v[45:48], v54 offset:6224
	v_fma_f64 v[74:75], -v[9:10], v[74:75], v[82:83]
	s_waitcnt lgkmcnt(2)
	v_fma_f64 v[66:67], -v[21:22], v[66:67], v[92:93]
	ds_read_b128 v[82:85], v54 offset:6656
	v_fma_f64 v[98:99], -v[27:28], v[80:81], v[78:79]
	v_fma_f64 v[96:97], -v[35:36], v[3:4], v[1:2]
	ds_read_b128 v[1:4], v54 offset:6432
	v_fma_f64 v[49:50], -v[41:42], v[49:50], v[94:95]
	s_waitcnt lgkmcnt(1)
	v_fma_f64 v[58:59], -v[5:6], v[82:83], v[58:59]
	v_fma_f64 v[92:93], -v[11:12], v[76:77], v[74:75]
	;; [unrolled: 1-line block ×3, first 2 shown]
	ds_read_b128 v[66:69], v54 offset:6448
	ds_read_b128 v[74:77], v54 offset:5984
	ds_read_b128 v[78:81], v54 offset:6000
	v_fma_f64 v[58:59], -v[7:8], v[84:85], v[58:59]
	s_waitcnt lgkmcnt(3)
	v_fma_f64 v[1:2], -v[13:14], v[1:2], v[92:93]
	v_fma_f64 v[92:93], -v[25:26], v[45:46], v[82:83]
	ds_read_b128 v[82:85], v54 offset:6672
	v_mul_f64 v[45:46], v[70:71], v[90:91]
	s_waitcnt lgkmcnt(0)
	v_fma_f64 v[58:59], -v[9:10], v[82:83], v[58:59]
	v_fma_f64 v[94:95], -v[15:16], v[3:4], v[1:2]
	ds_read_b128 v[1:4], v54 offset:6688
	v_fma_f64 v[58:59], -v[11:12], v[84:85], v[58:59]
	ds_read_b128 v[82:85], v54 offset:5792
	v_fma_f64 v[62:63], -v[37:38], v[62:63], v[96:97]
	v_fma_f64 v[66:67], -v[17:18], v[66:67], v[94:95]
	;; [unrolled: 1-line block ×4, first 2 shown]
	ds_read_b128 v[47:50], v54 offset:6240
	v_fma_f64 v[90:91], -v[39:40], v[64:65], v[62:63]
	ds_read_b128 v[62:65], v54 offset:5776
	v_fma_f64 v[74:75], -v[29:30], v[74:75], v[98:99]
	v_fma_f64 v[92:93], -v[19:20], v[68:69], v[66:67]
	ds_read_b128 v[66:69], v54 offset:6464
	s_waitcnt lgkmcnt(4)
	v_fma_f64 v[1:2], -v[13:14], v[1:2], v[58:59]
	s_waitcnt lgkmcnt(1)
	v_fma_f64 v[62:63], -v[41:42], v[62:63], v[90:91]
	v_fma_f64 v[70:71], -v[31:32], v[76:77], v[74:75]
	s_waitcnt lgkmcnt(0)
	v_fma_f64 v[58:59], -v[21:22], v[66:67], v[92:93]
	ds_read_b128 v[90:93], v54 offset:6032
	ds_read_b128 v[74:77], v54 offset:6256
	v_fma_f64 v[70:71], -v[33:34], v[78:79], v[70:71]
	v_fma_f64 v[58:59], -v[23:24], v[68:69], v[58:59]
	;; [unrolled: 1-line block ×3, first 2 shown]
	ds_read_b128 v[78:81], v54 offset:6016
	v_fma_f64 v[47:48], -v[29:30], v[47:48], v[51:52]
	s_waitcnt lgkmcnt(0)
	v_fma_f64 v[66:67], -v[37:38], v[78:79], v[70:71]
	v_fma_f64 v[70:71], -v[45:46], v[86:87], v[96:97]
	;; [unrolled: 1-line block ×3, first 2 shown]
	ds_read_b128 v[49:52], v54 offset:6480
	v_fma_f64 v[78:79], -v[15:16], v[3:4], v[1:2]
	ds_read_b128 v[1:4], v54 offset:6704
	v_fma_f64 v[86:87], -v[43:44], v[64:65], v[62:63]
	;; [unrolled: 2-line block ×4, first 2 shown]
	v_mul_f64 v[47:48], v[88:89], v[70:71]
	s_waitcnt lgkmcnt(3)
	v_fma_f64 v[49:50], -v[25:26], v[49:50], v[58:59]
	s_waitcnt lgkmcnt(2)
	v_fma_f64 v[1:2], -v[17:18], v[1:2], v[78:79]
	v_fma_f64 v[58:59], -v[41:42], v[90:91], v[80:81]
	;; [unrolled: 1-line block ×5, first 2 shown]
	ds_read_b128 v[1:4], v54 offset:6288
	v_fma_f64 v[58:59], -v[43:44], v[92:93], v[58:59]
	s_waitcnt lgkmcnt(1)
	v_fma_f64 v[66:67], -v[37:38], v[66:67], v[70:71]
	v_fma_f64 v[70:71], -v[27:28], v[51:52], v[49:50]
	ds_read_b128 v[49:52], v54 offset:6496
	v_fma_f64 v[78:79], -v[47:48], v[84:85], v[74:75]
	v_fma_f64 v[80:81], -v[39:40], v[68:69], v[66:67]
	ds_read_b128 v[66:69], v54 offset:6512
	s_waitcnt lgkmcnt(1)
	v_fma_f64 v[82:83], -v[29:30], v[49:50], v[70:71]
	v_mul_f64 v[49:50], v[72:73], v[78:79]
	ds_read_b128 v[70:73], v54 offset:6064
	v_fma_f64 v[51:52], -v[31:32], v[51:52], v[82:83]
	ds_read_b128 v[82:85], v54 offset:6928
	v_fma_f64 v[62:63], -v[21:22], v[62:63], v[76:77]
	ds_read_b128 v[74:77], v54 offset:6048
	s_waitcnt lgkmcnt(0)
	v_fma_f64 v[74:75], -v[45:46], v[74:75], v[58:59]
	v_fma_f64 v[51:52], -v[33:34], v[66:67], v[51:52]
	;; [unrolled: 1-line block ×3, first 2 shown]
	ds_read_b128 v[62:65], v54 offset:6912
	s_waitcnt lgkmcnt(0)
	v_fma_f64 v[62:63], -v[5:6], v[62:63], v[60:61]
	v_fma_f64 v[74:75], -v[47:48], v[76:77], v[74:75]
	ds_read_b128 v[58:61], v54 offset:6752
	v_fma_f64 v[66:67], -v[7:8], v[64:65], v[62:63]
	ds_read_b128 v[62:65], v54 offset:6320
	;; [unrolled: 2-line block ×3, first 2 shown]
	v_fma_f64 v[70:71], -v[49:50], v[70:71], v[74:75]
	s_waitcnt lgkmcnt(0)
	v_fma_f64 v[78:79], -v[25:26], v[78:79], v[86:87]
	v_fma_f64 v[82:83], -v[9:10], v[82:83], v[66:67]
	;; [unrolled: 1-line block ×3, first 2 shown]
	ds_read_b128 v[1:4], v54 offset:6304
	v_fma_f64 v[78:79], -v[27:28], v[80:81], v[78:79]
	v_fma_f64 v[80:81], -v[35:36], v[68:69], v[51:52]
	ds_read_b128 v[66:69], v54 offset:6528
	s_waitcnt lgkmcnt(1)
	v_fma_f64 v[1:2], -v[45:46], v[1:2], v[76:77]
	v_mul_f64 v[51:52], v[72:73], v[70:71]
	ds_read_b128 v[70:73], v54 offset:6544
	v_fma_f64 v[92:93], -v[11:12], v[84:85], v[82:83]
	ds_read2_b64 v[74:77], v56 offset0:128 offset1:160
	v_fma_f64 v[58:59], -v[29:30], v[58:59], v[78:79]
	s_waitcnt lgkmcnt(2)
	v_fma_f64 v[66:67], -v[37:38], v[66:67], v[80:81]
	v_fma_f64 v[90:91], -v[47:48], v[3:4], v[1:2]
	ds_read_b128 v[1:4], v54 offset:7168
	v_fma_f64 v[94:95], -v[31:32], v[60:61], v[58:59]
	ds_read_b128 v[58:61], v54 offset:6944
	ds_read_b128 v[78:81], v54 offset:6768
	;; [unrolled: 1-line block ×3, first 2 shown]
	s_waitcnt lgkmcnt(3)
	v_fma_f64 v[1:2], -v[5:6], v[1:2], v[74:75]
	v_fma_f64 v[62:63], -v[49:50], v[62:63], v[90:91]
	s_waitcnt lgkmcnt(2)
	v_fma_f64 v[58:59], -v[13:14], v[58:59], v[92:93]
	v_fma_f64 v[74:75], -v[39:40], v[68:69], v[66:67]
	ds_read_b128 v[86:89], v54 offset:6960
	ds_read_b128 v[66:69], v54 offset:6784
	s_waitcnt lgkmcnt(3)
	v_fma_f64 v[78:79], -v[33:34], v[78:79], v[94:95]
	v_fma_f64 v[90:91], -v[7:8], v[3:4], v[1:2]
	;; [unrolled: 1-line block ×5, first 2 shown]
	v_add_u32_e64 v58, s8, 0
	ds_read2_b64 v[1:4], v58 offset0:24 offset1:90
	v_fma_f64 v[74:75], -v[35:36], v[80:81], v[78:79]
	s_waitcnt lgkmcnt(3)
	v_fma_f64 v[82:83], -v[9:10], v[82:83], v[90:91]
	s_waitcnt lgkmcnt(2)
	v_fma_f64 v[86:87], -v[17:18], v[86:87], v[59:60]
	ds_read_b128 v[59:62], v54 offset:6592
	ds_read2_b64 v[78:81], v56 offset0:192 offset1:224
	s_waitcnt lgkmcnt(2)
	v_mul_f64 v[1:2], v[1:2], v[63:64]
	v_fma_f64 v[106:107], -v[43:44], v[72:73], v[70:71]
	v_fma_f64 v[108:109], -v[37:38], v[66:67], v[74:75]
	ds_read_b128 v[63:66], v54 offset:7424
	v_fma_f64 v[90:91], -v[11:12], v[84:85], v[82:83]
	v_fma_f64 v[102:103], -v[19:20], v[88:89], v[86:87]
	ds_read_b128 v[70:73], v54 offset:7200
	ds_read_b128 v[82:85], v54 offset:6976
	;; [unrolled: 1-line block ×3, first 2 shown]
	s_waitcnt lgkmcnt(3)
	v_fma_f64 v[63:64], -v[5:6], v[63:64], v[76:77]
	ds_read_b128 v[74:77], v54 offset:7216
	s_waitcnt lgkmcnt(3)
	v_fma_f64 v[70:71], -v[13:14], v[70:71], v[90:91]
	ds_read_b128 v[90:93], v54 offset:6560
	ds_read_b128 v[94:97], v54 offset:6576
	;; [unrolled: 1-line block ×3, first 2 shown]
	s_waitcnt lgkmcnt(5)
	v_fma_f64 v[82:83], -v[21:22], v[82:83], v[102:103]
	ds_read_b128 v[102:105], v54 offset:7680
	v_fma_f64 v[110:111], -v[7:8], v[65:66], v[63:64]
	s_waitcnt lgkmcnt(3)
	v_fma_f64 v[90:91], -v[45:46], v[90:91], v[106:107]
	v_fma_f64 v[106:107], -v[39:40], v[68:69], v[108:109]
	s_waitcnt lgkmcnt(0)
	v_fma_f64 v[78:79], -v[5:6], v[102:103], v[78:79]
	v_fma_f64 v[71:72], -v[15:16], v[72:73], v[70:71]
	ds_read_b128 v[63:66], v54 offset:6800
	ds_read_b128 v[67:70], v54 offset:6816
	v_fma_f64 v[102:103], -v[23:24], v[84:85], v[82:83]
	ds_read_b128 v[82:85], v54 offset:7936
	v_fma_f64 v[86:87], -v[9:10], v[86:87], v[110:111]
	s_waitcnt lgkmcnt(2)
	v_fma_f64 v[63:64], -v[41:42], v[63:64], v[106:107]
	v_fma_f64 v[91:92], -v[47:48], v[92:93], v[90:91]
	;; [unrolled: 1-line block ×3, first 2 shown]
	s_waitcnt lgkmcnt(0)
	v_fma_f64 v[82:83], -v[5:6], v[82:83], v[80:81]
	v_fma_f64 v[106:107], -v[17:18], v[74:75], v[71:72]
	ds_read_b128 v[71:74], v54 offset:7952
	ds_read_b128 v[78:81], v54 offset:7696
	v_fma_f64 v[110:111], -v[11:12], v[88:89], v[86:87]
	v_fma_f64 v[98:99], -v[25:26], v[98:99], v[102:103]
	ds_read_b128 v[86:89], v54 offset:7456
	ds_read_b128 v[102:105], v54 offset:7712
	s_waitcnt lgkmcnt(2)
	v_fma_f64 v[108:109], -v[9:10], v[78:79], v[108:109]
	v_fma_f64 v[114:115], -v[7:8], v[84:85], v[82:83]
	;; [unrolled: 1-line block ×3, first 2 shown]
	ds_read_b128 v[75:78], v54 offset:7472
	s_waitcnt lgkmcnt(2)
	v_fma_f64 v[86:87], -v[13:14], v[86:87], v[110:111]
	v_fma_f64 v[110:111], -v[27:28], v[100:101], v[98:99]
	ds_read_b128 v[82:85], v54 offset:7232
	ds_read_b128 v[98:101], v54 offset:7008
	v_fma_f64 v[79:80], -v[11:12], v[80:81], v[108:109]
	v_fma_f64 v[71:72], -v[9:10], v[71:72], v[114:115]
	s_waitcnt lgkmcnt(1)
	v_fma_f64 v[81:82], -v[21:22], v[82:83], v[112:113]
	ds_read_b128 v[106:109], v54 offset:7248
	v_fma_f64 v[86:87], -v[15:16], v[88:89], v[86:87]
	s_waitcnt lgkmcnt(1)
	v_fma_f64 v[98:99], -v[29:30], v[98:99], v[110:111]
	v_fma_f64 v[88:89], -v[43:44], v[65:66], v[63:64]
	ds_read_b128 v[63:66], v54 offset:7024
	v_fma_f64 v[79:80], -v[13:14], v[102:103], v[79:80]
	v_fma_f64 v[102:103], -v[11:12], v[73:74], v[71:72]
	ds_read_b128 v[71:74], v54 offset:7968
	v_fma_f64 v[110:111], -v[23:24], v[84:85], v[81:82]
	v_fma_f64 v[75:76], -v[17:18], v[75:76], v[86:87]
	;; [unrolled: 1-line block ×3, first 2 shown]
	ds_read_b128 v[83:86], v54 offset:7728
	v_fma_f64 v[67:68], -v[45:46], v[67:68], v[88:89]
	v_fma_f64 v[100:101], -v[15:16], v[104:105], v[79:80]
	s_waitcnt lgkmcnt(1)
	v_fma_f64 v[71:72], -v[13:14], v[71:72], v[102:103]
	ds_read_b128 v[79:82], v54 offset:7984
	v_fma_f64 v[104:105], -v[25:26], v[106:107], v[110:111]
	v_fma_f64 v[102:103], -v[19:20], v[77:78], v[75:76]
	ds_read_b128 v[75:78], v54 offset:7488
	ds_read_b128 v[87:90], v54 offset:7744
	v_fma_f64 v[63:64], -v[33:34], v[63:64], v[98:99]
	s_waitcnt lgkmcnt(3)
	v_fma_f64 v[83:84], -v[17:18], v[83:84], v[100:101]
	v_fma_f64 v[98:99], -v[15:16], v[73:74], v[71:72]
	v_fma_f64 v[100:101], -v[49:50], v[94:95], v[91:92]
	v_fma_f64 v[91:92], -v[27:28], v[108:109], v[104:105]
	s_waitcnt lgkmcnt(1)
	v_fma_f64 v[75:76], -v[21:22], v[75:76], v[102:103]
	ds_read_b128 v[71:74], v54 offset:7504
	v_fma_f64 v[93:94], -v[35:36], v[65:66], v[63:64]
	v_fma_f64 v[102:103], -v[47:48], v[69:70], v[67:68]
	;; [unrolled: 1-line block ×4, first 2 shown]
	ds_read_b128 v[67:70], v54 offset:7264
	v_fma_f64 v[98:99], -v[23:24], v[77:78], v[75:76]
	ds_read_b128 v[63:66], v54 offset:7040
	ds_read_b128 v[75:78], v54 offset:7280
	s_waitcnt lgkmcnt(2)
	v_fma_f64 v[67:68], -v[29:30], v[67:68], v[91:92]
	v_fma_f64 v[87:88], -v[21:22], v[87:88], v[83:84]
	;; [unrolled: 1-line block ×3, first 2 shown]
	ds_read_b128 v[83:86], v54 offset:7056
	s_waitcnt lgkmcnt(2)
	v_fma_f64 v[63:64], -v[37:38], v[63:64], v[93:94]
	v_fma_f64 v[71:72], -v[25:26], v[71:72], v[98:99]
	ds_read_b128 v[79:82], v54 offset:8000
	ds_read_b128 v[91:94], v54 offset:6832
	v_fma_f64 v[98:99], -v[31:32], v[69:70], v[67:68]
	v_fma_f64 v[106:107], -v[23:24], v[89:90], v[87:88]
	s_waitcnt lgkmcnt(1)
	v_fma_f64 v[79:80], -v[21:22], v[79:80], v[104:105]
	ds_read_b128 v[67:70], v54 offset:8016
	ds_read_b128 v[87:90], v54 offset:7760
	v_fma_f64 v[104:105], -v[27:28], v[73:74], v[71:72]
	v_fma_f64 v[108:109], -v[39:40], v[65:66], v[63:64]
	ds_read_b128 v[63:66], v54 offset:7520
	ds_read_b128 v[71:74], v54 offset:7776
	v_fma_f64 v[75:76], -v[33:34], v[75:76], v[98:99]
	s_waitcnt lgkmcnt(2)
	v_fma_f64 v[87:88], -v[25:26], v[87:88], v[106:107]
	v_fma_f64 v[106:107], -v[23:24], v[81:82], v[79:80]
	ds_read_b128 v[79:82], v54 offset:7536
	v_fma_f64 v[91:92], -v[49:50], v[91:92], v[102:103]
	s_waitcnt lgkmcnt(2)
	v_fma_f64 v[63:64], -v[29:30], v[63:64], v[104:105]
	v_fma_f64 v[83:84], -v[41:42], v[83:84], v[108:109]
	;; [unrolled: 1-line block ×3, first 2 shown]
	ds_read_b128 v[95:98], v54 offset:6848
	v_fma_f64 v[87:88], -v[27:28], v[89:90], v[87:88]
	v_fma_f64 v[67:68], -v[25:26], v[67:68], v[106:107]
	v_fma_f64 v[89:90], -v[35:36], v[77:78], v[75:76]
	v_fma_f64 v[91:92], -v[51:52], v[93:94], v[91:92]
	v_fma_f64 v[99:100], -v[31:32], v[65:66], v[63:64]
	v_fma_f64 v[101:102], -v[43:44], v[85:86], v[83:84]
	ds_read_b128 v[63:66], v54 offset:7296
	ds_read_b128 v[75:78], v54 offset:7072
	;; [unrolled: 1-line block ×3, first 2 shown]
	s_waitcnt lgkmcnt(5)
	v_fma_f64 v[71:72], -v[29:30], v[71:72], v[87:88]
	v_fma_f64 v[106:107], -v[27:28], v[69:70], v[67:68]
	s_waitcnt lgkmcnt(2)
	v_fma_f64 v[63:64], -v[37:38], v[63:64], v[89:90]
	ds_read_b128 v[67:70], v54 offset:8032
	ds_read_b128 v[87:90], v54 offset:7088
	v_fma_f64 v[79:80], -v[33:34], v[79:80], v[99:100]
	s_waitcnt lgkmcnt(3)
	v_fma_f64 v[75:76], -v[45:46], v[75:76], v[101:102]
	ds_read_b128 v[99:102], v54 offset:7792
	v_fma_f64 v[59:60], -v[1:2], v[59:60], v[104:105]
	v_fma_f64 v[108:109], -v[31:32], v[73:74], v[71:72]
	s_waitcnt lgkmcnt(2)
	v_fma_f64 v[67:68], -v[29:30], v[67:68], v[106:107]
	ds_read_b128 v[71:74], v54 offset:8048
	v_fma_f64 v[110:111], -v[39:40], v[65:66], v[63:64]
	v_fma_f64 v[106:107], -v[35:36], v[81:82], v[79:80]
	ds_read_b128 v[63:66], v54 offset:7552
	ds_read_b128 v[79:82], v54 offset:7808
	v_fma_f64 v[75:76], -v[47:48], v[77:78], v[75:76]
	v_fma_f64 v[91:92], -v[1:2], v[95:96], v[91:92]
	s_waitcnt lgkmcnt(3)
	v_fma_f64 v[99:100], -v[33:34], v[99:100], v[108:109]
	v_fma_f64 v[77:78], -v[31:32], v[69:70], v[67:68]
	ds_read_b128 v[67:70], v54 offset:7568
	v_fma_f64 v[83:84], -v[41:42], v[83:84], v[110:111]
	s_waitcnt lgkmcnt(2)
	v_fma_f64 v[63:64], -v[37:38], v[63:64], v[106:107]
	v_fma_f64 v[75:76], -v[49:50], v[87:88], v[75:76]
	;; [unrolled: 1-line block ×4, first 2 shown]
	v_mul_f64 v[99:100], v[61:62], v[59:60]
	v_fma_f64 v[77:78], -v[43:44], v[85:86], v[83:84]
	v_fma_f64 v[63:64], -v[39:40], v[65:66], v[63:64]
	ds_read_b128 v[59:62], v54 offset:7328
	s_waitcnt lgkmcnt(2)
	v_fma_f64 v[79:80], -v[37:38], v[79:80], v[93:94]
	v_fma_f64 v[83:84], -v[35:36], v[73:74], v[71:72]
	;; [unrolled: 1-line block ×3, first 2 shown]
	s_waitcnt lgkmcnt(0)
	v_fma_f64 v[59:60], -v[45:46], v[59:60], v[77:78]
	v_fma_f64 v[67:68], -v[41:42], v[67:68], v[63:64]
	ds_read_b128 v[63:66], v54 offset:8064
	ds_read_b128 v[71:74], v54 offset:7344
	;; [unrolled: 1-line block ×3, first 2 shown]
	v_fma_f64 v[91:92], -v[99:100], v[97:98], v[91:92]
	v_fma_f64 v[95:96], -v[39:40], v[81:82], v[79:80]
	s_waitcnt lgkmcnt(2)
	v_fma_f64 v[63:64], -v[37:38], v[63:64], v[83:84]
	ds_read_b128 v[79:82], v54 offset:7824
	v_fma_f64 v[101:102], -v[43:44], v[69:70], v[67:68]
	ds_read_b128 v[67:70], v54 offset:7104
	ds_read_b128 v[83:86], v54 offset:7584
	;; [unrolled: 1-line block ×3, first 2 shown]
	v_mul_f64 v[3:4], v[3:4], v[91:92]
	s_waitcnt lgkmcnt(3)
	v_fma_f64 v[79:80], -v[41:42], v[79:80], v[95:96]
	v_fma_f64 v[103:104], -v[39:40], v[65:66], v[63:64]
	;; [unrolled: 1-line block ×3, first 2 shown]
	s_waitcnt lgkmcnt(2)
	v_fma_f64 v[67:68], -v[1:2], v[67:68], v[93:94]
	s_waitcnt lgkmcnt(1)
	v_fma_f64 v[83:84], -v[45:46], v[83:84], v[101:102]
	ds_read_b128 v[59:62], v54 offset:7600
	ds_read_b128 v[63:66], v54 offset:7120
	v_fma_f64 v[79:80], -v[43:44], v[81:82], v[79:80]
	v_fma_f64 v[75:76], -v[41:42], v[75:76], v[103:104]
	;; [unrolled: 1-line block ×5, first 2 shown]
	s_waitcnt lgkmcnt(2)
	v_fma_f64 v[79:80], -v[45:46], v[87:88], v[79:80]
	v_fma_f64 v[83:84], -v[43:44], v[77:78], v[75:76]
	;; [unrolled: 1-line block ×3, first 2 shown]
	ds_read_b128 v[67:70], v54 offset:8096
	ds_read_b128 v[71:74], v54 offset:7360
	;; [unrolled: 1-line block ×3, first 2 shown]
	s_waitcnt lgkmcnt(4)
	v_fma_f64 v[59:60], -v[49:50], v[59:60], v[81:82]
	s_waitcnt lgkmcnt(3)
	v_fma_f64 v[63:64], -v[3:4], v[63:64], v[91:92]
	ds_write2_b64 v57, v[5:6], v[7:8] offset1:32
	v_fma_f64 v[89:90], -v[47:48], v[89:90], v[79:80]
	s_waitcnt lgkmcnt(3)
	v_fma_f64 v[67:68], -v[45:46], v[67:68], v[83:84]
	ds_read_b128 v[83:86], v54 offset:7856
	s_waitcnt lgkmcnt(3)
	v_fma_f64 v[71:72], -v[1:2], v[71:72], v[87:88]
	v_fma_f64 v[93:94], -v[51:52], v[61:62], v[59:60]
	ds_read_b128 v[59:62], v54 offset:7872
	ds_read_b128 v[79:82], v54 offset:8112
	s_waitcnt lgkmcnt(2)
	v_fma_f64 v[83:84], -v[49:50], v[83:84], v[89:90]
	v_fma_f64 v[95:96], -v[47:48], v[69:70], v[67:68]
	ds_read_b128 v[87:90], v54 offset:7616
	ds_read_b128 v[67:70], v54 offset:7632
	v_fma_f64 v[71:72], -v[99:100], v[73:74], v[71:72]
	s_waitcnt lgkmcnt(1)
	v_fma_f64 v[73:74], -v[1:2], v[87:88], v[93:94]
	v_fma_f64 v[83:84], -v[51:52], v[85:86], v[83:84]
	;; [unrolled: 1-line block ×3, first 2 shown]
	v_mul_f64 v[85:86], v[65:66], v[63:64]
	v_fma_f64 v[63:64], -v[3:4], v[75:76], v[71:72]
	v_fma_f64 v[71:72], -v[99:100], v[89:90], v[73:74]
	;; [unrolled: 1-line block ×5, first 2 shown]
	ds_read_b128 v[63:66], v54 offset:8128
	s_waitcnt lgkmcnt(1)
	v_fma_f64 v[67:68], -v[3:4], v[67:68], v[71:72]
	v_fma_f64 v[81:82], -v[99:100], v[61:62], v[59:60]
	ds_read2_b64 v[71:74], v58 offset0:156 offset1:222
	s_waitcnt lgkmcnt(1)
	v_fma_f64 v[62:63], -v[1:2], v[63:64], v[75:76]
	ds_read_b128 v[58:61], v54 offset:8144
	ds_read_b128 v[75:78], v54 offset:7888
	s_waitcnt lgkmcnt(2)
	v_mul_f64 v[71:72], v[71:72], v[79:80]
	v_fma_f64 v[83:84], -v[85:86], v[69:70], v[67:68]
	ds_read_b128 v[67:70], v54 offset:7904
	s_waitcnt lgkmcnt(1)
	v_fma_f64 v[75:76], -v[3:4], v[75:76], v[81:82]
	v_fma_f64 v[62:63], -v[99:100], v[65:66], v[62:63]
	ds_read_b128 v[79:82], v54 offset:7648
	s_waitcnt lgkmcnt(0)
	v_fma_f64 v[64:65], -v[71:72], v[79:80], v[83:84]
	v_fma_f64 v[75:76], -v[85:86], v[77:78], v[75:76]
	;; [unrolled: 1-line block ×3, first 2 shown]
	v_mul_f64 v[77:78], v[81:82], v[64:65]
	v_fma_f64 v[62:63], -v[71:72], v[67:68], v[75:76]
	v_fma_f64 v[66:67], -v[85:86], v[60:61], v[58:59]
	ds_read_b128 v[58:61], v54 offset:8160
	v_fma_f64 v[68:69], -v[77:78], v[69:70], v[62:63]
	ds_read_b128 v[62:65], v54 offset:8176
	s_waitcnt lgkmcnt(1)
	v_fma_f64 v[58:59], -v[71:72], v[58:59], v[66:67]
	ds_write2_b64 v57, v[9:10], v[11:12] offset0:64 offset1:96
	ds_write2_b64 v57, v[13:14], v[15:16] offset0:128 offset1:160
	;; [unrolled: 1-line block ×3, first 2 shown]
	ds_write2_b64 v55, v[21:22], v[23:24] offset1:32
	ds_write2_b64 v55, v[25:26], v[27:28] offset0:64 offset1:96
	ds_write2_b64 v55, v[29:30], v[31:32] offset0:128 offset1:160
	;; [unrolled: 1-line block ×3, first 2 shown]
	v_mul_f64 v[66:67], v[73:74], v[68:69]
	v_fma_f64 v[58:59], -v[77:78], v[60:61], v[58:59]
	s_waitcnt lgkmcnt(7)
	v_fma_f64 v[5:6], -v[66:67], v[62:63], v[58:59]
	v_mul_f64 v[5:6], v[64:65], v[5:6]
	ds_write2_b64 v53, v[37:38], v[39:40] offset1:32
	ds_write2_b64 v53, v[41:42], v[43:44] offset0:64 offset1:96
	ds_write2_b64 v53, v[45:46], v[47:48] offset0:128 offset1:160
	;; [unrolled: 1-line block ×3, first 2 shown]
	ds_write2_b64 v56, v[1:2], v[99:100] offset1:32
	ds_write2_b64 v56, v[3:4], v[85:86] offset0:64 offset1:96
	ds_write2_b64 v56, v[71:72], v[77:78] offset0:128 offset1:160
	;; [unrolled: 1-line block ×3, first 2 shown]
.LBB102_12:
	s_cmp_lt_i32 s14, s22
	s_cbranch_scc0 .LBB102_23
; %bb.13:
	s_or_b32 s8, s14, 27
	s_cmp_ge_u32 s8, s22
	s_cbranch_scc1 .LBB102_18
; %bb.14:
	s_lshl_b32 s11, s14, 8
	v_add_u32_e32 v59, s11, v57
	v_add_u32_e32 v1, 0x800, v59
	ds_read2_b64 v[49:52], v59 offset1:32
	ds_read2_b64 v[45:48], v59 offset0:64 offset1:96
	ds_read2_b64 v[41:44], v59 offset0:128 offset1:160
	;; [unrolled: 1-line block ×3, first 2 shown]
	ds_read2_b64 v[33:36], v1 offset1:32
	ds_read2_b64 v[29:32], v1 offset0:64 offset1:96
	ds_read2_b64 v[25:28], v1 offset0:128 offset1:160
	;; [unrolled: 1-line block ×3, first 2 shown]
	v_add_u32_e32 v1, 0x1000, v59
	ds_read2_b64 v[17:20], v1 offset1:32
	ds_read2_b64 v[13:16], v1 offset0:64 offset1:96
	ds_read2_b64 v[9:12], v1 offset0:128 offset1:160
	;; [unrolled: 1-line block ×3, first 2 shown]
	v_add_u32_e32 v1, 0x1800, v59
	s_lshl_b32 s8, s8, 8
	ds_read2_b64 v[1:4], v1 offset1:32
	v_add_u32_e32 v58, s8, v57
	ds_read_b64 v[55:56], v59 offset:6656
	ds_read_b64 v[53:54], v58
	s_andn2_b64 vcc, exec, s[4:5]
	s_cbranch_vccnz .LBB102_17
; %bb.15:
	v_mov_b32_e32 v60, 0x2000
	v_lshl_or_b32 v60, v0, 3, v60
	s_mov_b32 s4, s11
	s_mov_b32 s5, s14
.LBB102_16:                             ; =>This Inner Loop Header: Depth=1
	v_mov_b32_e32 v77, s4
	v_add_u32_e32 v89, 0x800, v77
	v_add_u32_e32 v105, 0x1000, v77
	;; [unrolled: 1-line block ×3, first 2 shown]
	ds_read_b64 v[117:118], v60
	ds_read2_b64 v[61:64], v77 offset1:32
	ds_read2_b64 v[65:68], v77 offset0:64 offset1:96
	ds_read2_b64 v[69:72], v77 offset0:128 offset1:160
	ds_read2_b64 v[73:76], v77 offset0:192 offset1:224
	ds_read2_b64 v[77:80], v89 offset1:32
	ds_read2_b64 v[81:84], v89 offset0:64 offset1:96
	ds_read2_b64 v[85:88], v89 offset0:128 offset1:160
	ds_read2_b64 v[89:92], v89 offset0:192 offset1:224
	;; [unrolled: 4-line block ×3, first 2 shown]
	ds_read2_b64 v[109:112], v113 offset1:32
	ds_read2_b64 v[113:116], v113 offset0:64 offset1:96
	s_add_i32 s5, s5, -1
	s_add_i32 s4, s4, 8
	s_waitcnt lgkmcnt(13)
	v_fma_f64 v[49:50], -v[117:118], v[61:62], v[49:50]
	v_fma_f64 v[51:52], -v[117:118], v[63:64], v[51:52]
	s_waitcnt lgkmcnt(12)
	v_fma_f64 v[45:46], -v[117:118], v[65:66], v[45:46]
	v_fma_f64 v[47:48], -v[117:118], v[67:68], v[47:48]
	;; [unrolled: 3-line block ×14, first 2 shown]
	s_cmp_lg_u32 s5, 0
	v_add_u32_e32 v60, 0x100, v60
	s_cbranch_scc1 .LBB102_16
.LBB102_17:
	s_lshl_b32 s20, s14, 3
	s_add_i32 s4, s20, s11
	v_mov_b32_e32 v60, s4
	ds_read2_b64 v[61:64], v60 offset1:66
	s_or_b32 s16, s11, 0x100
	s_add_i32 s13, s20, s16
	s_or_b32 s4, s11, 0x200
	s_add_i32 s15, s20, s4
	s_waitcnt lgkmcnt(0)
	v_mul_f64 v[49:50], v[61:62], v[49:50]
	v_mov_b32_e32 v61, s13
	ds_read_b128 v[65:68], v61
	v_mov_b32_e32 v61, s15
	ds_read_b128 v[69:72], v61
	s_or_b32 s5, s11, 0x300
	s_add_i32 s21, s20, s5
	s_or_b32 s12, s11, 0x400
	s_waitcnt lgkmcnt(1)
	v_fma_f64 v[51:52], -v[49:50], v[65:66], v[51:52]
	s_waitcnt lgkmcnt(0)
	v_fma_f64 v[61:62], -v[49:50], v[69:70], v[45:46]
	s_add_i32 s23, s20, s12
	v_mov_b32_e32 v77, s23
	s_or_b32 s13, s11, 0x500
	s_or_b32 s15, s11, 0x600
	s_add_i32 s24, s20, s15
	v_mov_b32_e32 v93, s24
	v_mul_f64 v[45:46], v[67:68], v[51:52]
	v_mov_b32_e32 v51, s21
	ds_read_b128 v[65:68], v51
	ds_read_b128 v[73:76], v51 offset:16
	s_add_i32 s21, s20, s13
	v_mov_b32_e32 v97, s21
	s_or_b32 s17, s11, 0x700
	s_waitcnt lgkmcnt(1)
	v_fma_f64 v[47:48], -v[49:50], v[65:66], v[47:48]
	v_fma_f64 v[51:52], -v[45:46], v[71:72], v[61:62]
	ds_read_b128 v[69:72], v77
	ds_read_b128 v[77:80], v77 offset:16
	s_add_i32 s23, s20, s17
	v_mov_b32_e32 v98, s23
	s_or_b32 s18, s11, 0x800
	s_waitcnt lgkmcnt(1)
	v_fma_f64 v[69:70], -v[49:50], v[69:70], v[41:42]
	v_fma_f64 v[47:48], -v[45:46], v[67:68], v[47:48]
	v_mul_f64 v[41:42], v[63:64], v[51:52]
	ds_read_b128 v[61:64], v97
	ds_read_b128 v[65:68], v97 offset:16
	ds_read_b128 v[81:84], v93
	s_add_i32 s25, s20, s18
	v_mov_b32_e32 v99, s25
	s_or_b32 s19, s11, 0x900
	s_waitcnt lgkmcnt(2)
	v_fma_f64 v[43:44], -v[49:50], v[61:62], v[43:44]
	v_fma_f64 v[51:52], -v[45:46], v[71:72], v[69:70]
	;; [unrolled: 1-line block ×3, first 2 shown]
	s_waitcnt lgkmcnt(0)
	v_fma_f64 v[81:82], -v[49:50], v[81:82], v[37:38]
	ds_read_b128 v[69:72], v98
	s_add_i32 s21, s20, s19
	v_mov_b32_e32 v100, s21
	s_or_b32 s21, s11, 0xa00
	v_fma_f64 v[43:44], -v[45:46], v[63:64], v[43:44]
	v_fma_f64 v[51:52], -v[41:42], v[77:78], v[51:52]
	v_mul_f64 v[37:38], v[75:76], v[47:48]
	ds_read_b128 v[61:64], v93 offset:16
	ds_read_b128 v[73:76], v98 offset:16
	ds_read_b128 v[85:88], v99
	ds_read_b128 v[89:92], v99 offset:16
	s_waitcnt lgkmcnt(4)
	v_fma_f64 v[39:40], -v[49:50], v[69:70], v[39:40]
	v_fma_f64 v[47:48], -v[45:46], v[83:84], v[81:82]
	s_add_i32 s23, s20, s21
	s_add_i32 s8, s20, s8
	v_fma_f64 v[43:44], -v[41:42], v[65:66], v[43:44]
	s_waitcnt lgkmcnt(1)
	v_fma_f64 v[65:66], -v[49:50], v[85:86], v[33:34]
	v_fma_f64 v[51:52], -v[37:38], v[79:80], v[51:52]
	ds_read2_b64 v[77:80], v60 offset0:132 offset1:198
	ds_read_b128 v[81:84], v93 offset:32
	ds_read_b128 v[93:96], v100
	v_fma_f64 v[39:40], -v[45:46], v[71:72], v[39:40]
	v_fma_f64 v[47:48], -v[41:42], v[61:62], v[47:48]
	v_mov_b32_e32 v110, s8
	s_or_b32 s14, s14, 28
	v_fma_f64 v[43:44], -v[37:38], v[67:68], v[43:44]
	s_waitcnt lgkmcnt(0)
	v_fma_f64 v[35:36], -v[49:50], v[93:94], v[35:36]
	v_mul_f64 v[33:34], v[77:78], v[51:52]
	v_fma_f64 v[51:52], -v[45:46], v[87:88], v[65:66]
	ds_read_b128 v[65:68], v97 offset:32
	ds_read_b128 v[69:72], v100 offset:16
	v_fma_f64 v[39:40], -v[41:42], v[73:74], v[39:40]
	v_fma_f64 v[47:48], -v[37:38], v[63:64], v[47:48]
	v_mov_b32_e32 v93, s23
	ds_read_b128 v[61:64], v93
	v_fma_f64 v[77:78], -v[45:46], v[95:96], v[35:36]
	s_waitcnt lgkmcnt(2)
	v_fma_f64 v[43:44], -v[33:34], v[65:66], v[43:44]
	v_fma_f64 v[51:52], -v[41:42], v[89:90], v[51:52]
	s_or_b32 s23, s11, 0xb00
	v_fma_f64 v[39:40], -v[37:38], v[75:76], v[39:40]
	v_fma_f64 v[47:48], -v[33:34], v[81:82], v[47:48]
	s_waitcnt lgkmcnt(0)
	v_fma_f64 v[29:30], -v[49:50], v[61:62], v[29:30]
	s_add_i32 s24, s20, s23
	v_mov_b32_e32 v97, s24
	v_mul_f64 v[35:36], v[67:68], v[43:44]
	ds_read_b128 v[65:68], v98 offset:32
	ds_read_b128 v[73:76], v98 offset:48
	v_fma_f64 v[43:44], -v[37:38], v[91:92], v[51:52]
	v_fma_f64 v[51:52], -v[41:42], v[69:70], v[77:78]
	ds_read_b128 v[85:88], v99 offset:32
	s_waitcnt lgkmcnt(2)
	v_fma_f64 v[39:40], -v[33:34], v[65:66], v[39:40]
	s_or_b32 s24, s11, 0xc00
	s_add_i32 s25, s20, s24
	v_fma_f64 v[47:48], -v[35:36], v[83:84], v[47:48]
	ds_read_b128 v[81:84], v99 offset:48
	v_mov_b32_e32 v98, s25
	v_fma_f64 v[51:52], -v[37:38], v[71:72], v[51:52]
	ds_read_b128 v[69:72], v100 offset:32
	s_waitcnt lgkmcnt(2)
	v_fma_f64 v[43:44], -v[33:34], v[85:86], v[43:44]
	v_fma_f64 v[85:86], -v[45:46], v[63:64], v[29:30]
	v_fma_f64 v[39:40], -v[35:36], v[67:68], v[39:40]
	v_mul_f64 v[29:30], v[79:80], v[47:48]
	ds_read_b128 v[61:64], v93 offset:16
	ds_read_b128 v[77:80], v93 offset:32
	s_waitcnt lgkmcnt(2)
	v_fma_f64 v[47:48], -v[33:34], v[69:70], v[51:52]
	ds_read_b128 v[89:92], v97 offset:16
	v_fma_f64 v[43:44], -v[35:36], v[87:88], v[43:44]
	s_waitcnt lgkmcnt(2)
	v_fma_f64 v[51:52], -v[41:42], v[61:62], v[85:86]
	ds_read_b128 v[85:88], v97
	v_fma_f64 v[39:40], -v[29:30], v[73:74], v[39:40]
	ds_read_b128 v[65:68], v100 offset:48
	s_or_b32 s25, s11, 0xd00
	v_fma_f64 v[47:48], -v[35:36], v[71:72], v[47:48]
	s_waitcnt lgkmcnt(1)
	v_fma_f64 v[69:70], -v[49:50], v[85:86], v[31:32]
	s_add_i32 s26, s20, s25
	v_fma_f64 v[51:52], -v[37:38], v[63:64], v[51:52]
	ds_read_b128 v[61:64], v98
	v_fma_f64 v[43:44], -v[29:30], v[81:82], v[43:44]
	v_mul_f64 v[31:32], v[75:76], v[39:40]
	v_add_u32_e32 v99, 0x800, v60
	s_waitcnt lgkmcnt(1)
	v_fma_f64 v[47:48], -v[29:30], v[65:66], v[47:48]
	v_fma_f64 v[39:40], -v[45:46], v[87:88], v[69:70]
	ds_read_b128 v[69:72], v98 offset:16
	ds_read2_b64 v[73:76], v99 offset0:8 offset1:74
	v_fma_f64 v[51:52], -v[33:34], v[77:78], v[51:52]
	s_waitcnt lgkmcnt(2)
	v_fma_f64 v[61:62], -v[49:50], v[61:62], v[25:26]
	v_fma_f64 v[43:44], -v[31:32], v[83:84], v[43:44]
	;; [unrolled: 1-line block ×5, first 2 shown]
	ds_read_b128 v[65:68], v100 offset:64
	ds_read_b128 v[77:80], v93 offset:48
	;; [unrolled: 1-line block ×4, first 2 shown]
	v_mov_b32_e32 v100, s26
	s_waitcnt lgkmcnt(4)
	v_mul_f64 v[25:26], v[73:74], v[43:44]
	v_fma_f64 v[43:44], -v[45:46], v[63:64], v[61:62]
	s_or_b32 s26, s11, 0xe00
	v_fma_f64 v[39:40], -v[37:38], v[91:92], v[39:40]
	ds_read_b128 v[61:64], v100
	ds_read_b128 v[89:92], v97 offset:48
	s_waitcnt lgkmcnt(4)
	v_fma_f64 v[51:52], -v[29:30], v[77:78], v[51:52]
	ds_read_b128 v[93:96], v100 offset:16
	s_add_i32 s27, s20, s26
	v_fma_f64 v[47:48], -v[25:26], v[65:66], v[47:48]
	s_waitcnt lgkmcnt(2)
	v_fma_f64 v[61:62], -v[49:50], v[61:62], v[27:28]
	v_fma_f64 v[43:44], -v[41:42], v[69:70], v[43:44]
	;; [unrolled: 1-line block ×3, first 2 shown]
	v_mov_b32_e32 v101, s27
	s_or_b32 s27, s11, 0xf00
	s_add_i32 s28, s20, s27
	v_mov_b32_e32 v102, s28
	v_mul_f64 v[27:28], v[67:68], v[47:48]
	v_fma_f64 v[47:48], -v[31:32], v[79:80], v[51:52]
	v_fma_f64 v[51:52], -v[45:46], v[63:64], v[61:62]
	;; [unrolled: 1-line block ×3, first 2 shown]
	ds_read_b128 v[61:64], v98 offset:32
	ds_read_b128 v[65:68], v98 offset:48
	ds_read_b128 v[69:72], v101
	v_fma_f64 v[39:40], -v[35:36], v[87:88], v[39:40]
	s_or_b32 s28, s11, 0x1000
	s_add_i32 s29, s20, s28
	v_fma_f64 v[47:48], -v[25:26], v[81:82], v[47:48]
	s_waitcnt lgkmcnt(3)
	v_fma_f64 v[51:52], -v[41:42], v[93:94], v[51:52]
	s_waitcnt lgkmcnt(2)
	;; [unrolled: 2-line block ×3, first 2 shown]
	v_fma_f64 v[21:22], -v[49:50], v[69:70], v[21:22]
	v_mov_b32_e32 v103, s29
	v_fma_f64 v[39:40], -v[29:30], v[89:90], v[39:40]
	s_or_b32 s29, s11, 0x1100
	s_add_i32 s30, s20, s29
	v_fma_f64 v[47:48], -v[27:28], v[83:84], v[47:48]
	v_fma_f64 v[51:52], -v[37:38], v[95:96], v[51:52]
	;; [unrolled: 1-line block ×4, first 2 shown]
	ds_read_b128 v[61:64], v100 offset:32
	ds_read_b128 v[69:72], v97 offset:64
	;; [unrolled: 1-line block ×3, first 2 shown]
	v_fma_f64 v[39:40], -v[31:32], v[91:92], v[39:40]
	ds_read_b128 v[81:84], v100 offset:48
	ds_read_b128 v[85:88], v101 offset:32
	v_mov_b32_e32 v105, s30
	s_waitcnt lgkmcnt(4)
	v_fma_f64 v[51:52], -v[33:34], v[61:62], v[51:52]
	v_fma_f64 v[43:44], -v[29:30], v[65:66], v[43:44]
	s_waitcnt lgkmcnt(2)
	v_fma_f64 v[61:62], -v[41:42], v[77:78], v[21:22]
	v_mul_f64 v[21:22], v[75:76], v[47:48]
	v_fma_f64 v[39:40], -v[25:26], v[69:70], v[39:40]
	ds_read_b128 v[73:76], v97 offset:80
	s_or_b32 s30, s11, 0x1200
	s_add_i32 s31, s20, s30
	v_fma_f64 v[47:48], -v[35:36], v[63:64], v[51:52]
	v_fma_f64 v[43:44], -v[31:32], v[67:68], v[43:44]
	v_fma_f64 v[51:52], -v[37:38], v[79:80], v[61:62]
	ds_read_b128 v[77:80], v98 offset:80
	ds_read_b128 v[61:64], v102
	v_fma_f64 v[39:40], -v[27:28], v[71:72], v[39:40]
	ds_read_b128 v[65:68], v98 offset:64
	ds_read_b128 v[69:72], v102 offset:16
	s_waitcnt lgkmcnt(6)
	v_fma_f64 v[47:48], -v[29:30], v[81:82], v[47:48]
	s_waitcnt lgkmcnt(2)
	v_fma_f64 v[23:24], -v[49:50], v[61:62], v[23:24]
	v_mov_b32_e32 v106, s31
	s_waitcnt lgkmcnt(1)
	v_fma_f64 v[43:44], -v[25:26], v[65:66], v[43:44]
	s_or_b32 s31, s11, 0x1300
	v_fma_f64 v[39:40], -v[21:22], v[73:74], v[39:40]
	s_add_i32 s33, s20, s31
	v_mov_b32_e32 v107, s33
	v_fma_f64 v[47:48], -v[31:32], v[83:84], v[47:48]
	ds_read_b128 v[81:84], v100 offset:64
	v_fma_f64 v[51:52], -v[33:34], v[85:86], v[51:52]
	v_fma_f64 v[23:24], -v[45:46], v[63:64], v[23:24]
	;; [unrolled: 1-line block ×3, first 2 shown]
	ds_read_b128 v[61:64], v101 offset:48
	ds_read_b128 v[65:68], v100 offset:80
	s_or_b32 s33, s11, 0x1400
	s_add_i32 s34, s20, s33
	s_waitcnt lgkmcnt(2)
	v_fma_f64 v[47:48], -v[25:26], v[81:82], v[47:48]
	v_mov_b32_e32 v108, s34
	v_fma_f64 v[51:52], -v[35:36], v[87:88], v[51:52]
	v_fma_f64 v[69:70], -v[41:42], v[69:70], v[23:24]
	v_mul_f64 v[23:24], v[75:76], v[39:40]
	v_fma_f64 v[39:40], -v[21:22], v[77:78], v[43:44]
	ds_read_b128 v[85:88], v101 offset:64
	s_or_b32 s34, s11, 0x1500
	v_fma_f64 v[43:44], -v[27:28], v[83:84], v[47:48]
	s_add_i32 s35, s20, s34
	s_waitcnt lgkmcnt(2)
	v_fma_f64 v[51:52], -v[29:30], v[61:62], v[51:52]
	v_fma_f64 v[47:48], -v[37:38], v[71:72], v[69:70]
	v_mov_b32_e32 v109, s35
	v_fma_f64 v[39:40], -v[23:24], v[79:80], v[39:40]
	s_or_b32 s35, s11, 0x1600
	s_add_i32 s36, s20, s35
	s_waitcnt lgkmcnt(1)
	v_fma_f64 v[43:44], -v[21:22], v[65:66], v[43:44]
	v_fma_f64 v[51:52], -v[31:32], v[63:64], v[51:52]
	ds_read_b128 v[61:64], v102 offset:32
	ds_read_b128 v[69:72], v103
	ds_read_b128 v[73:76], v102 offset:48
	ds_read_b128 v[81:84], v103 offset:16
	ds_read2_b64 v[77:80], v99 offset0:140 offset1:206
	s_waitcnt lgkmcnt(3)
	v_fma_f64 v[17:18], -v[49:50], v[69:70], v[17:18]
	v_fma_f64 v[47:48], -v[33:34], v[61:62], v[47:48]
	;; [unrolled: 1-line block ×5, first 2 shown]
	s_waitcnt lgkmcnt(0)
	v_mul_f64 v[17:18], v[77:78], v[39:40]
	v_fma_f64 v[39:40], -v[23:24], v[67:68], v[43:44]
	v_fma_f64 v[43:44], -v[27:28], v[87:88], v[51:52]
	ds_read_b128 v[61:64], v100 offset:96
	ds_read_b128 v[65:68], v101 offset:80
	v_fma_f64 v[51:52], -v[41:42], v[81:82], v[69:70]
	v_fma_f64 v[47:48], -v[29:30], v[73:74], v[47:48]
	ds_read_b128 v[69:72], v101 offset:96
	s_waitcnt lgkmcnt(2)
	v_fma_f64 v[39:40], -v[17:18], v[61:62], v[39:40]
	s_waitcnt lgkmcnt(1)
	v_fma_f64 v[43:44], -v[21:22], v[65:66], v[43:44]
	v_fma_f64 v[51:52], -v[37:38], v[83:84], v[51:52]
	v_fma_f64 v[47:48], -v[31:32], v[75:76], v[47:48]
	ds_read_b128 v[73:76], v102 offset:64
	ds_read_b128 v[85:88], v102 offset:80
	;; [unrolled: 1-line block ×4, first 2 shown]
	ds_read_b128 v[89:92], v105
	v_fma_f64 v[43:44], -v[23:24], v[67:68], v[43:44]
	ds_read_b128 v[65:68], v103 offset:64
	s_waitcnt lgkmcnt(3)
	v_fma_f64 v[51:52], -v[33:34], v[81:82], v[51:52]
	v_fma_f64 v[47:48], -v[25:26], v[73:74], v[47:48]
	s_waitcnt lgkmcnt(1)
	v_fma_f64 v[61:62], -v[49:50], v[89:90], v[19:20]
	v_mul_f64 v[19:20], v[63:64], v[39:40]
	ds_read_b128 v[97:100], v105 offset:16
	v_fma_f64 v[43:44], -v[17:18], v[69:70], v[43:44]
	v_fma_f64 v[39:40], -v[35:36], v[83:84], v[51:52]
	;; [unrolled: 1-line block ×4, first 2 shown]
	ds_read_b128 v[61:64], v106
	v_fma_f64 v[43:44], -v[19:20], v[71:72], v[43:44]
	ds_read_b128 v[69:72], v105 offset:32
	ds_read_b128 v[73:76], v102 offset:96
	;; [unrolled: 1-line block ×3, first 2 shown]
	v_fma_f64 v[39:40], -v[29:30], v[93:94], v[39:40]
	s_waitcnt lgkmcnt(3)
	v_fma_f64 v[13:14], -v[49:50], v[61:62], v[13:14]
	v_fma_f64 v[51:52], -v[41:42], v[97:98], v[51:52]
	;; [unrolled: 1-line block ×3, first 2 shown]
	ds_read_b128 v[89:92], v102 offset:112
	v_fma_f64 v[39:40], -v[31:32], v[95:96], v[39:40]
	v_fma_f64 v[51:52], -v[37:38], v[99:100], v[51:52]
	;; [unrolled: 1-line block ×3, first 2 shown]
	ds_read_b128 v[85:88], v105 offset:48
	v_fma_f64 v[39:40], -v[25:26], v[65:66], v[39:40]
	s_waitcnt lgkmcnt(4)
	v_fma_f64 v[51:52], -v[33:34], v[69:70], v[51:52]
	v_fma_f64 v[69:70], -v[45:46], v[63:64], v[13:14]
	ds_read_b128 v[61:64], v106 offset:16
	v_mul_f64 v[13:14], v[79:80], v[43:44]
	s_waitcnt lgkmcnt(4)
	v_fma_f64 v[47:48], -v[17:18], v[73:74], v[47:48]
	v_fma_f64 v[39:40], -v[27:28], v[67:68], v[39:40]
	ds_read_b128 v[65:68], v106 offset:32
	v_fma_f64 v[43:44], -v[35:36], v[71:72], v[51:52]
	s_waitcnt lgkmcnt(1)
	v_fma_f64 v[51:52], -v[41:42], v[61:62], v[69:70]
	ds_read_b128 v[69:72], v107
	v_fma_f64 v[47:48], -v[19:20], v[75:76], v[47:48]
	ds_read_b128 v[73:76], v103 offset:96
	v_fma_f64 v[39:40], -v[21:22], v[81:82], v[39:40]
	s_waitcnt lgkmcnt(1)
	v_fma_f64 v[15:16], -v[49:50], v[69:70], v[15:16]
	v_fma_f64 v[43:44], -v[29:30], v[85:86], v[43:44]
	;; [unrolled: 1-line block ×3, first 2 shown]
	ds_read_b128 v[61:64], v107 offset:16
	v_fma_f64 v[47:48], -v[13:14], v[89:90], v[47:48]
	v_fma_f64 v[39:40], -v[23:24], v[83:84], v[39:40]
	;; [unrolled: 1-line block ×3, first 2 shown]
	ds_read_b128 v[69:72], v105 offset:64
	ds_read_b128 v[77:80], v105 offset:80
	v_fma_f64 v[51:52], -v[33:34], v[65:66], v[51:52]
	ds_read_b128 v[81:84], v108
	v_fma_f64 v[43:44], -v[31:32], v[87:88], v[43:44]
	s_waitcnt lgkmcnt(4)
	v_fma_f64 v[39:40], -v[17:18], v[73:74], v[39:40]
	s_waitcnt lgkmcnt(3)
	v_fma_f64 v[15:16], -v[41:42], v[61:62], v[15:16]
	v_fma_f64 v[51:52], -v[35:36], v[67:68], v[51:52]
	ds_read_b128 v[65:68], v108 offset:16
	s_waitcnt lgkmcnt(1)
	v_fma_f64 v[9:10], -v[49:50], v[81:82], v[9:10]
	v_fma_f64 v[43:44], -v[25:26], v[69:70], v[43:44]
	ds_read_b128 v[85:88], v106 offset:48
	ds_read_b128 v[93:96], v103 offset:112
	v_fma_f64 v[39:40], -v[19:20], v[75:76], v[39:40]
	v_fma_f64 v[15:16], -v[37:38], v[63:64], v[15:16]
	s_waitcnt lgkmcnt(1)
	v_fma_f64 v[51:52], -v[29:30], v[85:86], v[51:52]
	v_fma_f64 v[9:10], -v[45:46], v[83:84], v[9:10]
	;; [unrolled: 1-line block ×3, first 2 shown]
	ds_read_b128 v[69:72], v106 offset:64
	ds_read_b128 v[61:64], v107 offset:32
	;; [unrolled: 1-line block ×3, first 2 shown]
	ds_read_b128 v[97:100], v109
	ds_read_b128 v[101:104], v109 offset:16
	v_fma_f64 v[51:52], -v[31:32], v[87:88], v[51:52]
	s_waitcnt lgkmcnt(3)
	v_fma_f64 v[15:16], -v[33:34], v[61:62], v[15:16]
	v_fma_f64 v[61:62], -v[41:42], v[65:66], v[9:10]
	v_mul_f64 v[9:10], v[91:92], v[47:48]
	v_fma_f64 v[43:44], -v[21:22], v[77:78], v[43:44]
	ds_read_b128 v[73:76], v108 offset:48
	v_fma_f64 v[39:40], -v[13:14], v[93:94], v[39:40]
	v_fma_f64 v[51:52], -v[25:26], v[69:70], v[51:52]
	;; [unrolled: 1-line block ×4, first 2 shown]
	ds_read_b128 v[61:64], v108 offset:32
	s_waitcnt lgkmcnt(3)
	v_fma_f64 v[11:12], -v[49:50], v[97:98], v[11:12]
	v_fma_f64 v[43:44], -v[23:24], v[79:80], v[43:44]
	ds_read_b128 v[65:68], v105 offset:96
	ds_read_b128 v[77:80], v105 offset:112
	v_fma_f64 v[51:52], -v[27:28], v[71:72], v[51:52]
	v_fma_f64 v[15:16], -v[29:30], v[81:82], v[15:16]
	s_waitcnt lgkmcnt(2)
	v_fma_f64 v[47:48], -v[33:34], v[61:62], v[47:48]
	ds_read_b128 v[69:72], v106 offset:80
	v_fma_f64 v[11:12], -v[45:46], v[99:100], v[11:12]
	s_waitcnt lgkmcnt(2)
	v_fma_f64 v[43:44], -v[17:18], v[65:66], v[43:44]
	v_fma_f64 v[39:40], -v[9:10], v[95:96], v[39:40]
	;; [unrolled: 1-line block ×4, first 2 shown]
	ds_read_b128 v[61:64], v107 offset:64
	v_fma_f64 v[11:12], -v[41:42], v[101:102], v[11:12]
	ds_read_b128 v[81:84], v106 offset:96
	ds_read_b128 v[85:88], v109 offset:32
	;; [unrolled: 1-line block ×4, first 2 shown]
	v_fma_f64 v[43:44], -v[19:20], v[67:68], v[43:44]
	s_waitcnt lgkmcnt(4)
	v_fma_f64 v[15:16], -v[25:26], v[61:62], v[15:16]
	v_fma_f64 v[47:48], -v[29:30], v[73:74], v[47:48]
	;; [unrolled: 1-line block ×4, first 2 shown]
	ds_read_b128 v[101:104], v105 offset:128
	v_add_u32_e32 v105, 0x1000, v60
	v_fma_f64 v[43:44], -v[13:14], v[77:78], v[43:44]
	v_fma_f64 v[15:16], -v[27:28], v[63:64], v[15:16]
	;; [unrolled: 1-line block ×3, first 2 shown]
	ds_read_b128 v[61:64], v108 offset:64
	ds_read2_b64 v[65:68], v105 offset0:16 offset1:82
	s_waitcnt lgkmcnt(5)
	v_fma_f64 v[11:12], -v[33:34], v[85:86], v[11:12]
	v_fma_f64 v[51:52], -v[23:24], v[71:72], v[51:52]
	ds_read_b128 v[69:72], v108 offset:80
	v_fma_f64 v[43:44], -v[9:10], v[79:80], v[43:44]
	s_waitcnt lgkmcnt(5)
	v_fma_f64 v[77:78], -v[21:22], v[89:90], v[15:16]
	s_waitcnt lgkmcnt(2)
	v_fma_f64 v[47:48], -v[25:26], v[61:62], v[47:48]
	v_mov_b32_e32 v15, s36
	v_fma_f64 v[11:12], -v[35:36], v[87:88], v[11:12]
	ds_read_b128 v[73:76], v15
	v_fma_f64 v[51:52], -v[17:18], v[81:82], v[51:52]
	s_or_b32 s36, s11, 0x1700
	s_add_i32 s37, s20, s36
	v_mov_b32_e32 v16, s37
	s_or_b32 s37, s11, 0x1800
	s_add_i32 s38, s20, s37
	v_fma_f64 v[61:62], -v[29:30], v[97:98], v[11:12]
	s_waitcnt lgkmcnt(2)
	v_mul_f64 v[11:12], v[65:66], v[39:40]
	v_fma_f64 v[39:40], -v[27:28], v[63:64], v[47:48]
	v_fma_f64 v[65:66], -v[23:24], v[91:92], v[77:78]
	ds_read_b128 v[77:80], v107 offset:96
	s_waitcnt lgkmcnt(1)
	v_fma_f64 v[5:6], -v[49:50], v[73:74], v[5:6]
	v_fma_f64 v[51:52], -v[19:20], v[83:84], v[51:52]
	ds_read_b128 v[81:84], v109 offset:80
	v_fma_f64 v[47:48], -v[31:32], v[99:100], v[61:62]
	ds_read_b128 v[61:64], v109 offset:64
	v_fma_f64 v[39:40], -v[21:22], v[69:70], v[39:40]
	s_waitcnt lgkmcnt(2)
	v_fma_f64 v[65:66], -v[17:18], v[77:78], v[65:66]
	v_fma_f64 v[43:44], -v[11:12], v[101:102], v[43:44]
	;; [unrolled: 1-line block ×3, first 2 shown]
	ds_read_b128 v[73:76], v106 offset:112
	ds_read_b128 v[85:88], v106 offset:128
	;; [unrolled: 1-line block ×4, first 2 shown]
	s_waitcnt lgkmcnt(4)
	v_fma_f64 v[47:48], -v[25:26], v[61:62], v[47:48]
	s_waitcnt lgkmcnt(3)
	v_fma_f64 v[51:52], -v[13:14], v[73:74], v[51:52]
	v_fma_f64 v[39:40], -v[23:24], v[71:72], v[39:40]
	ds_read_b128 v[69:72], v108 offset:96
	v_fma_f64 v[65:66], -v[19:20], v[79:80], v[65:66]
	s_waitcnt lgkmcnt(1)
	v_fma_f64 v[5:6], -v[41:42], v[93:94], v[5:6]
	ds_read_b128 v[77:80], v108 offset:112
	v_fma_f64 v[47:48], -v[27:28], v[63:64], v[47:48]
	ds_read_b128 v[61:64], v15 offset:32
	s_waitcnt lgkmcnt(2)
	v_fma_f64 v[39:40], -v[17:18], v[69:70], v[39:40]
	v_fma_f64 v[51:52], -v[9:10], v[75:76], v[51:52]
	ds_read_b128 v[73:76], v109 offset:112
	v_fma_f64 v[69:70], -v[37:38], v[95:96], v[5:6]
	v_mul_f64 v[5:6], v[103:104], v[43:44]
	v_fma_f64 v[65:66], -v[13:14], v[89:90], v[65:66]
	v_fma_f64 v[47:48], -v[21:22], v[81:82], v[47:48]
	;; [unrolled: 1-line block ×6, first 2 shown]
	ds_read_b128 v[81:84], v107 offset:128
	s_waitcnt lgkmcnt(2)
	v_fma_f64 v[47:48], -v[33:34], v[61:62], v[69:70]
	ds_read_b128 v[69:72], v109 offset:96
	v_fma_f64 v[39:40], -v[13:14], v[77:78], v[39:40]
	v_fma_f64 v[51:52], -v[5:6], v[87:88], v[51:52]
	s_waitcnt lgkmcnt(1)
	v_fma_f64 v[65:66], -v[11:12], v[81:82], v[65:66]
	s_waitcnt lgkmcnt(0)
	v_fma_f64 v[43:44], -v[17:18], v[69:70], v[43:44]
	v_fma_f64 v[47:48], -v[35:36], v[63:64], v[47:48]
	ds_read_b128 v[61:64], v15 offset:48
	ds_read_b128 v[85:88], v107 offset:144
	v_fma_f64 v[39:40], -v[9:10], v[79:80], v[39:40]
	v_mov_b32_e32 v107, s38
	s_or_b32 s38, s11, 0x1900
	s_add_i32 s39, s20, s38
	v_fma_f64 v[43:44], -v[19:20], v[71:72], v[43:44]
	ds_read_b128 v[69:72], v15 offset:64
	s_waitcnt lgkmcnt(2)
	v_fma_f64 v[47:48], -v[29:30], v[61:62], v[47:48]
	ds_read_b128 v[77:80], v16
	ds_read_b128 v[89:92], v108 offset:128
	s_or_b32 s11, s11, 0x1a00
	v_fma_f64 v[43:44], -v[13:14], v[73:74], v[43:44]
	s_waitcnt lgkmcnt(1)
	v_fma_f64 v[73:74], -v[49:50], v[77:78], v[7:8]
	v_fma_f64 v[47:48], -v[31:32], v[63:64], v[47:48]
	ds_read_b128 v[61:64], v16 offset:16
	s_waitcnt lgkmcnt(1)
	v_fma_f64 v[39:40], -v[11:12], v[89:90], v[39:40]
	v_mul_f64 v[7:8], v[67:68], v[51:52]
	v_fma_f64 v[51:52], -v[5:6], v[83:84], v[65:66]
	ds_read_b128 v[65:68], v108 offset:144
	v_fma_f64 v[43:44], -v[9:10], v[75:76], v[43:44]
	v_fma_f64 v[47:48], -v[25:26], v[69:70], v[47:48]
	;; [unrolled: 1-line block ×3, first 2 shown]
	ds_read_b128 v[73:76], v109 offset:128
	v_fma_f64 v[39:40], -v[5:6], v[91:92], v[39:40]
	ds_read_b128 v[77:80], v109 offset:144
	v_fma_f64 v[51:52], -v[7:8], v[85:86], v[51:52]
	s_waitcnt lgkmcnt(1)
	v_fma_f64 v[43:44], -v[11:12], v[73:74], v[43:44]
	v_fma_f64 v[47:48], -v[27:28], v[71:72], v[47:48]
	;; [unrolled: 1-line block ×3, first 2 shown]
	ds_read_b128 v[69:72], v15 offset:80
	ds_read_b128 v[81:84], v107
	ds_read_b128 v[89:92], v15 offset:96
	ds_read_b128 v[93:96], v16 offset:32
	v_fma_f64 v[39:40], -v[7:8], v[65:66], v[39:40]
	v_mov_b32_e32 v108, s39
	s_waitcnt lgkmcnt(2)
	v_fma_f64 v[73:74], -v[49:50], v[81:82], v[1:2]
	v_fma_f64 v[43:44], -v[5:6], v[75:76], v[43:44]
	;; [unrolled: 1-line block ×4, first 2 shown]
	v_mul_f64 v[1:2], v[87:88], v[51:52]
	ds_read_b128 v[61:64], v107 offset:16
	ds_read_b128 v[85:88], v16 offset:48
	s_add_i32 s39, s20, s11
	v_fma_f64 v[73:74], -v[45:46], v[83:84], v[73:74]
	v_fma_f64 v[43:44], -v[7:8], v[77:78], v[43:44]
	;; [unrolled: 1-line block ×3, first 2 shown]
	s_waitcnt lgkmcnt(2)
	v_fma_f64 v[51:52], -v[33:34], v[93:94], v[69:70]
	v_fma_f64 v[39:40], -v[1:2], v[67:68], v[39:40]
	ds_read2_b64 v[65:68], v105 offset0:148 offset1:214
	ds_read_b128 v[69:72], v109 offset:160
	v_mov_b32_e32 v109, s39
	v_fma_f64 v[43:44], -v[1:2], v[79:80], v[43:44]
	ds_read_b128 v[77:80], v107 offset:32
	s_waitcnt lgkmcnt(4)
	v_fma_f64 v[61:62], -v[41:42], v[61:62], v[73:74]
	v_fma_f64 v[51:52], -v[35:36], v[95:96], v[51:52]
	ds_read_b128 v[73:76], v108
	s_waitcnt lgkmcnt(3)
	v_mul_f64 v[105:106], v[65:66], v[39:40]
	v_fma_f64 v[47:48], -v[17:18], v[89:90], v[47:48]
	v_fma_f64 v[39:40], -v[37:38], v[63:64], v[61:62]
	;; [unrolled: 1-line block ×3, first 2 shown]
	ds_read_b128 v[61:64], v108 offset:16
	s_waitcnt lgkmcnt(1)
	v_fma_f64 v[3:4], -v[49:50], v[73:74], v[3:4]
	v_fma_f64 v[47:48], -v[19:20], v[91:92], v[47:48]
	;; [unrolled: 1-line block ×5, first 2 shown]
	ds_read_b128 v[81:84], v16 offset:64
	ds_read_b128 v[85:88], v107 offset:48
	v_fma_f64 v[3:4], -v[45:46], v[75:76], v[3:4]
	ds_read_b128 v[73:76], v108 offset:192
	ds_read_b128 v[89:92], v109
	ds_read_b128 v[93:96], v15 offset:112
	ds_read_b128 v[97:100], v15 offset:128
	;; [unrolled: 1-line block ×3, first 2 shown]
	s_waitcnt lgkmcnt(3)
	v_fma_f64 v[55:56], -v[49:50], v[89:90], v[55:56]
	s_waitcnt lgkmcnt(2)
	v_fma_f64 v[47:48], -v[13:14], v[93:94], v[47:48]
	v_fma_f64 v[39:40], -v[35:36], v[79:80], v[39:40]
	ds_read_b128 v[77:80], v110
	v_fma_f64 v[65:66], -v[25:26], v[81:82], v[51:52]
	v_fma_f64 v[3:4], -v[41:42], v[61:62], v[3:4]
	;; [unrolled: 1-line block ×3, first 2 shown]
	s_waitcnt lgkmcnt(0)
	v_fma_f64 v[77:78], -v[49:50], v[77:78], v[53:54]
	ds_read_b128 v[89:92], v110 offset:16
	ds_read_b128 v[51:54], v109 offset:16
	v_fma_f64 v[39:40], -v[29:30], v[85:86], v[39:40]
	v_fma_f64 v[3:4], -v[37:38], v[63:64], v[3:4]
	;; [unrolled: 1-line block ×3, first 2 shown]
	ds_read_b128 v[61:64], v108 offset:32
	ds_read_b128 v[81:84], v109 offset:32
	s_waitcnt lgkmcnt(2)
	v_fma_f64 v[51:52], -v[41:42], v[51:52], v[55:56]
	v_fma_f64 v[55:56], -v[45:46], v[79:80], v[77:78]
	;; [unrolled: 1-line block ×3, first 2 shown]
	ds_read_b128 v[77:80], v108 offset:48
	v_fma_f64 v[39:40], -v[31:32], v[87:88], v[39:40]
	s_waitcnt lgkmcnt(2)
	v_fma_f64 v[3:4], -v[33:34], v[61:62], v[3:4]
	ds_read_b128 v[85:88], v107 offset:64
	v_fma_f64 v[61:62], -v[21:22], v[101:102], v[65:66]
	v_fma_f64 v[65:66], -v[37:38], v[53:54], v[51:52]
	;; [unrolled: 1-line block ×3, first 2 shown]
	ds_read_b128 v[51:54], v107 offset:80
	ds_write_b64 v59, v[49:50]
	s_waitcnt lgkmcnt(2)
	v_fma_f64 v[39:40], -v[25:26], v[85:86], v[39:40]
	v_fma_f64 v[3:4], -v[35:36], v[63:64], v[3:4]
	;; [unrolled: 1-line block ×6, first 2 shown]
	v_add_u32_e32 v59, s16, v57
	v_fma_f64 v[39:40], -v[27:28], v[87:88], v[39:40]
	ds_read_b128 v[47:50], v110 offset:32
	ds_read_b128 v[61:64], v16 offset:96
	;; [unrolled: 1-line block ×3, first 2 shown]
	v_fma_f64 v[3:4], -v[29:30], v[77:78], v[3:4]
	ds_read_b128 v[89:92], v109 offset:48
	v_fma_f64 v[65:66], -v[35:36], v[83:84], v[65:66]
	s_waitcnt lgkmcnt(3)
	v_fma_f64 v[47:48], -v[33:34], v[47:48], v[55:56]
	s_waitcnt lgkmcnt(2)
	v_fma_f64 v[55:56], -v[17:18], v[61:62], v[93:94]
	ds_read_b128 v[81:84], v110 offset:48
	v_fma_f64 v[39:40], -v[21:22], v[51:52], v[39:40]
	ds_read_b128 v[93:96], v108 offset:64
	;; [unrolled: 2-line block ×3, first 2 shown]
	s_waitcnt lgkmcnt(3)
	v_fma_f64 v[51:52], -v[29:30], v[89:90], v[65:66]
	v_fma_f64 v[61:62], -v[35:36], v[49:50], v[47:48]
	v_fma_f64 v[65:66], -v[5:6], v[99:100], v[69:70]
	ds_read_b128 v[47:50], v108 offset:80
	v_fma_f64 v[39:40], -v[23:24], v[53:54], v[39:40]
	v_fma_f64 v[55:56], -v[19:20], v[63:64], v[55:56]
	s_waitcnt lgkmcnt(2)
	v_fma_f64 v[3:4], -v[25:26], v[93:94], v[3:4]
	v_fma_f64 v[69:70], -v[31:32], v[91:92], v[51:52]
	;; [unrolled: 1-line block ×3, first 2 shown]
	ds_read_b128 v[51:54], v107 offset:96
	ds_read_b128 v[89:92], v107 offset:112
	;; [unrolled: 1-line block ×3, first 2 shown]
	v_fma_f64 v[55:56], -v[13:14], v[85:86], v[55:56]
	v_fma_f64 v[3:4], -v[27:28], v[95:96], v[3:4]
	s_waitcnt lgkmcnt(2)
	v_fma_f64 v[39:40], -v[17:18], v[51:52], v[39:40]
	v_fma_f64 v[51:52], -v[25:26], v[77:78], v[69:70]
	;; [unrolled: 1-line block ×3, first 2 shown]
	ds_read_b128 v[81:84], v110 offset:64
	ds_read_b128 v[93:96], v15 offset:160
	s_waitcnt lgkmcnt(2)
	v_fma_f64 v[61:62], -v[7:8], v[61:62], v[65:66]
	v_fma_f64 v[55:56], -v[9:10], v[87:88], v[55:56]
	;; [unrolled: 1-line block ×5, first 2 shown]
	ds_read_b128 v[51:54], v110 offset:80
	s_waitcnt lgkmcnt(2)
	v_fma_f64 v[69:70], -v[25:26], v[81:82], v[69:70]
	ds_read_b128 v[77:80], v109 offset:80
	ds_read_b128 v[85:88], v16 offset:128
	;; [unrolled: 1-line block ×4, first 2 shown]
	v_fma_f64 v[3:4], -v[23:24], v[49:50], v[3:4]
	s_waitcnt lgkmcnt(2)
	v_fma_f64 v[55:56], -v[11:12], v[85:86], v[55:56]
	v_fma_f64 v[65:66], -v[21:22], v[77:78], v[65:66]
	;; [unrolled: 1-line block ×4, first 2 shown]
	ds_read_b128 v[81:84], v108 offset:112
	v_fma_f64 v[77:78], -v[1:2], v[63:64], v[61:62]
	ds_read_b128 v[47:50], v109 offset:96
	s_waitcnt lgkmcnt(2)
	v_fma_f64 v[3:4], -v[17:18], v[101:102], v[3:4]
	v_mul_f64 v[89:90], v[71:72], v[43:44]
	v_fma_f64 v[65:66], -v[23:24], v[79:80], v[65:66]
	v_fma_f64 v[39:40], -v[9:10], v[91:92], v[39:40]
	;; [unrolled: 1-line block ×5, first 2 shown]
	ds_read_b128 v[77:80], v109 offset:112
	v_fma_f64 v[3:4], -v[19:20], v[103:104], v[3:4]
	ds_read_b128 v[61:64], v107 offset:128
	s_waitcnt lgkmcnt(2)
	v_fma_f64 v[47:48], -v[17:18], v[47:48], v[65:66]
	ds_read_b128 v[69:72], v110 offset:96
	v_fma_f64 v[65:66], -v[23:24], v[53:54], v[51:52]
	ds_read_b128 v[51:54], v107 offset:144
	s_waitcnt lgkmcnt(2)
	v_fma_f64 v[39:40], -v[11:12], v[61:62], v[39:40]
	v_fma_f64 v[43:44], -v[7:8], v[97:98], v[43:44]
	;; [unrolled: 1-line block ×5, first 2 shown]
	ds_read_b128 v[47:50], v110 offset:112
	s_waitcnt lgkmcnt(2)
	v_fma_f64 v[65:66], -v[17:18], v[69:70], v[65:66]
	v_fma_f64 v[39:40], -v[5:6], v[63:64], v[39:40]
	ds_read_b128 v[61:64], v109 offset:128
	v_fma_f64 v[3:4], -v[9:10], v[83:84], v[3:4]
	v_fma_f64 v[43:44], -v[1:2], v[99:100], v[43:44]
	;; [unrolled: 1-line block ×3, first 2 shown]
	ds_read_b128 v[81:84], v108 offset:128
	v_fma_f64 v[65:66], -v[19:20], v[71:72], v[65:66]
	ds_read_b128 v[69:72], v16 offset:160
	ds_read_b128 v[85:88], v108 offset:144
	s_waitcnt lgkmcnt(5)
	v_fma_f64 v[39:40], -v[7:8], v[51:52], v[39:40]
	ds_write_b64 v59, v[45:46]
	s_waitcnt lgkmcnt(3)
	v_fma_f64 v[3:4], -v[11:12], v[81:82], v[3:4]
	v_mul_f64 v[55:56], v[67:68], v[55:56]
	v_fma_f64 v[51:52], -v[9:10], v[79:80], v[77:78]
	ds_read_b128 v[77:80], v16 offset:176
	v_fma_f64 v[15:16], -v[13:14], v[47:48], v[65:66]
	s_waitcnt lgkmcnt(3)
	v_fma_f64 v[47:48], -v[105:106], v[69:70], v[43:44]
	v_fma_f64 v[39:40], -v[1:2], v[53:54], v[39:40]
	ds_read_b128 v[43:46], v107 offset:160
	v_fma_f64 v[3:4], -v[5:6], v[83:84], v[3:4]
	v_add_u32_e32 v59, s4, v57
	v_fma_f64 v[61:62], -v[11:12], v[61:62], v[51:52]
	v_fma_f64 v[15:16], -v[9:10], v[49:50], v[15:16]
	;; [unrolled: 1-line block ×3, first 2 shown]
	ds_read_b128 v[47:50], v107 offset:176
	ds_read_b128 v[51:54], v110 offset:128
	s_waitcnt lgkmcnt(2)
	v_fma_f64 v[39:40], -v[105:106], v[43:44], v[39:40]
	v_fma_f64 v[3:4], -v[7:8], v[85:86], v[3:4]
	ds_read_b128 v[65:68], v109 offset:144
	v_fma_f64 v[43:44], -v[5:6], v[63:64], v[61:62]
	ds_read_b128 v[61:64], v110 offset:144
	s_waitcnt lgkmcnt(2)
	v_fma_f64 v[15:16], -v[11:12], v[51:52], v[15:16]
	v_fma_f64 v[51:52], -v[55:56], v[77:78], v[69:70]
	ds_read_b128 v[69:72], v109 offset:160
	ds_read_b128 v[81:84], v108 offset:160
	v_fma_f64 v[3:4], -v[1:2], v[87:88], v[3:4]
	v_fma_f64 v[45:46], -v[89:90], v[45:46], v[39:40]
	s_waitcnt lgkmcnt(3)
	v_fma_f64 v[43:44], -v[7:8], v[65:66], v[43:44]
	ds_write_b64 v59, v[41:42]
	v_fma_f64 v[15:16], -v[5:6], v[53:54], v[15:16]
	ds_read_b128 v[39:42], v108 offset:176
	v_mul_f64 v[65:66], v[79:80], v[51:52]
	v_add_u32_e32 v53, s5, v57
	s_waitcnt lgkmcnt(2)
	v_fma_f64 v[3:4], -v[105:106], v[81:82], v[3:4]
	v_fma_f64 v[45:46], -v[55:56], v[47:48], v[45:46]
	;; [unrolled: 1-line block ×3, first 2 shown]
	ds_write_b64 v53, v[37:38]
	v_fma_f64 v[15:16], -v[7:8], v[61:62], v[15:16]
	v_add_u32_e32 v37, s12, v57
	ds_write_b64 v37, v[33:34]
	v_add_u32_e32 v37, 0x1800, v60
	v_fma_f64 v[3:4], -v[89:90], v[83:84], v[3:4]
	v_fma_f64 v[61:62], -v[65:66], v[49:50], v[45:46]
	;; [unrolled: 1-line block ×3, first 2 shown]
	ds_read_b128 v[43:46], v110 offset:160
	ds_read_b128 v[47:50], v110 offset:176
	v_fma_f64 v[15:16], -v[1:2], v[63:64], v[15:16]
	ds_read_b128 v[51:54], v109 offset:176
	v_add_u32_e32 v67, s13, v57
	s_waitcnt lgkmcnt(5)
	v_fma_f64 v[3:4], -v[55:56], v[39:40], v[3:4]
	ds_read2_b64 v[37:40], v37 offset0:24 offset1:90
	v_fma_f64 v[59:60], -v[89:90], v[71:72], v[33:34]
	ds_write_b64 v67, v[35:36]
	ds_read_b128 v[33:36], v109 offset:192
	s_waitcnt lgkmcnt(5)
	v_fma_f64 v[15:16], -v[105:106], v[43:44], v[15:16]
	s_waitcnt lgkmcnt(2)
	v_mul_f64 v[37:38], v[37:38], v[61:62]
	v_add_u32_e32 v43, s15, v57
	v_fma_f64 v[3:4], -v[65:66], v[41:42], v[3:4]
	ds_write_b64 v43, v[29:30]
	v_fma_f64 v[41:42], -v[55:56], v[51:52], v[59:60]
	v_add_u32_e32 v29, s17, v57
	ds_write_b64 v29, v[31:32]
	v_fma_f64 v[15:16], -v[89:90], v[45:46], v[15:16]
	v_add_u32_e32 v31, s18, v57
	;; [unrolled: 3-line block ×3, first 2 shown]
	v_fma_f64 v[29:30], -v[65:66], v[53:54], v[41:42]
	ds_write_b64 v25, v[27:28]
	v_add_u32_e32 v25, s21, v57
	v_fma_f64 v[15:16], -v[55:56], v[47:48], v[15:16]
	ds_write_b64 v25, v[21:22]
	v_add_u32_e32 v21, s23, v57
	v_mul_f64 v[3:4], v[75:76], v[3:4]
	ds_write_b64 v21, v[23:24]
	s_waitcnt lgkmcnt(6)
	v_fma_f64 v[25:26], -v[37:38], v[33:34], v[29:30]
	ds_read_b128 v[21:24], v110 offset:192
	v_add_u32_e32 v29, s25, v57
	v_fma_f64 v[27:28], -v[65:66], v[49:50], v[15:16]
	v_add_u32_e32 v15, s24, v57
	ds_write_b64 v15, v[17:18]
	ds_read_b128 v[15:18], v110 offset:208
	ds_write_b64 v29, v[19:20]
	v_fma_f64 v[25:26], -v[3:4], v[35:36], v[25:26]
	v_add_u32_e32 v19, s26, v57
	ds_write_b64 v19, v[13:14]
	s_waitcnt lgkmcnt(4)
	v_fma_f64 v[21:22], -v[37:38], v[21:22], v[27:28]
	v_add_u32_e32 v13, s27, v57
	ds_write_b64 v13, v[9:10]
	v_add_u32_e32 v19, s28, v57
	ds_write_b64 v19, v[11:12]
	v_mul_f64 v[9:10], v[39:40], v[25:26]
	v_add_u32_e32 v11, s29, v57
	ds_write_b64 v11, v[5:6]
	v_fma_f64 v[13:14], -v[3:4], v[23:24], v[21:22]
	v_add_u32_e32 v5, s30, v57
	ds_write_b64 v5, v[7:8]
	v_add_u32_e32 v5, s31, v57
	ds_write_b64 v5, v[1:2]
	;; [unrolled: 2-line block ×3, first 2 shown]
	v_add_u32_e32 v5, s34, v57
	s_waitcnt lgkmcnt(8)
	v_fma_f64 v[1:2], -v[9:10], v[15:16], v[13:14]
	ds_write_b64 v5, v[89:90]
	v_add_u32_e32 v5, s35, v57
	ds_write_b64 v5, v[55:56]
	v_add_u32_e32 v5, s36, v57
	;; [unrolled: 2-line block ×3, first 2 shown]
	ds_write_b64 v5, v[37:38]
	v_mul_f64 v[1:2], v[17:18], v[1:2]
	v_add_u32_e32 v5, s38, v57
	ds_write_b64 v5, v[3:4]
	v_add_u32_e32 v3, s11, v57
	ds_write_b64 v3, v[9:10]
	ds_write_b64 v58, v[1:2]
.LBB102_18:
	s_cmp_ge_i32 s14, s22
	s_cbranch_scc1 .LBB102_23
; %bb.19:
	v_mov_b32_e32 v1, 0x2000
	s_lshl_b32 s4, s14, 8
	v_lshl_or_b32 v3, v0, 3, v1
	s_branch .LBB102_21
.LBB102_20:                             ;   in Loop: Header=BB102_21 Depth=1
	s_mul_i32 s5, s14, 0x108
	v_mov_b32_e32 v5, s5
	ds_read_b64 v[5:6], v5
	s_add_i32 s14, s14, 1
	s_addk_i32 s4, 0x100
	s_cmp_ge_i32 s14, s22
	s_waitcnt lgkmcnt(0)
	v_mul_f64 v[1:2], v[5:6], v[1:2]
	ds_write_b64 v4, v[1:2]
	s_cbranch_scc1 .LBB102_23
.LBB102_21:                             ; =>This Loop Header: Depth=1
                                        ;     Child Loop BB102_22 Depth 2
	s_lshl_b32 s5, s14, 8
	v_add_u32_e32 v4, s5, v57
	ds_read_b64 v[1:2], v4
	s_cmp_eq_u32 s14, 0
	v_mov_b32_e32 v5, v3
	s_mov_b32 s5, s14
	s_mov_b32 s8, s4
	s_cbranch_scc1 .LBB102_20
.LBB102_22:                             ;   Parent Loop BB102_21 Depth=1
                                        ; =>  This Inner Loop Header: Depth=2
	v_mov_b32_e32 v8, s8
	ds_read_b64 v[6:7], v5
	ds_read_b64 v[8:9], v8
	s_add_i32 s8, s8, 8
	s_add_i32 s5, s5, -1
	s_cmp_lg_u32 s5, 0
	v_add_u32_e32 v5, 0x100, v5
	s_waitcnt lgkmcnt(0)
	v_fma_f64 v[1:2], -v[6:7], v[8:9], v[1:2]
	s_cbranch_scc1 .LBB102_22
	s_branch .LBB102_20
.LBB102_23:
	s_mov_b64 s[4:5], 0
.LBB102_24:
	s_and_b64 vcc, exec, s[4:5]
	s_cbranch_vccz .LBB102_50
; %bb.25:
	s_add_i32 s4, s22, -1
	s_cmp_gt_i32 s10, 31
	s_mov_b32 s5, s4
	s_cbranch_scc0 .LBB102_27
; %bb.26:
	v_add_u32_e32 v58, 0x1800, v57
	ds_read2_b64 v[1:4], v58 offset0:192 offset1:224
	v_mov_b32_e32 v59, 0
	ds_read_b128 v[5:8], v59 offset:8176
	ds_read_b128 v[35:38], v59 offset:8160
	s_movk_i32 s5, 0x1800
	v_add_u32_e64 v61, s5, 0
	ds_read2_b64 v[17:20], v61 offset0:156 offset1:222
	s_waitcnt lgkmcnt(2)
	v_mul_f64 v[51:52], v[7:8], v[3:4]
	v_add_u32_e32 v60, 0x1000, v57
	ds_read2_b64 v[23:26], v58 offset0:64 offset1:96
	s_movk_i32 s5, 0x1000
	v_add_u32_e64 v118, s5, 0
	s_movk_i32 s5, 0x800
	v_fma_f64 v[5:6], -v[51:52], v[5:6], v[1:2]
	ds_read2_b64 v[1:4], v58 offset0:128 offset1:160
	s_waitcnt lgkmcnt(0)
	v_fma_f64 v[3:4], -v[51:52], v[37:38], v[3:4]
	v_fma_f64 v[55:56], -v[51:52], v[35:36], v[1:2]
	v_mul_f64 v[53:54], v[19:20], v[5:6]
	ds_read2_b64 v[19:22], v58 offset1:32
	ds_read2_b64 v[13:16], v60 offset0:192 offset1:224
	ds_read_b128 v[27:30], v59 offset:7904
	ds_read2_b64 v[9:12], v60 offset0:128 offset1:160
	ds_read2_b64 v[5:8], v60 offset0:64 offset1:96
	ds_read_b128 v[31:34], v59 offset:7888
	s_waitcnt lgkmcnt(3)
	v_fma_f64 v[29:30], -v[53:54], v[29:30], v[3:4]
	ds_read_b128 v[39:42], v59 offset:8144
	ds_read2_b64 v[1:4], v60 offset1:32
	ds_read_b128 v[35:38], v59 offset:7648
	ds_read_b128 v[43:46], v59 offset:8128
	ds_read_b128 v[47:50], v59 offset:7680
	s_waitcnt lgkmcnt(4)
	v_fma_f64 v[41:42], -v[51:52], v[41:42], v[25:26]
	v_fma_f64 v[55:56], -v[53:54], v[27:28], v[55:56]
	;; [unrolled: 1-line block ×3, first 2 shown]
	s_waitcnt lgkmcnt(1)
	v_fma_f64 v[45:46], -v[51:52], v[45:46], v[21:22]
	v_fma_f64 v[19:20], -v[51:52], v[43:44], v[19:20]
	v_mul_f64 v[25:26], v[37:38], v[29:30]
	ds_read_b128 v[27:30], v59 offset:7632
	ds_read_b128 v[62:65], v59 offset:7616
	;; [unrolled: 1-line block ×6, first 2 shown]
	v_fma_f64 v[41:42], -v[53:54], v[33:34], v[41:42]
	v_fma_f64 v[94:95], -v[53:54], v[31:32], v[23:24]
	;; [unrolled: 1-line block ×3, first 2 shown]
	ds_read_b128 v[33:36], v59 offset:7872
	ds_read_b128 v[37:40], v59 offset:7856
	;; [unrolled: 1-line block ×4, first 2 shown]
	s_waitcnt lgkmcnt(9)
	v_fma_f64 v[41:42], -v[25:26], v[29:30], v[41:42]
	s_waitcnt lgkmcnt(3)
	v_fma_f64 v[35:36], -v[53:54], v[35:36], v[45:46]
	v_fma_f64 v[27:28], -v[25:26], v[27:28], v[94:95]
	ds_read_b128 v[21:24], v59 offset:8112
	ds_read_b128 v[29:32], v59 offset:8096
	;; [unrolled: 1-line block ×3, first 2 shown]
	s_waitcnt lgkmcnt(2)
	v_fma_f64 v[15:16], -v[51:52], v[23:24], v[15:16]
	v_mul_f64 v[17:18], v[17:18], v[55:56]
	v_fma_f64 v[23:24], -v[53:54], v[33:34], v[19:20]
	v_fma_f64 v[55:56], -v[25:26], v[64:65], v[35:36]
	;; [unrolled: 1-line block ×3, first 2 shown]
	s_waitcnt lgkmcnt(1)
	v_fma_f64 v[11:12], -v[51:52], v[31:32], v[11:12]
	v_fma_f64 v[39:40], -v[53:54], v[39:40], v[15:16]
	;; [unrolled: 1-line block ×5, first 2 shown]
	ds_read_b128 v[41:44], v59 offset:7600
	ds_read_b128 v[94:97], v59 offset:7584
	ds_read_b128 v[98:101], v59 offset:7344
	ds_read_b128 v[102:105], v59 offset:7328
	ds_read_b128 v[33:36], v59 offset:7088
	ds_read_b128 v[64:67], v59 offset:7072
	ds_read_b128 v[106:109], v59 offset:6576
	ds_read_b128 v[110:113], v59 offset:6560
	v_fma_f64 v[31:32], -v[53:54], v[37:38], v[21:22]
	v_fma_f64 v[68:69], -v[51:52], v[29:30], v[9:10]
	v_mul_f64 v[19:20], v[76:77], v[45:46]
	v_fma_f64 v[45:46], -v[17:18], v[72:73], v[55:56]
	s_waitcnt lgkmcnt(7)
	v_fma_f64 v[55:56], -v[25:26], v[43:44], v[39:40]
	v_fma_f64 v[23:24], -v[17:18], v[70:71], v[23:24]
	;; [unrolled: 1-line block ×5, first 2 shown]
	ds_read_b128 v[13:16], v59 offset:6320
	ds_read_b128 v[72:75], v59 offset:6304
	ds_read2_b64 v[114:117], v61 offset0:24 offset1:90
	v_fma_f64 v[61:62], -v[19:20], v[80:81], v[45:46]
	s_waitcnt lgkmcnt(8)
	v_fma_f64 v[41:42], -v[17:18], v[100:101], v[55:56]
	v_fma_f64 v[23:24], -v[19:20], v[78:79], v[23:24]
	ds_read_b128 v[37:40], v59 offset:8080
	ds_read_b128 v[43:46], v59 offset:7824
	v_fma_f64 v[80:81], -v[25:26], v[96:97], v[70:71]
	s_waitcnt lgkmcnt(2)
	v_mul_f64 v[21:22], v[116:117], v[27:28]
	ds_read_b128 v[27:30], v59 offset:6592
	ds_read_b128 v[9:12], v59 offset:6656
	s_waitcnt lgkmcnt(3)
	v_fma_f64 v[7:8], -v[51:52], v[39:40], v[7:8]
	v_fma_f64 v[35:36], -v[19:20], v[35:36], v[41:42]
	;; [unrolled: 1-line block ×8, first 2 shown]
	s_waitcnt lgkmcnt(2)
	v_fma_f64 v[45:46], -v[53:54], v[45:46], v[7:8]
	v_fma_f64 v[5:6], -v[53:54], v[43:44], v[5:6]
	s_waitcnt lgkmcnt(1)
	v_mul_f64 v[23:24], v[29:30], v[55:56]
	v_fma_f64 v[55:56], -v[25:26], v[94:95], v[61:62]
	v_fma_f64 v[61:62], -v[17:18], v[104:105], v[80:81]
	;; [unrolled: 1-line block ×3, first 2 shown]
	ds_read_b128 v[29:32], v59 offset:6064
	ds_read_b128 v[68:71], v59 offset:6048
	;; [unrolled: 1-line block ×3, first 2 shown]
	v_fma_f64 v[27:28], -v[23:24], v[27:28], v[41:42]
	v_fma_f64 v[55:56], -v[17:18], v[102:103], v[55:56]
	ds_read_b128 v[33:36], v59 offset:7568
	ds_read_b128 v[39:42], v59 offset:7312
	v_fma_f64 v[61:62], -v[19:20], v[66:67], v[61:62]
	v_fma_f64 v[66:67], -v[21:22], v[86:87], v[80:81]
	;; [unrolled: 1-line block ×3, first 2 shown]
	s_waitcnt lgkmcnt(1)
	v_fma_f64 v[45:46], -v[25:26], v[35:36], v[45:46]
	ds_read_b128 v[80:83], v59 offset:6816
	ds_read_b128 v[84:87], v59 offset:6800
	;; [unrolled: 1-line block ×3, first 2 shown]
	v_mul_f64 v[7:8], v[114:115], v[27:28]
	v_fma_f64 v[27:28], -v[19:20], v[64:65], v[55:56]
	v_fma_f64 v[5:6], -v[25:26], v[33:34], v[5:6]
	s_waitcnt lgkmcnt(2)
	v_fma_f64 v[55:56], -v[21:22], v[82:83], v[61:62]
	v_fma_f64 v[65:66], -v[23:24], v[106:107], v[66:67]
	ds_read_b128 v[35:38], v59 offset:6544
	ds_read_b128 v[61:64], v59 offset:7296
	v_fma_f64 v[45:46], -v[17:18], v[41:42], v[45:46]
	v_fma_f64 v[3:4], -v[51:52], v[78:79], v[3:4]
	;; [unrolled: 1-line block ×8, first 2 shown]
	v_mul_f64 v[27:28], v[31:32], v[15:16]
	ds_read_b128 v[13:16], v59 offset:7056
	ds_read_b128 v[41:44], v59 offset:7040
	v_fma_f64 v[31:32], -v[23:24], v[110:111], v[80:81]
	ds_read_b128 v[78:81], v59 offset:7808
	ds_read_b128 v[92:95], v59 offset:7792
	ds_read2_b64 v[96:99], v118 offset0:148 offset1:214
	v_fma_f64 v[33:34], -v[7:8], v[74:75], v[55:56]
	s_waitcnt lgkmcnt(4)
	v_fma_f64 v[15:16], -v[19:20], v[15:16], v[45:46]
	s_waitcnt lgkmcnt(2)
	v_fma_f64 v[45:46], -v[53:54], v[80:81], v[3:4]
	v_fma_f64 v[74:75], -v[19:20], v[13:14], v[39:40]
	;; [unrolled: 1-line block ×9, first 2 shown]
	s_waitcnt lgkmcnt(0)
	v_mul_f64 v[29:30], v[98:99], v[29:30]
	ds_read_b128 v[3:6], v59 offset:5792
	ds_read_b128 v[70:73], v59 offset:5776
	v_fma_f64 v[31:32], -v[27:28], v[68:69], v[31:32]
	ds_read_b128 v[13:16], v59 offset:6528
	v_fma_f64 v[78:79], -v[25:26], v[88:89], v[78:79]
	v_fma_f64 v[55:56], -v[23:24], v[37:38], v[55:56]
	ds_read_b128 v[37:40], v59 offset:6288
	ds_read_b128 v[65:68], v59 offset:5536
	v_fma_f64 v[45:46], -v[17:18], v[63:64], v[45:46]
	s_waitcnt lgkmcnt(4)
	v_fma_f64 v[33:34], -v[29:30], v[5:6], v[33:34]
	v_fma_f64 v[63:64], -v[23:24], v[35:36], v[74:75]
	ds_read_b128 v[80:83], v59 offset:6272
	ds_read_b128 v[84:87], v59 offset:6032
	v_fma_f64 v[90:91], -v[29:30], v[3:4], v[31:32]
	s_waitcnt lgkmcnt(3)
	v_fma_f64 v[39:40], -v[7:8], v[39:40], v[55:56]
	ds_read_b128 v[108:111], v59 offset:7024
	v_fma_f64 v[43:44], -v[19:20], v[43:44], v[45:46]
	s_waitcnt lgkmcnt(3)
	v_mul_f64 v[31:32], v[67:68], v[33:34]
	ds_read_b128 v[33:36], v59 offset:6784
	v_add_u32_e32 v55, 0x800, v57
	v_fma_f64 v[61:62], -v[17:18], v[61:62], v[78:79]
	ds_read_b128 v[74:77], v59 offset:6016
	s_waitcnt lgkmcnt(3)
	v_fma_f64 v[67:68], -v[27:28], v[86:87], v[39:40]
	v_fma_f64 v[86:87], -v[7:8], v[37:38], v[63:64]
	s_waitcnt lgkmcnt(1)
	v_fma_f64 v[35:36], -v[21:22], v[35:36], v[43:44]
	v_fma_f64 v[65:66], -v[31:32], v[65:66], v[90:91]
	ds_read2_b64 v[43:46], v55 offset0:192 offset1:224
	ds_read_b128 v[37:40], v59 offset:6768
	ds_read_b128 v[3:6], v59 offset:5632
	v_add_u32_e64 v56, s5, 0
	v_fma_f64 v[67:68], -v[29:30], v[72:73], v[67:68]
	v_fma_f64 v[72:73], -v[27:28], v[84:85], v[86:87]
	ds_read_b128 v[84:87], v59 offset:8048
	v_fma_f64 v[15:16], -v[23:24], v[15:16], v[35:36]
	v_mul_f64 v[1:2], v[96:97], v[65:66]
	ds_read_b128 v[63:66], v59 offset:5520
	ds_read_b128 v[88:91], v59 offset:5504
	s_waitcnt lgkmcnt(2)
	v_fma_f64 v[45:46], -v[51:52], v[86:87], v[45:46]
	v_fma_f64 v[84:85], -v[51:52], v[84:85], v[43:44]
	;; [unrolled: 1-line block ×3, first 2 shown]
	s_waitcnt lgkmcnt(1)
	v_fma_f64 v[35:36], -v[31:32], v[65:66], v[67:68]
	v_fma_f64 v[15:16], -v[7:8], v[82:83], v[15:16]
	;; [unrolled: 1-line block ×3, first 2 shown]
	ds_read_b128 v[65:68], v59 offset:8032
	ds_read_b128 v[102:105], v59 offset:7536
	v_fma_f64 v[45:46], -v[53:54], v[94:95], v[45:46]
	ds_read_b128 v[96:99], v59 offset:5264
	ds_read_b128 v[69:72], v59 offset:5248
	v_fma_f64 v[86:87], -v[31:32], v[63:64], v[78:79]
	ds_read_b128 v[61:64], v59 offset:5760
	v_fma_f64 v[15:16], -v[27:28], v[76:77], v[15:16]
	s_waitcnt lgkmcnt(2)
	v_fma_f64 v[35:36], -v[1:2], v[98:99], v[35:36]
	v_fma_f64 v[114:115], -v[53:54], v[92:93], v[84:85]
	;; [unrolled: 1-line block ×4, first 2 shown]
	ds_read_b128 v[98:101], v59 offset:5008
	ds_read_b128 v[104:107], v59 offset:4992
	ds_read_b128 v[41:44], v59 offset:7520
	ds_read_b128 v[76:79], v59 offset:7280
	s_waitcnt lgkmcnt(4)
	v_fma_f64 v[15:16], -v[29:30], v[63:64], v[15:16]
	s_waitcnt lgkmcnt(3)
	v_mul_f64 v[33:34], v[100:101], v[35:36]
	v_fma_f64 v[35:36], -v[25:26], v[102:103], v[114:115]
	v_fma_f64 v[63:64], -v[23:24], v[13:14], v[112:113]
	s_waitcnt lgkmcnt(0)
	v_fma_f64 v[45:46], -v[17:18], v[78:79], v[45:46]
	v_fma_f64 v[78:79], -v[1:2], v[96:97], v[86:87]
	ds_read_b128 v[82:85], v59 offset:5744
	ds_read_b128 v[92:95], v59 offset:7264
	ds_read_b128 v[100:103], v59 offset:7008
	v_fma_f64 v[86:87], -v[31:32], v[90:91], v[15:16]
	ds_read2_b64 v[13:16], v55 offset0:128 offset1:160
	v_fma_f64 v[35:36], -v[17:18], v[76:77], v[35:36]
	v_fma_f64 v[45:46], -v[19:20], v[110:111], v[45:46]
	;; [unrolled: 1-line block ×4, first 2 shown]
	s_waitcnt lgkmcnt(0)
	v_fma_f64 v[15:16], -v[51:52], v[67:68], v[15:16]
	ds_read_b128 v[96:99], v59 offset:6512
	ds_read2_b64 v[76:79], v118 offset0:16 offset1:82
	v_fma_f64 v[13:14], -v[51:52], v[65:66], v[13:14]
	v_fma_f64 v[35:36], -v[19:20], v[108:109], v[35:36]
	;; [unrolled: 1-line block ×5, first 2 shown]
	ds_read_b128 v[71:74], v59 offset:7776
	ds_read_b128 v[108:111], v59 offset:6496
	;; [unrolled: 1-line block ×4, first 2 shown]
	s_mov_b32 s5, -1
	s_waitcnt lgkmcnt(3)
	v_fma_f64 v[15:16], -v[53:54], v[73:74], v[15:16]
	v_fma_f64 v[39:40], -v[23:24], v[98:99], v[39:40]
	;; [unrolled: 1-line block ×4, first 2 shown]
	v_mul_f64 v[35:36], v[78:79], v[80:81]
	ds_read_b128 v[78:81], v59 offset:6240
	v_fma_f64 v[13:14], -v[53:54], v[71:72], v[13:14]
	v_fma_f64 v[73:74], -v[33:34], v[106:107], v[45:46]
	;; [unrolled: 1-line block ×3, first 2 shown]
	s_waitcnt lgkmcnt(2)
	v_fma_f64 v[86:87], -v[7:8], v[114:115], v[39:40]
	v_fma_f64 v[96:97], -v[23:24], v[96:97], v[67:68]
	ds_read_b128 v[37:40], v59 offset:6000
	v_fma_f64 v[90:91], -v[31:32], v[88:89], v[90:91]
	ds_read_b128 v[43:46], v59 offset:4736
	ds_read_b128 v[61:64], v59 offset:5984
	v_fma_f64 v[13:14], -v[25:26], v[41:42], v[13:14]
	ds_read_b128 v[65:68], v59 offset:4720
	v_fma_f64 v[15:16], -v[17:18], v[94:95], v[15:16]
	s_waitcnt lgkmcnt(3)
	v_fma_f64 v[39:40], -v[27:28], v[39:40], v[86:87]
	v_fma_f64 v[94:95], -v[7:8], v[112:113], v[96:97]
	ds_read_b128 v[86:89], v59 offset:4480
	s_waitcnt lgkmcnt(3)
	v_fma_f64 v[45:46], -v[35:36], v[45:46], v[73:74]
	v_fma_f64 v[92:93], -v[17:18], v[92:93], v[13:14]
	;; [unrolled: 1-line block ×6, first 2 shown]
	ds_read_b128 v[69:72], v59 offset:5488
	ds_read_b128 v[94:97], v59 offset:6752
	;; [unrolled: 1-line block ×3, first 2 shown]
	v_fma_f64 v[100:101], -v[19:20], v[100:101], v[92:93]
	s_waitcnt lgkmcnt(1)
	v_fma_f64 v[96:97], -v[21:22], v[96:97], v[15:16]
	v_fma_f64 v[90:91], -v[31:32], v[71:72], v[39:40]
	;; [unrolled: 1-line block ×3, first 2 shown]
	ds_read_b128 v[39:42], v59 offset:5232
	ds_read_b128 v[71:74], v59 offset:6736
	v_fma_f64 v[98:99], -v[33:34], v[104:105], v[84:85]
	v_mul_f64 v[37:38], v[88:89], v[45:46]
	v_fma_f64 v[100:101], -v[21:22], v[94:95], v[100:101]
	ds_read_b128 v[13:16], v59 offset:4608
	v_fma_f64 v[96:97], -v[23:24], v[110:111], v[96:97]
	s_waitcnt lgkmcnt(2)
	v_fma_f64 v[41:42], -v[1:2], v[41:42], v[90:91]
	v_fma_f64 v[69:70], -v[31:32], v[69:70], v[102:103]
	ds_read_b128 v[88:91], v59 offset:4976
	v_fma_f64 v[98:99], -v[35:36], v[43:44], v[98:99]
	ds_read_b128 v[43:46], v59 offset:4960
	v_fma_f64 v[110:111], -v[23:24], v[108:109], v[100:101]
	ds_read_b128 v[82:85], v59 offset:5216
	ds_read_b128 v[102:105], v59 offset:5712
	v_fma_f64 v[80:81], -v[7:8], v[80:81], v[96:97]
	s_waitcnt lgkmcnt(3)
	v_fma_f64 v[41:42], -v[33:34], v[90:91], v[41:42]
	v_fma_f64 v[39:40], -v[1:2], v[39:40], v[69:70]
	ds_read2_b64 v[90:93], v55 offset0:64 offset1:96
	v_fma_f64 v[106:107], -v[37:38], v[86:87], v[98:99]
	ds_read_b128 v[94:97], v59 offset:8016
	ds_read_b128 v[98:101], v59 offset:8000
	;; [unrolled: 1-line block ×3, first 2 shown]
	v_fma_f64 v[63:64], -v[27:28], v[63:64], v[80:81]
	v_fma_f64 v[41:42], -v[35:36], v[67:68], v[41:42]
	;; [unrolled: 1-line block ×3, first 2 shown]
	ds_read_b128 v[86:89], v59 offset:5728
	ds_read_b128 v[67:70], v59 offset:4464
	s_waitcnt lgkmcnt(4)
	v_fma_f64 v[92:93], -v[51:52], v[96:97], v[92:93]
	v_mul_f64 v[39:40], v[76:77], v[106:107]
	ds_read_b128 v[106:109], v59 offset:4448
	s_waitcnt lgkmcnt(2)
	v_fma_f64 v[63:64], -v[29:30], v[88:89], v[63:64]
	s_waitcnt lgkmcnt(1)
	v_fma_f64 v[41:42], -v[37:38], v[69:70], v[41:42]
	v_fma_f64 v[69:70], -v[7:8], v[78:79], v[110:111]
	;; [unrolled: 1-line block ×5, first 2 shown]
	ds_read_b128 v[63:66], v59 offset:4192
	ds_read_b128 v[75:78], v59 offset:7504
	v_fma_f64 v[61:62], -v[27:28], v[61:62], v[69:70]
	v_fma_f64 v[41:42], -v[39:40], v[122:123], v[41:42]
	ds_read_b128 v[122:125], v59 offset:3952
	ds_read_b128 v[126:129], v59 offset:7488
	s_waitcnt lgkmcnt(2)
	v_fma_f64 v[88:89], -v[25:26], v[77:78], v[88:89]
	v_fma_f64 v[96:97], -v[37:38], v[67:68], v[79:80]
	;; [unrolled: 1-line block ×3, first 2 shown]
	ds_read_b128 v[67:70], v59 offset:7248
	ds_read_b128 v[77:80], v59 offset:3936
	v_fma_f64 v[61:62], -v[29:30], v[86:87], v[61:62]
	v_fma_f64 v[114:115], -v[51:52], v[94:95], v[90:91]
	ds_read_b128 v[130:133], v59 offset:6992
	s_waitcnt lgkmcnt(4)
	v_mul_f64 v[41:42], v[124:125], v[41:42]
	s_waitcnt lgkmcnt(2)
	v_fma_f64 v[69:70], -v[17:18], v[69:70], v[88:89]
	ds_read_b128 v[88:91], v59 offset:4704
	v_fma_f64 v[45:46], -v[33:34], v[45:46], v[92:93]
	ds_read_b128 v[92:95], v59 offset:6976
	;; [unrolled: 2-line block ×4, first 2 shown]
	s_waitcnt lgkmcnt(4)
	v_fma_f64 v[69:70], -v[19:20], v[132:133], v[69:70]
	ds_read_b128 v[84:87], v59 offset:7232
	s_waitcnt lgkmcnt(4)
	v_fma_f64 v[45:46], -v[35:36], v[90:91], v[45:46]
	v_fma_f64 v[90:91], -v[53:54], v[116:117], v[114:115]
	;; [unrolled: 1-line block ×3, first 2 shown]
	ds_read2_b64 v[114:117], v56 offset0:140 offset1:206
	v_fma_f64 v[81:82], -v[41:42], v[122:123], v[96:97]
	v_fma_f64 v[69:70], -v[21:22], v[73:74], v[69:70]
	;; [unrolled: 1-line block ×4, first 2 shown]
	ds_read_b128 v[73:76], v59 offset:6480
	v_fma_f64 v[61:62], -v[33:34], v[43:44], v[61:62]
	s_waitcnt lgkmcnt(1)
	v_mul_f64 v[43:44], v[116:117], v[81:82]
	s_waitcnt lgkmcnt(0)
	v_fma_f64 v[69:70], -v[23:24], v[75:76], v[69:70]
	v_fma_f64 v[45:46], -v[39:40], v[65:66], v[45:46]
	;; [unrolled: 1-line block ×3, first 2 shown]
	ds_read_b128 v[65:68], v59 offset:6224
	ds_read2_b64 v[122:125], v55 offset1:32
	v_fma_f64 v[61:62], -v[35:36], v[88:89], v[61:62]
	ds_read_b128 v[88:91], v59 offset:6208
	s_waitcnt lgkmcnt(2)
	v_fma_f64 v[96:97], -v[7:8], v[67:68], v[69:70]
	v_fma_f64 v[45:46], -v[41:42], v[79:80], v[45:46]
	;; [unrolled: 1-line block ×3, first 2 shown]
	ds_read_b128 v[67:70], v59 offset:5968
	ds_read2_b64 v[79:82], v57 offset0:192 offset1:224
	ds_read_b128 v[130:133], v59 offset:3680
	v_fma_f64 v[61:62], -v[37:38], v[106:107], v[61:62]
	s_waitcnt lgkmcnt(4)
	v_fma_f64 v[100:101], -v[51:52], v[100:101], v[124:125]
	ds_read_b128 v[106:109], v59 offset:5952
	ds_read_b128 v[138:141], v59 offset:5456
	s_waitcnt lgkmcnt(4)
	v_fma_f64 v[96:97], -v[27:28], v[69:70], v[96:97]
	s_waitcnt lgkmcnt(2)
	v_fma_f64 v[45:46], -v[43:44], v[132:133], v[45:46]
	v_fma_f64 v[75:76], -v[21:22], v[71:72], v[75:76]
	ds_read_b128 v[69:72], v59 offset:3424
	ds_read_b128 v[142:145], v59 offset:3584
	v_fma_f64 v[116:117], -v[39:40], v[63:64], v[61:62]
	ds_read_b128 v[61:64], v59 offset:7744
	ds_read_b128 v[134:137], v59 offset:3664
	v_fma_f64 v[104:105], -v[29:30], v[104:105], v[96:97]
	s_waitcnt lgkmcnt(3)
	v_mul_f64 v[45:46], v[71:72], v[45:46]
	v_fma_f64 v[124:125], -v[23:24], v[73:74], v[75:76]
	ds_read_b128 v[73:76], v59 offset:7728
	s_waitcnt lgkmcnt(2)
	v_fma_f64 v[63:64], -v[53:54], v[63:64], v[100:101]
	v_fma_f64 v[71:72], -v[41:42], v[77:78], v[116:117]
	;; [unrolled: 1-line block ×3, first 2 shown]
	ds_read_b128 v[96:99], v59 offset:5440
	v_fma_f64 v[100:101], -v[31:32], v[140:141], v[104:105]
	v_fma_f64 v[104:105], -v[7:8], v[65:66], v[124:125]
	;; [unrolled: 1-line block ×3, first 2 shown]
	ds_read_b128 v[63:66], v59 offset:7984
	ds_read_b128 v[122:125], v59 offset:5200
	;; [unrolled: 1-line block ×3, first 2 shown]
	v_fma_f64 v[61:62], -v[53:54], v[61:62], v[77:78]
	ds_read_b128 v[154:157], v59 offset:4944
	s_waitcnt lgkmcnt(3)
	v_fma_f64 v[77:78], -v[51:52], v[65:66], v[81:82]
	s_waitcnt lgkmcnt(2)
	v_fma_f64 v[81:82], -v[1:2], v[124:125], v[100:101]
	v_fma_f64 v[100:101], -v[27:28], v[67:68], v[104:105]
	ds_read_b128 v[65:68], v59 offset:4928
	v_fma_f64 v[86:87], -v[17:18], v[86:87], v[116:117]
	ds_read_b128 v[150:153], v59 offset:7968
	;; [unrolled: 2-line block ×4, first 2 shown]
	s_waitcnt lgkmcnt(4)
	v_fma_f64 v[116:117], -v[33:34], v[156:157], v[81:82]
	v_fma_f64 v[71:72], -v[43:44], v[130:131], v[71:72]
	;; [unrolled: 1-line block ×4, first 2 shown]
	ds_read_b128 v[100:103], v59 offset:6720
	v_fma_f64 v[61:62], -v[17:18], v[84:85], v[61:62]
	ds_read_b128 v[81:84], v59 offset:7456
	s_waitcnt lgkmcnt(2)
	v_fma_f64 v[77:78], -v[25:26], v[77:78], v[104:105]
	v_fma_f64 v[112:113], -v[35:36], v[112:113], v[116:117]
	s_waitcnt lgkmcnt(1)
	v_fma_f64 v[85:86], -v[21:22], v[102:103], v[86:87]
	ds_read_b128 v[102:105], v59 offset:7216
	ds_read_b128 v[128:131], v59 offset:4432
	v_fma_f64 v[116:117], -v[31:32], v[138:139], v[94:95]
	v_fma_f64 v[61:62], -v[19:20], v[92:93], v[61:62]
	ds_read_b128 v[92:95], v59 offset:7200
	s_waitcnt lgkmcnt(2)
	v_fma_f64 v[77:78], -v[17:18], v[104:105], v[77:78]
	ds_read_b128 v[138:141], v59 offset:4416
	ds_read_b128 v[156:159], v59 offset:6960
	s_waitcnt lgkmcnt(3)
	v_fma_f64 v[104:105], -v[37:38], v[130:131], v[112:113]
	v_fma_f64 v[85:86], -v[23:24], v[120:121], v[85:86]
	ds_read_b128 v[130:133], v59 offset:4176
	ds_read_b128 v[160:163], v59 offset:6944
	v_fma_f64 v[61:62], -v[21:22], v[100:101], v[61:62]
	v_fma_f64 v[100:101], -v[1:2], v[122:123], v[116:117]
	s_waitcnt lgkmcnt(2)
	v_fma_f64 v[77:78], -v[19:20], v[158:159], v[77:78]
	v_fma_f64 v[116:117], -v[51:52], v[63:64], v[79:80]
	s_waitcnt lgkmcnt(1)
	v_fma_f64 v[132:133], -v[39:40], v[132:133], v[104:105]
	v_fma_f64 v[85:86], -v[7:8], v[90:91], v[85:86]
	;; [unrolled: 1-line block ×3, first 2 shown]
	ds_read_b128 v[69:72], v59 offset:4160
	v_fma_f64 v[112:113], -v[23:24], v[118:119], v[61:62]
	v_fma_f64 v[100:101], -v[33:34], v[154:155], v[100:101]
	;; [unrolled: 1-line block ×3, first 2 shown]
	ds_read_b128 v[61:64], v59 offset:6448
	ds_read_b128 v[77:80], v59 offset:5696
	v_fma_f64 v[73:74], -v[53:54], v[73:74], v[116:117]
	v_fma_f64 v[108:109], -v[27:28], v[108:109], v[85:86]
	ds_read_b128 v[116:119], v59 offset:5680
	v_mul_f64 v[158:159], v[114:115], v[90:91]
	v_fma_f64 v[112:113], -v[7:8], v[88:89], v[112:113]
	ds_read_b128 v[85:88], v59 offset:6432
	s_waitcnt lgkmcnt(3)
	v_fma_f64 v[63:64], -v[23:24], v[63:64], v[104:105]
	ds_read_b128 v[120:123], v59 offset:3920
	ds_read_b128 v[164:167], v59 offset:6192
	s_waitcnt lgkmcnt(4)
	v_fma_f64 v[79:80], -v[29:30], v[79:80], v[108:109]
	v_fma_f64 v[108:109], -v[35:36], v[110:111], v[100:101]
	s_waitcnt lgkmcnt(1)
	v_fma_f64 v[122:123], -v[41:42], v[122:123], v[132:133]
	v_fma_f64 v[110:111], -v[27:28], v[106:107], v[112:113]
	;; [unrolled: 1-line block ×3, first 2 shown]
	s_waitcnt lgkmcnt(0)
	v_fma_f64 v[63:64], -v[7:8], v[166:167], v[63:64]
	ds_read_b128 v[73:76], v59 offset:6176
	v_fma_f64 v[126:127], -v[31:32], v[98:99], v[79:80]
	ds_read_b128 v[98:101], v59 offset:3904
	ds_read_b128 v[104:107], v59 offset:5936
	v_fma_f64 v[89:90], -v[43:44], v[136:137], v[122:123]
	v_fma_f64 v[110:111], -v[29:30], v[77:78], v[110:111]
	;; [unrolled: 1-line block ×4, first 2 shown]
	s_waitcnt lgkmcnt(0)
	v_fma_f64 v[63:64], -v[27:28], v[106:107], v[63:64]
	ds_read_b128 v[77:80], v59 offset:5920
	ds_read_b128 v[106:109], v59 offset:3408
	v_fma_f64 v[126:127], -v[1:2], v[148:149], v[126:127]
	v_fma_f64 v[96:97], -v[31:32], v[96:97], v[110:111]
	;; [unrolled: 1-line block ×3, first 2 shown]
	s_waitcnt lgkmcnt(0)
	v_fma_f64 v[89:90], -v[45:46], v[108:109], v[89:90]
	v_fma_f64 v[63:64], -v[29:30], v[118:119], v[63:64]
	;; [unrolled: 1-line block ×4, first 2 shown]
	ds_read_b128 v[110:113], v59 offset:5424
	ds_read_b128 v[126:129], v59 offset:4672
	v_fma_f64 v[96:97], -v[1:2], v[146:147], v[96:97]
	v_fma_f64 v[102:103], -v[21:22], v[124:125], v[102:103]
	ds_read_b128 v[122:125], v59 offset:5408
	s_waitcnt lgkmcnt(2)
	v_fma_f64 v[132:133], -v[31:32], v[112:113], v[63:64]
	ds_read_b128 v[112:115], v59 offset:4656
	s_waitcnt lgkmcnt(2)
	v_fma_f64 v[67:68], -v[35:36], v[128:129], v[67:68]
	ds_read_b128 v[128:131], v59 offset:3392
	ds_read_b128 v[146:149], v59 offset:5168
	v_fma_f64 v[96:97], -v[33:34], v[65:66], v[96:97]
	v_fma_f64 v[102:103], -v[23:24], v[61:62], v[102:103]
	ds_read_b128 v[61:64], v59 offset:5152
	s_waitcnt lgkmcnt(1)
	v_fma_f64 v[108:109], -v[1:2], v[148:149], v[132:133]
	v_fma_f64 v[132:133], -v[41:42], v[120:121], v[118:119]
	;; [unrolled: 1-line block ×3, first 2 shown]
	ds_read_b128 v[65:68], v59 offset:4912
	ds_read_b128 v[118:121], v59 offset:3152
	v_fma_f64 v[96:97], -v[35:36], v[126:127], v[96:97]
	v_fma_f64 v[102:103], -v[7:8], v[164:165], v[102:103]
	ds_read_b128 v[154:157], v59 offset:4896
	s_waitcnt lgkmcnt(2)
	v_fma_f64 v[67:68], -v[33:34], v[67:68], v[108:109]
	v_fma_f64 v[108:109], -v[43:44], v[134:135], v[132:133]
	;; [unrolled: 1-line block ×3, first 2 shown]
	s_waitcnt lgkmcnt(1)
	v_fma_f64 v[89:90], -v[158:159], v[120:121], v[89:90]
	v_fma_f64 v[96:97], -v[37:38], v[138:139], v[96:97]
	;; [unrolled: 1-line block ×3, first 2 shown]
	ds_read_b128 v[132:135], v59 offset:3136
	ds_read_b128 v[102:105], v59 offset:2896
	v_fma_f64 v[114:115], -v[35:36], v[114:115], v[67:68]
	v_fma_f64 v[126:127], -v[45:46], v[106:107], v[108:109]
	;; [unrolled: 1-line block ×3, first 2 shown]
	ds_read_b128 v[106:109], v59 offset:4400
	ds_read_b128 v[136:139], v59 offset:3648
	v_fma_f64 v[96:97], -v[39:40], v[69:70], v[96:97]
	v_fma_f64 v[100:101], -v[29:30], v[116:117], v[120:121]
	ds_read_b128 v[67:70], v59 offset:4384
	s_waitcnt lgkmcnt(3)
	v_mul_f64 v[194:195], v[104:105], v[89:90]
	s_waitcnt lgkmcnt(2)
	v_fma_f64 v[108:109], -v[37:38], v[108:109], v[114:115]
	ds_read_b128 v[114:117], v59 offset:3632
	s_waitcnt lgkmcnt(2)
	v_fma_f64 v[71:72], -v[43:44], v[138:139], v[71:72]
	ds_read_b128 v[138:141], v59 offset:2880
	ds_read_b128 v[164:167], v59 offset:4144
	v_fma_f64 v[89:90], -v[41:42], v[98:99], v[96:97]
	v_fma_f64 v[100:101], -v[31:32], v[110:111], v[100:101]
	;; [unrolled: 1-line block ×3, first 2 shown]
	ds_read_b128 v[118:121], v59 offset:3872
	s_waitcnt lgkmcnt(1)
	v_fma_f64 v[104:105], -v[39:40], v[166:167], v[108:109]
	ds_read_b128 v[108:111], v59 offset:3888
	v_fma_f64 v[71:72], -v[45:46], v[130:131], v[71:72]
	ds_read_b128 v[96:99], v59 offset:4128
	v_fma_f64 v[89:90], -v[43:44], v[136:137], v[89:90]
	v_fma_f64 v[130:131], -v[1:2], v[146:147], v[100:101]
	s_waitcnt lgkmcnt(1)
	v_fma_f64 v[104:105], -v[41:42], v[110:111], v[104:105]
	v_fma_f64 v[110:111], -v[194:195], v[102:103], v[126:127]
	ds_read2_b64 v[100:103], v56 offset0:8 offset1:74
	v_fma_f64 v[71:72], -v[158:159], v[134:135], v[71:72]
	v_fma_f64 v[89:90], -v[45:46], v[128:129], v[89:90]
	v_fma_f64 v[65:66], -v[33:34], v[65:66], v[130:131]
	ds_read2_b64 v[126:129], v57 offset0:128 offset1:160
	v_fma_f64 v[116:117], -v[43:44], v[116:117], v[104:105]
	s_waitcnt lgkmcnt(1)
	v_mul_f64 v[196:197], v[102:103], v[110:111]
	ds_read_b128 v[102:105], v59 offset:3376
	ds_read_b128 v[134:137], v59 offset:2624
	v_fma_f64 v[71:72], -v[194:195], v[140:141], v[71:72]
	v_fma_f64 v[89:90], -v[158:159], v[132:133], v[89:90]
	;; [unrolled: 1-line block ×3, first 2 shown]
	ds_read_b128 v[110:113], v59 offset:3360
	ds_read_b128 v[130:133], v59 offset:2608
	s_waitcnt lgkmcnt(3)
	v_fma_f64 v[116:117], -v[45:46], v[104:105], v[116:117]
	ds_read_b128 v[146:149], v59 offset:2368
	ds_read_b128 v[166:169], v59 offset:3120
	v_fma_f64 v[128:129], -v[51:52], v[152:153], v[128:129]
	s_waitcnt lgkmcnt(4)
	v_fma_f64 v[71:72], -v[196:197], v[136:137], v[71:72]
	v_fma_f64 v[89:90], -v[194:195], v[138:139], v[89:90]
	;; [unrolled: 1-line block ×3, first 2 shown]
	ds_read_b128 v[104:107], v59 offset:3104
	s_waitcnt lgkmcnt(1)
	v_fma_f64 v[116:117], -v[158:159], v[168:169], v[116:117]
	ds_read_b128 v[136:139], v59 offset:7712
	ds_read_b128 v[168:171], v59 offset:2560
	;; [unrolled: 1-line block ×3, first 2 shown]
	v_mul_f64 v[198:199], v[148:149], v[71:72]
	v_fma_f64 v[89:90], -v[196:197], v[134:135], v[89:90]
	v_fma_f64 v[65:66], -v[39:40], v[164:165], v[65:66]
	s_waitcnt lgkmcnt(2)
	v_fma_f64 v[71:72], -v[53:54], v[138:139], v[128:129]
	ds_read_b128 v[138:141], v59 offset:2848
	s_waitcnt lgkmcnt(1)
	v_fma_f64 v[116:117], -v[194:195], v[174:175], v[116:117]
	ds_read_b128 v[176:179], v59 offset:7696
	v_fma_f64 v[65:66], -v[41:42], v[108:109], v[65:66]
	v_fma_f64 v[71:72], -v[25:26], v[83:84], v[71:72]
	;; [unrolled: 1-line block ×5, first 2 shown]
	ds_read2_b64 v[146:149], v57 offset0:64 offset1:96
	ds_read2_b64 v[132:135], v57 offset1:32
	ds_read_b128 v[180:183], v59 offset:2352
	v_fma_f64 v[65:66], -v[43:44], v[114:115], v[65:66]
	v_fma_f64 v[71:72], -v[17:18], v[94:95], v[71:72]
	v_mul_f64 v[94:95], v[100:101], v[83:84]
	s_waitcnt lgkmcnt(0)
	v_fma_f64 v[83:84], -v[198:199], v[182:183], v[89:90]
	v_fma_f64 v[89:90], -v[53:54], v[136:137], v[108:109]
	ds_read_b128 v[114:117], v59 offset:2336
	ds_read_b128 v[126:129], v59 offset:2096
	;; [unrolled: 1-line block ×3, first 2 shown]
	v_fma_f64 v[65:66], -v[45:46], v[102:103], v[65:66]
	v_fma_f64 v[71:72], -v[19:20], v[162:163], v[71:72]
	ds_read_b128 v[100:103], v59 offset:7936
	s_waitcnt lgkmcnt(1)
	v_fma_f64 v[108:109], -v[51:52], v[152:153], v[148:149]
	v_fma_f64 v[89:90], -v[25:26], v[81:82], v[89:90]
	ds_read_b128 v[162:165], v59 offset:6688
	ds_read_b128 v[182:185], v59 offset:2080
	v_fma_f64 v[150:151], -v[51:52], v[150:151], v[146:147]
	v_fma_f64 v[128:129], -v[94:95], v[128:129], v[83:84]
	;; [unrolled: 1-line block ×3, first 2 shown]
	s_waitcnt lgkmcnt(1)
	v_fma_f64 v[71:72], -v[21:22], v[164:165], v[71:72]
	ds_read_b128 v[81:84], v59 offset:6672
	v_fma_f64 v[108:109], -v[53:54], v[178:179], v[108:109]
	v_fma_f64 v[136:137], -v[17:18], v[92:93], v[89:90]
	ds_read_b128 v[164:167], v59 offset:1840
	ds_read_b128 v[186:189], v59 offset:1824
	;; [unrolled: 1-line block ×3, first 2 shown]
	v_fma_f64 v[150:151], -v[53:54], v[176:177], v[150:151]
	ds_read_b128 v[89:92], v59 offset:7424
	ds_read_b128 v[146:149], v59 offset:7184
	v_fma_f64 v[65:66], -v[194:195], v[172:173], v[65:66]
	v_fma_f64 v[71:72], -v[23:24], v[87:88], v[71:72]
	s_waitcnt lgkmcnt(2)
	v_fma_f64 v[108:109], -v[25:26], v[192:193], v[108:109]
	v_fma_f64 v[87:88], -v[19:20], v[160:161], v[136:137]
	;; [unrolled: 1-line block ×3, first 2 shown]
	v_mul_f64 v[152:153], v[166:167], v[128:129]
	ds_read_b128 v[134:137], v59 offset:7168
	v_fma_f64 v[65:66], -v[196:197], v[130:131], v[65:66]
	v_fma_f64 v[71:72], -v[7:8], v[75:76], v[71:72]
	s_waitcnt lgkmcnt(1)
	v_fma_f64 v[108:109], -v[17:18], v[148:149], v[108:109]
	v_fma_f64 v[75:76], -v[21:22], v[162:163], v[87:88]
	;; [unrolled: 1-line block ×3, first 2 shown]
	ds_read_b128 v[128:131], v59 offset:6928
	v_fma_f64 v[49:50], -v[53:54], v[49:50], v[102:103]
	ds_read_b128 v[148:151], v59 offset:6912
	s_waitcnt lgkmcnt(1)
	v_fma_f64 v[108:109], -v[19:20], v[130:131], v[108:109]
	v_fma_f64 v[130:131], -v[198:199], v[180:181], v[65:66]
	;; [unrolled: 1-line block ×6, first 2 shown]
	ds_read_b128 v[100:103], v59 offset:5664
	v_fma_f64 v[87:88], -v[25:26], v[91:92], v[49:50]
	v_fma_f64 v[91:92], -v[21:22], v[83:84], v[108:109]
	ds_read_b128 v[83:86], v59 offset:5648
	s_waitcnt lgkmcnt(1)
	v_fma_f64 v[65:66], -v[29:30], v[102:103], v[65:66]
	v_fma_f64 v[102:103], -v[53:54], v[47:48], v[71:72]
	;; [unrolled: 1-line block ×4, first 2 shown]
	ds_read_b128 v[47:50], v59 offset:6416
	ds_read_b128 v[71:74], v59 offset:6400
	v_fma_f64 v[108:109], -v[17:18], v[136:137], v[87:88]
	v_fma_f64 v[65:66], -v[31:32], v[124:125], v[65:66]
	s_waitcnt lgkmcnt(1)
	v_fma_f64 v[49:50], -v[23:24], v[49:50], v[91:92]
	v_fma_f64 v[91:92], -v[25:26], v[89:90], v[102:103]
	;; [unrolled: 1-line block ×4, first 2 shown]
	ds_read_b128 v[87:90], v59 offset:6160
	ds_read_b128 v[75:78], v59 offset:6144
	v_fma_f64 v[81:82], -v[19:20], v[150:151], v[108:109]
	v_fma_f64 v[108:109], -v[1:2], v[63:64], v[65:66]
	ds_read_b128 v[63:66], v59 offset:5904
	s_waitcnt lgkmcnt(2)
	v_fma_f64 v[89:90], -v[7:8], v[89:90], v[49:50]
	v_fma_f64 v[91:92], -v[17:18], v[134:135], v[91:92]
	;; [unrolled: 1-line block ×4, first 2 shown]
	ds_read_b128 v[47:50], v59 offset:5888
	v_fma_f64 v[11:12], -v[21:22], v[11:12], v[81:82]
	v_fma_f64 v[108:109], -v[33:34], v[156:157], v[108:109]
	ds_read_b128 v[79:82], v59 offset:4640
	s_waitcnt lgkmcnt(2)
	v_fma_f64 v[65:66], -v[27:28], v[65:66], v[89:90]
	v_fma_f64 v[91:92], -v[19:20], v[148:149], v[91:92]
	;; [unrolled: 1-line block ×7, first 2 shown]
	ds_read_b128 v[9:12], v59 offset:5392
	v_fma_f64 v[65:66], -v[29:30], v[85:86], v[65:66]
	v_fma_f64 v[100:101], -v[1:2], v[61:62], v[100:101]
	;; [unrolled: 1-line block ×3, first 2 shown]
	ds_read_b128 v[61:64], v59 offset:5376
	s_waitcnt lgkmcnt(2)
	v_fma_f64 v[81:82], -v[35:36], v[81:82], v[108:109]
	v_fma_f64 v[73:74], -v[7:8], v[77:78], v[73:74]
	ds_read_b128 v[85:88], v59 offset:4624
	v_fma_f64 v[89:90], -v[152:153], v[164:165], v[89:90]
	s_waitcnt lgkmcnt(2)
	v_fma_f64 v[11:12], -v[31:32], v[11:12], v[65:66]
	v_fma_f64 v[65:66], -v[23:24], v[71:72], v[91:92]
	;; [unrolled: 1-line block ×5, first 2 shown]
	ds_read_b128 v[69:72], v59 offset:5136
	ds_read_b128 v[81:84], v59 offset:5120
	v_fma_f64 v[49:50], -v[27:28], v[49:50], v[73:74]
	v_fma_f64 v[65:66], -v[7:8], v[75:76], v[65:66]
	s_waitcnt lgkmcnt(1)
	v_fma_f64 v[102:103], -v[1:2], v[71:72], v[11:12]
	ds_read_b128 v[71:74], v59 offset:4880
	v_fma_f64 v[75:76], -v[39:40], v[98:99], v[77:78]
	v_fma_f64 v[77:78], -v[35:36], v[79:80], v[91:92]
	;; [unrolled: 1-line block ×4, first 2 shown]
	ds_read_b128 v[9:12], v59 offset:4864
	v_fma_f64 v[65:66], -v[27:28], v[47:48], v[65:66]
	s_waitcnt lgkmcnt(1)
	v_fma_f64 v[73:74], -v[33:34], v[73:74], v[102:103]
	ds_read_b128 v[47:50], v59 offset:3616
	v_fma_f64 v[75:76], -v[41:42], v[120:121], v[75:76]
	v_fma_f64 v[67:68], -v[37:38], v[67:68], v[77:78]
	;; [unrolled: 1-line block ×5, first 2 shown]
	ds_read_b128 v[63:66], v59 offset:4368
	v_fma_f64 v[73:74], -v[35:36], v[87:88], v[73:74]
	ds_read_b128 v[3:6], v59 offset:3600
	v_fma_f64 v[87:88], -v[33:34], v[71:72], v[69:70]
	v_fma_f64 v[77:78], -v[1:2], v[83:84], v[77:78]
	;; [unrolled: 1-line block ×3, first 2 shown]
	s_waitcnt lgkmcnt(1)
	v_fma_f64 v[65:66], -v[37:38], v[65:66], v[73:74]
	ds_read_b128 v[71:74], v59 offset:4112
	v_fma_f64 v[83:84], -v[35:36], v[85:86], v[87:88]
	v_fma_f64 v[11:12], -v[33:34], v[11:12], v[77:78]
	;; [unrolled: 1-line block ×3, first 2 shown]
	s_waitcnt lgkmcnt(0)
	v_fma_f64 v[65:66], -v[39:40], v[73:74], v[65:66]
	v_fma_f64 v[83:84], -v[37:38], v[63:64], v[83:84]
	ds_read_b128 v[61:64], v59 offset:3840
	v_fma_f64 v[49:50], -v[43:44], v[49:50], v[75:76]
	v_fma_f64 v[75:76], -v[39:40], v[96:97], v[67:68]
	ds_read_b128 v[67:70], v59 offset:4352
	v_fma_f64 v[15:16], -v[35:36], v[15:16], v[11:12]
	v_fma_f64 v[87:88], -v[33:34], v[9:10], v[81:82]
	ds_read2_b64 v[9:12], v59 offset0:132 offset1:198
	v_fma_f64 v[49:50], -v[45:46], v[112:113], v[49:50]
	v_fma_f64 v[79:80], -v[41:42], v[118:119], v[75:76]
	ds_read_b128 v[75:78], v59 offset:4096
	v_fma_f64 v[87:88], -v[35:36], v[13:14], v[87:88]
	v_fma_f64 v[73:74], -v[158:159], v[106:107], v[49:50]
	;; [unrolled: 1-line block ×3, first 2 shown]
	ds_read_b128 v[47:50], v59 offset:3856
	ds_read_b128 v[79:82], v59 offset:2592
	s_waitcnt lgkmcnt(1)
	v_fma_f64 v[49:50], -v[41:42], v[49:50], v[65:66]
	v_fma_f64 v[65:66], -v[194:195], v[140:141], v[73:74]
	;; [unrolled: 1-line block ×5, first 2 shown]
	ds_read_b128 v[69:72], v59 offset:3344
	ds_read_b128 v[13:16], v59 offset:2576
	v_fma_f64 v[5:6], -v[43:44], v[5:6], v[49:50]
	v_fma_f64 v[73:74], -v[41:42], v[47:48], v[73:74]
	;; [unrolled: 1-line block ×4, first 2 shown]
	ds_read_b128 v[47:50], v59 offset:3328
	s_waitcnt lgkmcnt(2)
	v_fma_f64 v[71:72], -v[45:46], v[71:72], v[5:6]
	v_fma_f64 v[87:88], -v[43:44], v[3:4], v[73:74]
	;; [unrolled: 1-line block ×4, first 2 shown]
	ds_read_b128 v[3:6], v59 offset:3072
	v_fma_f64 v[69:70], -v[45:46], v[69:70], v[87:88]
	v_fma_f64 v[83:84], -v[43:44], v[144:145], v[63:64]
	;; [unrolled: 1-line block ×3, first 2 shown]
	ds_read_b128 v[61:64], v59 offset:2816
	v_fma_f64 v[65:66], -v[196:197], v[81:82], v[65:66]
	v_fma_f64 v[81:82], -v[158:159], v[104:105], v[85:86]
	;; [unrolled: 1-line block ×3, first 2 shown]
	ds_read_b128 v[65:68], v59 offset:3088
	v_fma_f64 v[77:78], -v[194:195], v[138:139], v[81:82]
	s_waitcnt lgkmcnt(3)
	v_fma_f64 v[49:50], -v[45:46], v[49:50], v[83:84]
	s_waitcnt lgkmcnt(0)
	v_fma_f64 v[67:68], -v[158:159], v[67:68], v[71:72]
	ds_read_b128 v[71:74], v59 offset:2832
	v_fma_f64 v[81:82], -v[94:95], v[184:185], v[85:86]
	v_mul_f64 v[85:86], v[11:12], v[89:90]
	v_fma_f64 v[77:78], -v[196:197], v[79:80], v[77:78]
	v_fma_f64 v[69:70], -v[158:159], v[65:66], v[69:70]
	;; [unrolled: 1-line block ×3, first 2 shown]
	s_waitcnt lgkmcnt(0)
	v_fma_f64 v[73:74], -v[194:195], v[73:74], v[67:68]
	ds_read_b128 v[65:68], v59 offset:1568
	v_fma_f64 v[11:12], -v[152:153], v[188:189], v[81:82]
	v_fma_f64 v[81:82], -v[43:44], v[142:143], v[75:76]
	;; [unrolled: 1-line block ×6, first 2 shown]
	ds_read_b128 v[73:76], v59 offset:2320
	ds_read_b128 v[77:80], v59 offset:1552
	s_waitcnt lgkmcnt(2)
	v_fma_f64 v[87:88], -v[85:86], v[67:68], v[11:12]
	v_fma_f64 v[81:82], -v[45:46], v[47:48], v[81:82]
	;; [unrolled: 1-line block ×3, first 2 shown]
	ds_read_b128 v[67:70], v59 offset:2064
	v_fma_f64 v[63:64], -v[196:197], v[170:171], v[63:64]
	ds_read_b128 v[47:50], v59 offset:2304
	s_waitcnt lgkmcnt(3)
	v_fma_f64 v[15:16], -v[198:199], v[75:76], v[15:16]
	v_fma_f64 v[75:76], -v[196:197], v[13:14], v[71:72]
	ds_read_b128 v[11:14], v59 offset:1312
	v_fma_f64 v[81:82], -v[158:159], v[3:4], v[81:82]
	v_fma_f64 v[83:84], -v[152:153], v[186:187], v[83:84]
	ds_read_b128 v[3:6], v59 offset:2048
	s_waitcnt lgkmcnt(2)
	v_fma_f64 v[49:50], -v[198:199], v[49:50], v[63:64]
	v_fma_f64 v[89:90], -v[94:95], v[69:70], v[15:16]
	;; [unrolled: 1-line block ×3, first 2 shown]
	ds_read_b128 v[69:72], v59 offset:1808
	v_fma_f64 v[61:62], -v[194:195], v[61:62], v[81:82]
	ds_read_b128 v[73:76], v59 offset:1536
	s_waitcnt lgkmcnt(3)
	v_mul_f64 v[81:82], v[13:14], v[87:88]
	v_fma_f64 v[65:66], -v[85:86], v[65:66], v[83:84]
	ds_read_b128 v[13:16], v59 offset:1792
	s_waitcnt lgkmcnt(2)
	v_fma_f64 v[71:72], -v[152:153], v[71:72], v[89:90]
	v_fma_f64 v[67:68], -v[94:95], v[67:68], v[91:92]
	;; [unrolled: 1-line block ×4, first 2 shown]
	ds_read_b128 v[61:64], v59 offset:1296
	v_fma_f64 v[11:12], -v[81:82], v[11:12], v[65:66]
	v_fma_f64 v[65:66], -v[85:86], v[79:80], v[71:72]
	;; [unrolled: 1-line block ×3, first 2 shown]
	s_waitcnt lgkmcnt(1)
	v_fma_f64 v[15:16], -v[152:153], v[15:16], v[5:6]
	v_fma_f64 v[47:48], -v[198:199], v[47:48], v[83:84]
	v_mul_f64 v[69:70], v[9:10], v[11:12]
	ds_read_b128 v[9:12], v59 offset:1280
	s_waitcnt lgkmcnt(1)
	v_fma_f64 v[63:64], -v[81:82], v[63:64], v[65:66]
	v_fma_f64 v[65:66], -v[85:86], v[77:78], v[67:68]
	;; [unrolled: 1-line block ×4, first 2 shown]
	ds_read_b128 v[3:6], v59 offset:1040
	ds_read_b128 v[47:50], v59 offset:1024
	s_waitcnt lgkmcnt(1)
	v_fma_f64 v[5:6], -v[69:70], v[5:6], v[63:64]
	v_fma_f64 v[65:66], -v[81:82], v[61:62], v[65:66]
	;; [unrolled: 1-line block ×3, first 2 shown]
	ds_read_b128 v[13:16], v59 offset:784
	ds_read_b128 v[61:64], v59 offset:768
	s_waitcnt lgkmcnt(1)
	v_mul_f64 v[75:76], v[15:16], v[5:6]
	v_fma_f64 v[3:4], -v[69:70], v[3:4], v[65:66]
	v_fma_f64 v[5:6], -v[81:82], v[11:12], v[71:72]
	;; [unrolled: 1-line block ×6, first 2 shown]
	ds_read2_b64 v[3:6], v59 offset1:66
	s_waitcnt lgkmcnt(0)
	v_mul_f64 v[5:6], v[5:6], v[13:14]
	v_fma_f64 v[49:50], -v[75:76], v[63:64], v[15:16]
	v_fma_f64 v[47:48], -v[69:70], v[47:48], v[9:10]
	ds_read_b128 v[9:12], v59 offset:512
	ds_read_b128 v[13:16], v59 offset:256
	ds_write2_b64 v58, v[53:54], v[51:52] offset0:192 offset1:224
	ds_write2_b64 v58, v[17:18], v[25:26] offset0:128 offset1:160
	;; [unrolled: 1-line block ×3, first 2 shown]
	ds_write2_b64 v58, v[7:8], v[23:24] offset1:32
	ds_write2_b64 v60, v[29:30], v[27:28] offset0:192 offset1:224
	ds_write2_b64 v60, v[1:2], v[31:32] offset0:128 offset1:160
	;; [unrolled: 1-line block ×3, first 2 shown]
	ds_write2_b64 v60, v[39:40], v[37:38] offset1:32
	s_waitcnt lgkmcnt(9)
	v_fma_f64 v[11:12], -v[5:6], v[11:12], v[49:50]
	v_fma_f64 v[47:48], -v[75:76], v[61:62], v[47:48]
	s_waitcnt lgkmcnt(8)
	v_mul_f64 v[11:12], v[15:16], v[11:12]
	v_fma_f64 v[9:10], -v[5:6], v[9:10], v[47:48]
	v_fma_f64 v[9:10], -v[11:12], v[13:14], v[9:10]
	v_mul_f64 v[1:2], v[3:4], v[9:10]
	ds_write2_b64 v55, v[43:44], v[41:42] offset0:192 offset1:224
	ds_write2_b64 v55, v[158:159], v[45:46] offset0:128 offset1:160
	;; [unrolled: 1-line block ×3, first 2 shown]
	ds_write2_b64 v55, v[94:95], v[198:199] offset1:32
	ds_write2_b64 v57, v[85:86], v[152:153] offset0:192 offset1:224
	ds_write2_b64 v57, v[69:70], v[81:82] offset0:128 offset1:160
	;; [unrolled: 1-line block ×3, first 2 shown]
	ds_write2_b64 v57, v[1:2], v[11:12] offset1:32
.LBB102_27:
	s_cmp_gt_i32 s5, -1
	s_cbranch_scc0 .LBB102_50
; %bb.28:
	s_cmp_lt_u32 s5, 27
	s_cbranch_scc1 .LBB102_33
; %bb.29:
	s_lshl_b32 s8, s5, 8
	v_add_u32_e32 v58, s8, v57
	v_add_u32_e32 v1, 0xffffff00, v58
	v_add_u32_e32 v2, 0xfffffe00, v58
	v_add_u32_e32 v3, 0xfffffd00, v58
	ds_read_b64 v[5:6], v58
	ds_read_b64 v[55:56], v1
	ds_read_b64 v[9:10], v2
	ds_read_b64 v[11:12], v3
	v_add_u32_e32 v1, 0xfffffc00, v58
	v_add_u32_e32 v2, 0xfffffb00, v58
	v_add_u32_e32 v3, 0xfffffa00, v58
	v_add_u32_e32 v4, 0xfffff900, v58
	ds_read_b64 v[53:54], v1
	ds_read_b64 v[13:14], v2
	ds_read_b64 v[15:16], v3
	ds_read_b64 v[17:18], v4
	;; [unrolled: 8-line block ×7, first 2 shown]
	s_cmp_le_i32 s4, s5
	s_cbranch_scc1 .LBB102_32
; %bb.30:
	s_lshl_b32 s10, s22, 8
	s_lshl_b32 s11, s5, 3
	v_lshl_or_b32 v59, v0, 3, s10
	s_add_i32 s10, s10, s11
	v_add_u32_e32 v59, 0x1f00, v59
	s_addk_i32 s10, 0xfe28
	s_mov_b32 s11, s4
.LBB102_31:                             ; =>This Inner Loop Header: Depth=1
	v_mov_b32_e32 v112, s10
	ds_read_b64 v[116:117], v59
	ds_read2_b64 v[60:63], v112 offset0:26 offset1:27
	ds_read2_b64 v[64:67], v112 offset0:24 offset1:25
	;; [unrolled: 1-line block ×13, first 2 shown]
	ds_read2_b64 v[112:115], v112 offset1:1
	s_add_i32 s11, s11, -1
	s_addk_i32 s10, 0xff00
	s_cmp_gt_i32 s11, s5
	s_waitcnt lgkmcnt(13)
	v_fma_f64 v[5:6], -v[116:117], v[62:63], v[5:6]
	v_fma_f64 v[55:56], -v[116:117], v[60:61], v[55:56]
	s_waitcnt lgkmcnt(12)
	v_fma_f64 v[9:10], -v[116:117], v[66:67], v[9:10]
	v_fma_f64 v[11:12], -v[116:117], v[64:65], v[11:12]
	;; [unrolled: 3-line block ×14, first 2 shown]
	v_add_u32_e32 v59, 0xffffff00, v59
	s_cbranch_scc1 .LBB102_31
.LBB102_32:
	s_add_i32 s10, s5, -1
	s_lshl_b32 s11, s10, 3
	s_add_i32 s12, s11, s8
	v_mov_b32_e32 v59, s12
	ds_read2_b64 v[59:62], v59 offset1:1
	s_lshl_b32 s14, s10, 8
	s_add_i32 s10, s11, s14
	v_mov_b32_e32 v63, s10
	ds_read_b64 v[67:68], v63
	s_waitcnt lgkmcnt(1)
	v_mul_f64 v[5:6], v[61:62], v[5:6]
	s_add_i32 s10, s5, -3
	s_lshl_b32 s11, s10, 3
	s_add_i32 s15, s11, s8
	s_add_i32 s12, s5, -5
	s_lshl_b32 s13, s12, 3
	s_add_i32 s16, s8, 0xfffffe00
	s_lshl_b32 s10, s10, 8
	v_fma_f64 v[55:56], -v[5:6], v[59:60], v[55:56]
	v_mov_b32_e32 v59, s15
	ds_read2_b64 v[59:62], v59 offset1:1
	s_add_i32 s15, s11, s14
	v_mov_b32_e32 v63, s15
	ds_read2_b64 v[63:66], v63 offset1:1
	s_add_i32 s15, s13, s8
	s_waitcnt lgkmcnt(1)
	v_fma_f64 v[61:62], -v[5:6], v[61:62], v[9:10]
	v_mul_f64 v[9:10], v[67:68], v[55:56]
	v_fma_f64 v[11:12], -v[5:6], v[59:60], v[11:12]
	v_mov_b32_e32 v68, s15
	s_add_i32 s17, s11, s16
	s_add_i32 s11, s11, s10
	s_add_i32 s18, s13, s14
	v_mov_b32_e32 v67, s17
	v_mov_b32_e32 v69, s11
	s_waitcnt lgkmcnt(0)
	v_fma_f64 v[55:56], -v[9:10], v[65:66], v[61:62]
	ds_read2_b64 v[59:62], v68 offset1:1
	v_mov_b32_e32 v70, s18
	ds_read2_b64 v[65:68], v67 offset1:1
	ds_read_b64 v[73:74], v69
	ds_read2_b64 v[69:72], v70 offset1:1
	s_add_i32 s18, s13, s16
	s_add_i32 s19, s13, s10
	s_waitcnt lgkmcnt(3)
	v_fma_f64 v[53:54], -v[5:6], v[61:62], v[53:54]
	v_fma_f64 v[61:62], -v[9:10], v[63:64], v[11:12]
	s_waitcnt lgkmcnt(2)
	v_mul_f64 v[11:12], v[67:68], v[55:56]
	v_fma_f64 v[67:68], -v[5:6], v[59:60], v[13:14]
	s_add_i32 s15, s5, -7
	s_lshl_b32 s17, s15, 3
	s_add_i32 s20, s17, s14
	s_add_i32 s11, s8, 0xfffffc00
	s_waitcnt lgkmcnt(0)
	v_fma_f64 v[63:64], -v[9:10], v[71:72], v[53:54]
	v_mov_b32_e32 v53, s18
	v_fma_f64 v[65:66], -v[11:12], v[65:66], v[61:62]
	ds_read2_b64 v[53:56], v53 offset1:1
	v_mov_b32_e32 v61, s19
	ds_read2_b64 v[59:62], v61 offset1:1
	s_add_i32 s19, s17, s8
	v_fma_f64 v[75:76], -v[9:10], v[69:70], v[67:68]
	s_waitcnt lgkmcnt(1)
	v_fma_f64 v[55:56], -v[11:12], v[55:56], v[63:64]
	v_mov_b32_e32 v63, s19
	v_mul_f64 v[13:14], v[73:74], v[65:66]
	ds_read2_b64 v[63:66], v63 offset1:1
	v_mov_b32_e32 v67, s20
	ds_read2_b64 v[67:70], v67 offset1:1
	s_add_i32 s18, s13, s11
	s_lshl_b32 s12, s12, 8
	s_add_i32 s13, s13, s12
	s_waitcnt lgkmcnt(1)
	v_fma_f64 v[17:18], -v[5:6], v[63:64], v[17:18]
	v_fma_f64 v[55:56], -v[13:14], v[61:62], v[55:56]
	;; [unrolled: 1-line block ×4, first 2 shown]
	v_mov_b32_e32 v15, s18
	ds_read2_b64 v[71:74], v15 offset1:1
	v_mov_b32_e32 v15, s13
	s_add_i32 s13, s17, s16
	v_mov_b32_e32 v53, s13
	s_add_i32 s13, s17, s10
	s_waitcnt lgkmcnt(1)
	v_fma_f64 v[69:70], -v[9:10], v[69:70], v[61:62]
	v_fma_f64 v[65:66], -v[13:14], v[59:60], v[65:66]
	v_mov_b32_e32 v59, s13
	ds_read_b64 v[75:76], v15
	ds_read2_b64 v[59:62], v59 offset1:1
	s_waitcnt lgkmcnt(2)
	v_mul_f64 v[15:16], v[73:74], v[55:56]
	ds_read2_b64 v[53:56], v53 offset1:1
	s_add_i32 s13, s17, s11
	s_add_i32 s18, s5, -9
	s_lshl_b32 s19, s18, 3
	s_add_i32 s21, s19, s8
	s_waitcnt lgkmcnt(0)
	v_fma_f64 v[55:56], -v[11:12], v[55:56], v[69:70]
	v_fma_f64 v[69:70], -v[9:10], v[67:68], v[17:18]
	;; [unrolled: 1-line block ×3, first 2 shown]
	s_lshl_b32 s15, s15, 8
	s_lshl_b32 s18, s18, 8
	ds_write_b64 v58, v[5:6]
	v_add_u32_e32 v58, s14, v57
	ds_write_b64 v58, v[9:10]
	v_fma_f64 v[55:56], -v[13:14], v[61:62], v[55:56]
	v_mov_b32_e32 v61, s13
	ds_read2_b64 v[61:64], v61 offset1:1
	s_add_i32 s13, s17, s12
	v_mul_f64 v[17:18], v[75:76], v[65:66]
	v_mov_b32_e32 v65, s13
	v_fma_f64 v[53:54], -v[11:12], v[53:54], v[69:70]
	ds_read2_b64 v[65:68], v65 offset1:1
	s_waitcnt lgkmcnt(1)
	v_fma_f64 v[55:56], -v[15:16], v[63:64], v[55:56]
	s_add_i32 s13, s8, 0xfffffa00
	s_add_i32 s20, s17, s13
	v_mov_b32_e32 v71, s20
	s_add_i32 s20, s19, s14
	s_add_i32 s17, s17, s15
	v_fma_f64 v[59:60], -v[13:14], v[59:60], v[53:54]
	v_mov_b32_e32 v53, s21
	s_waitcnt lgkmcnt(0)
	v_fma_f64 v[63:64], -v[17:18], v[67:68], v[55:56]
	ds_read2_b64 v[53:56], v53 offset1:1
	v_mov_b32_e32 v67, s20
	ds_read2_b64 v[67:70], v67 offset1:1
	ds_read2_b64 v[71:74], v71 offset1:1
	s_add_i32 s20, s5, -11
	s_waitcnt lgkmcnt(2)
	v_fma_f64 v[55:56], -v[5:6], v[55:56], v[21:22]
	v_mov_b32_e32 v21, s17
	s_add_i32 s17, s19, s16
	v_fma_f64 v[75:76], -v[15:16], v[61:62], v[59:60]
	v_mov_b32_e32 v59, s17
	ds_read_b64 v[77:78], v21
	ds_read2_b64 v[59:62], v59 offset1:1
	v_fma_f64 v[23:24], -v[5:6], v[53:54], v[23:24]
	s_waitcnt lgkmcnt(3)
	v_fma_f64 v[55:56], -v[9:10], v[69:70], v[55:56]
	s_add_i32 s17, s19, s10
	s_waitcnt lgkmcnt(2)
	v_mul_f64 v[21:22], v[73:74], v[63:64]
	v_mov_b32_e32 v63, s17
	v_fma_f64 v[69:70], -v[17:18], v[65:66], v[75:76]
	ds_read2_b64 v[63:66], v63 offset1:1
	s_add_i32 s17, s19, s11
	v_fma_f64 v[67:68], -v[9:10], v[67:68], v[23:24]
	s_waitcnt lgkmcnt(1)
	v_fma_f64 v[55:56], -v[11:12], v[61:62], v[55:56]
	v_mov_b32_e32 v53, s17
	s_add_i32 s17, s19, s12
	s_lshl_b32 s21, s20, 3
	v_fma_f64 v[61:62], -v[21:22], v[71:72], v[69:70]
	v_mov_b32_e32 v69, s17
	ds_read2_b64 v[69:72], v69 offset1:1
	s_add_i32 s23, s21, s8
	s_waitcnt lgkmcnt(1)
	v_fma_f64 v[65:66], -v[13:14], v[65:66], v[55:56]
	ds_read2_b64 v[53:56], v53 offset1:1
	s_add_i32 s17, s19, s13
	s_lshl_b32 s20, s20, 8
	v_mul_f64 v[23:24], v[77:78], v[61:62]
	s_sub_i32 s36, s5, 23
	v_add_u32_e32 v101, s10, v57
	ds_write_b64 v101, v[13:14]
	s_waitcnt lgkmcnt(1)
	v_fma_f64 v[55:56], -v[15:16], v[55:56], v[65:66]
	v_fma_f64 v[65:66], -v[11:12], v[59:60], v[67:68]
	v_mov_b32_e32 v59, s23
	ds_read2_b64 v[59:62], v59 offset1:1
	s_add_i32 s23, s21, s14
	v_add_u32_e32 v103, s11, v57
	ds_write_b64 v103, v[15:16]
	s_waitcnt lgkmcnt(1)
	v_fma_f64 v[61:62], -v[5:6], v[61:62], v[51:52]
	v_fma_f64 v[67:68], -v[13:14], v[63:64], v[65:66]
	v_mov_b32_e32 v63, s23
	ds_read2_b64 v[63:66], v63 offset1:1
	v_fma_f64 v[55:56], -v[17:18], v[71:72], v[55:56]
	v_mov_b32_e32 v51, s17
	ds_read2_b64 v[71:74], v51 offset1:1
	s_add_i32 s17, s19, s15
	s_waitcnt lgkmcnt(1)
	v_fma_f64 v[61:62], -v[9:10], v[65:66], v[61:62]
	v_fma_f64 v[75:76], -v[15:16], v[53:54], v[67:68]
	v_mov_b32_e32 v51, s17
	s_add_i32 s17, s21, s16
	v_mov_b32_e32 v65, s17
	ds_read2_b64 v[65:68], v65 offset1:1
	s_add_i32 s17, s21, s10
	s_waitcnt lgkmcnt(1)
	v_fma_f64 v[55:56], -v[21:22], v[73:74], v[55:56]
	v_mov_b32_e32 v73, s17
	v_fma_f64 v[69:70], -v[17:18], v[69:70], v[75:76]
	ds_read2_b64 v[73:76], v73 offset1:1
	s_waitcnt lgkmcnt(1)
	v_fma_f64 v[61:62], -v[11:12], v[67:68], v[61:62]
	v_fma_f64 v[27:28], -v[5:6], v[59:60], v[27:28]
	ds_read2_b64 v[51:54], v51 offset1:1
	s_add_i32 s17, s8, 0xfffff800
	s_add_i32 s23, s19, s17
	;; [unrolled: 1-line block ×3, first 2 shown]
	v_fma_f64 v[71:72], -v[21:22], v[71:72], v[69:70]
	s_waitcnt lgkmcnt(1)
	v_fma_f64 v[75:76], -v[13:14], v[75:76], v[61:62]
	v_fma_f64 v[63:64], -v[9:10], v[63:64], v[27:28]
	v_mov_b32_e32 v27, s19
	ds_read_b64 v[79:80], v27
	s_waitcnt lgkmcnt(1)
	v_fma_f64 v[77:78], -v[23:24], v[53:54], v[55:56]
	v_mov_b32_e32 v53, s23
	s_add_i32 s23, s21, s11
	v_mov_b32_e32 v59, s23
	ds_read2_b64 v[53:56], v53 offset1:1
	ds_read2_b64 v[59:62], v59 offset1:1
	s_add_i32 s23, s21, s12
	v_mov_b32_e32 v67, s23
	ds_read2_b64 v[67:70], v67 offset1:1
	s_waitcnt lgkmcnt(2)
	v_mul_f64 v[27:28], v[55:56], v[77:78]
	s_waitcnt lgkmcnt(1)
	v_fma_f64 v[61:62], -v[15:16], v[61:62], v[75:76]
	v_fma_f64 v[55:56], -v[11:12], v[65:66], v[63:64]
	s_add_i32 s19, s21, s13
	s_add_i32 s23, s5, -13
	s_lshl_b32 s24, s23, 3
	v_fma_f64 v[51:52], -v[23:24], v[51:52], v[71:72]
	s_lshl_b32 s23, s23, 8
	s_waitcnt lgkmcnt(0)
	v_fma_f64 v[65:66], -v[17:18], v[69:70], v[61:62]
	v_mov_b32_e32 v61, s19
	ds_read2_b64 v[61:64], v61 offset1:1
	v_fma_f64 v[55:56], -v[13:14], v[73:74], v[55:56]
	s_add_i32 s19, s21, s15
	v_mov_b32_e32 v69, s19
	s_add_i32 s19, s24, s8
	ds_read2_b64 v[69:72], v69 offset1:1
	s_waitcnt lgkmcnt(1)
	v_fma_f64 v[77:78], -v[21:22], v[63:64], v[65:66]
	v_mov_b32_e32 v63, s19
	ds_read2_b64 v[63:66], v63 offset1:1
	s_add_i32 s19, s24, s14
	v_fma_f64 v[55:56], -v[15:16], v[59:60], v[55:56]
	v_mov_b32_e32 v59, s19
	ds_read2_b64 v[73:76], v59 offset1:1
	s_waitcnt lgkmcnt(1)
	v_fma_f64 v[29:30], -v[5:6], v[65:66], v[29:30]
	s_add_i32 s19, s21, s17
	v_fma_f64 v[65:66], -v[27:28], v[53:54], v[51:52]
	v_fma_f64 v[71:72], -v[23:24], v[71:72], v[77:78]
	;; [unrolled: 1-line block ×4, first 2 shown]
	v_mov_b32_e32 v67, s19
	s_add_i32 s19, s24, s16
	s_waitcnt lgkmcnt(0)
	v_fma_f64 v[29:30], -v[9:10], v[75:76], v[29:30]
	v_mov_b32_e32 v51, s19
	ds_read2_b64 v[51:54], v51 offset1:1
	s_add_i32 s19, s24, s10
	v_fma_f64 v[31:32], -v[9:10], v[73:74], v[31:32]
	v_fma_f64 v[75:76], -v[21:22], v[61:62], v[55:56]
	v_mov_b32_e32 v55, s19
	ds_read2_b64 v[59:62], v55 offset1:1
	s_waitcnt lgkmcnt(1)
	v_fma_f64 v[77:78], -v[11:12], v[53:54], v[29:30]
	ds_read2_b64 v[53:56], v67 offset1:1
	s_add_i32 s19, s21, s18
	v_mul_f64 v[29:30], v[79:80], v[65:66]
	v_mov_b32_e32 v65, s19
	s_add_i32 s19, s24, s11
	v_fma_f64 v[79:80], -v[23:24], v[69:70], v[75:76]
	v_mov_b32_e32 v69, s19
	s_waitcnt lgkmcnt(1)
	v_fma_f64 v[61:62], -v[13:14], v[61:62], v[77:78]
	s_add_i32 s19, s24, s12
	v_mov_b32_e32 v75, s19
	ds_read2_b64 v[75:78], v75 offset1:1
	ds_read2_b64 v[65:68], v65 offset1:1
	s_waitcnt lgkmcnt(2)
	v_fma_f64 v[55:56], -v[27:28], v[55:56], v[71:72]
	ds_read2_b64 v[69:72], v69 offset1:1
	v_fma_f64 v[51:52], -v[11:12], v[51:52], v[31:32]
	s_add_i32 s19, s8, 0xfffff600
	s_add_i32 s25, s21, s19
	v_fma_f64 v[79:80], -v[27:28], v[53:54], v[79:80]
	s_waitcnt lgkmcnt(0)
	v_fma_f64 v[71:72], -v[15:16], v[71:72], v[61:62]
	s_add_i32 s21, s21, s20
	v_fma_f64 v[67:68], -v[29:30], v[67:68], v[55:56]
	v_mov_b32_e32 v55, s25
	s_add_i32 s25, s24, s13
	v_mov_b32_e32 v53, s25
	s_add_i32 s25, s24, s15
	ds_read2_b64 v[61:64], v55 offset1:1
	v_fma_f64 v[77:78], -v[17:18], v[77:78], v[71:72]
	v_mov_b32_e32 v71, s25
	ds_read2_b64 v[71:74], v71 offset1:1
	ds_read2_b64 v[53:56], v53 offset1:1
	v_fma_f64 v[51:52], -v[13:14], v[59:60], v[51:52]
	s_add_i32 s25, s5, -15
	s_lshl_b32 s26, s25, 3
	s_add_i32 s27, s26, s8
	v_mov_b32_e32 v31, s21
	v_mov_b32_e32 v59, s27
	ds_read_b64 v[83:84], v31
	s_waitcnt lgkmcnt(1)
	v_fma_f64 v[55:56], -v[21:22], v[55:56], v[77:78]
	v_mul_f64 v[31:32], v[63:64], v[67:68]
	v_fma_f64 v[85:86], -v[29:30], v[65:66], v[79:80]
	ds_read2_b64 v[63:66], v59 offset1:1
	v_fma_f64 v[51:52], -v[15:16], v[69:70], v[51:52]
	s_add_i32 s27, s26, s14
	v_mov_b32_e32 v59, s27
	ds_read2_b64 v[67:70], v59 offset1:1
	s_waitcnt lgkmcnt(1)
	v_fma_f64 v[35:36], -v[5:6], v[65:66], v[35:36]
	v_fma_f64 v[55:56], -v[23:24], v[73:74], v[55:56]
	s_add_i32 s21, s24, s17
	v_mov_b32_e32 v59, s21
	ds_read2_b64 v[77:80], v59 offset1:1
	v_fma_f64 v[51:52], -v[17:18], v[75:76], v[51:52]
	s_add_i32 s21, s24, s18
	v_mov_b32_e32 v59, s21
	s_waitcnt lgkmcnt(1)
	v_fma_f64 v[35:36], -v[9:10], v[69:70], v[35:36]
	s_add_i32 s21, s26, s16
	ds_read2_b64 v[73:76], v59 offset1:1
	v_mov_b32_e32 v59, s21
	s_waitcnt lgkmcnt(1)
	v_fma_f64 v[55:56], -v[27:28], v[79:80], v[55:56]
	ds_read2_b64 v[79:82], v59 offset1:1
	v_fma_f64 v[59:60], -v[21:22], v[53:54], v[51:52]
	s_add_i32 s21, s26, s10
	v_mov_b32_e32 v51, s21
	ds_read2_b64 v[51:54], v51 offset1:1
	s_waitcnt lgkmcnt(1)
	v_fma_f64 v[35:36], -v[11:12], v[81:82], v[35:36]
	s_add_i32 s21, s24, s19
	v_fma_f64 v[81:82], -v[29:30], v[75:76], v[55:56]
	v_mov_b32_e32 v55, s21
	v_fma_f64 v[69:70], -v[23:24], v[71:72], v[59:60]
	v_fma_f64 v[65:66], -v[31:32], v[61:62], v[85:86]
	ds_read2_b64 v[59:62], v55 offset1:1
	s_add_i32 s21, s26, s11
	s_waitcnt lgkmcnt(1)
	v_fma_f64 v[35:36], -v[13:14], v[53:54], v[35:36]
	v_mov_b32_e32 v53, s21
	ds_read2_b64 v[53:56], v53 offset1:1
	v_fma_f64 v[39:40], -v[5:6], v[63:64], v[39:40]
	s_add_i32 s21, s26, s12
	v_fma_f64 v[85:86], -v[27:28], v[77:78], v[69:70]
	v_mov_b32_e32 v69, s21
	ds_read2_b64 v[69:72], v69 offset1:1
	s_waitcnt lgkmcnt(1)
	v_fma_f64 v[55:56], -v[15:16], v[55:56], v[35:36]
	s_add_i32 s21, s24, s20
	v_mul_f64 v[35:36], v[83:84], v[65:66]
	v_fma_f64 v[39:40], -v[9:10], v[67:68], v[39:40]
	v_mov_b32_e32 v65, s21
	s_add_i32 s21, s26, s13
	ds_read2_b64 v[75:78], v65 offset1:1
	v_fma_f64 v[65:66], -v[31:32], v[61:62], v[81:82]
	s_waitcnt lgkmcnt(1)
	v_fma_f64 v[55:56], -v[17:18], v[71:72], v[55:56]
	v_mov_b32_e32 v61, s21
	ds_read2_b64 v[61:64], v61 offset1:1
	v_fma_f64 v[81:82], -v[29:30], v[73:74], v[85:86]
	v_fma_f64 v[39:40], -v[11:12], v[79:80], v[39:40]
	s_add_i32 s21, s26, s15
	v_mov_b32_e32 v71, s21
	ds_read2_b64 v[71:74], v71 offset1:1
	s_waitcnt lgkmcnt(1)
	v_fma_f64 v[55:56], -v[21:22], v[63:64], v[55:56]
	s_add_i32 s21, s8, 0xfffff400
	s_add_i32 s27, s24, s21
	v_fma_f64 v[59:60], -v[31:32], v[59:60], v[81:82]
	v_fma_f64 v[51:52], -v[13:14], v[51:52], v[39:40]
	v_mov_b32_e32 v63, s27
	s_add_i32 s27, s26, s17
	v_fma_f64 v[67:68], -v[35:36], v[77:78], v[65:66]
	s_waitcnt lgkmcnt(0)
	v_fma_f64 v[55:56], -v[23:24], v[73:74], v[55:56]
	v_mov_b32_e32 v73, s27
	ds_read2_b64 v[63:66], v63 offset1:1
	ds_read2_b64 v[77:80], v73 offset1:1
	s_add_i32 s27, s26, s18
	v_mov_b32_e32 v73, s27
	v_fma_f64 v[75:76], -v[35:36], v[75:76], v[59:60]
	v_fma_f64 v[59:60], -v[15:16], v[53:54], v[51:52]
	s_sub_i32 s27, s5, 17
	s_lshl_b32 s28, s27, 3
	s_add_i32 s24, s24, s23
	s_add_i32 s29, s28, s8
	s_waitcnt lgkmcnt(0)
	v_fma_f64 v[55:56], -v[27:28], v[79:80], v[55:56]
	v_mov_b32_e32 v39, s24
	v_mov_b32_e32 v51, s29
	ds_read_b64 v[85:86], v39
	ds_read2_b64 v[51:54], v51 offset1:1
	ds_read2_b64 v[81:84], v73 offset1:1
	v_fma_f64 v[59:60], -v[17:18], v[69:70], v[59:60]
	s_add_i32 s29, s28, s14
	v_mul_f64 v[39:40], v[65:66], v[67:68]
	s_waitcnt lgkmcnt(1)
	v_fma_f64 v[41:42], -v[5:6], v[53:54], v[41:42]
	s_waitcnt lgkmcnt(0)
	v_fma_f64 v[73:74], -v[29:30], v[83:84], v[55:56]
	v_mov_b32_e32 v55, s29
	ds_read2_b64 v[65:68], v55 offset1:1
	s_add_i32 s24, s26, s19
	v_fma_f64 v[79:80], -v[21:22], v[61:62], v[59:60]
	v_mov_b32_e32 v53, s24
	s_add_i32 s24, s26, s20
	s_waitcnt lgkmcnt(0)
	v_fma_f64 v[41:42], -v[9:10], v[67:68], v[41:42]
	v_mov_b32_e32 v59, s24
	s_add_i32 s24, s28, s16
	v_mov_b32_e32 v67, s24
	ds_read2_b64 v[53:56], v53 offset1:1
	ds_read2_b64 v[59:62], v59 offset1:1
	;; [unrolled: 1-line block ×3, first 2 shown]
	s_add_i32 s24, s28, s10
	v_fma_f64 v[79:80], -v[23:24], v[71:72], v[79:80]
	v_mov_b32_e32 v71, s24
	s_waitcnt lgkmcnt(2)
	v_fma_f64 v[55:56], -v[31:32], v[55:56], v[73:74]
	ds_read2_b64 v[71:74], v71 offset1:1
	s_waitcnt lgkmcnt(1)
	v_fma_f64 v[41:42], -v[11:12], v[69:70], v[41:42]
	s_add_i32 s24, s26, s21
	v_fma_f64 v[69:70], -v[39:40], v[63:64], v[75:76]
	s_add_i32 s29, s28, s17
	v_fma_f64 v[77:78], -v[27:28], v[77:78], v[79:80]
	s_lshl_b32 s25, s25, 8
	v_fma_f64 v[55:56], -v[35:36], v[61:62], v[55:56]
	v_mov_b32_e32 v61, s24
	s_waitcnt lgkmcnt(0)
	v_fma_f64 v[41:42], -v[13:14], v[73:74], v[41:42]
	s_add_i32 s24, s28, s11
	v_mov_b32_e32 v73, s24
	ds_read2_b64 v[73:76], v73 offset1:1
	s_add_i32 s24, s28, s12
	v_fma_f64 v[87:88], -v[29:30], v[81:82], v[77:78]
	v_mov_b32_e32 v77, s24
	ds_read2_b64 v[61:64], v61 offset1:1
	ds_read2_b64 v[77:80], v77 offset1:1
	s_waitcnt lgkmcnt(2)
	v_fma_f64 v[75:76], -v[15:16], v[75:76], v[41:42]
	s_add_i32 s24, s26, s23
	v_mul_f64 v[41:42], v[85:86], v[69:70]
	v_mov_b32_e32 v69, s24
	ds_read2_b64 v[81:84], v69 offset1:1
	s_waitcnt lgkmcnt(2)
	v_fma_f64 v[63:64], -v[39:40], v[63:64], v[55:56]
	v_fma_f64 v[55:56], -v[5:6], v[51:52], v[49:50]
	s_add_i32 s24, s28, s13
	s_waitcnt lgkmcnt(1)
	v_fma_f64 v[75:76], -v[17:18], v[79:80], v[75:76]
	v_mov_b32_e32 v49, s24
	ds_read2_b64 v[49:52], v49 offset1:1
	s_add_i32 s24, s28, s15
	v_fma_f64 v[69:70], -v[31:32], v[53:54], v[87:88]
	v_mov_b32_e32 v53, s24
	v_fma_f64 v[65:66], -v[9:10], v[65:66], v[55:56]
	ds_read2_b64 v[53:56], v53 offset1:1
	s_waitcnt lgkmcnt(1)
	v_fma_f64 v[51:52], -v[21:22], v[51:52], v[75:76]
	v_fma_f64 v[87:88], -v[41:42], v[83:84], v[63:64]
	s_add_i32 s24, s8, 0xfffff200
	s_lshl_b32 s27, s27, 8
	v_fma_f64 v[59:60], -v[35:36], v[59:60], v[69:70]
	v_fma_f64 v[67:68], -v[11:12], v[67:68], v[65:66]
	s_waitcnt lgkmcnt(0)
	v_fma_f64 v[51:52], -v[23:24], v[55:56], v[51:52]
	v_mov_b32_e32 v55, s29
	ds_read2_b64 v[63:66], v55 offset1:1
	s_add_i32 s29, s28, s18
	v_mov_b32_e32 v69, s29
	s_add_i32 s29, s26, s24
	v_fma_f64 v[55:56], -v[13:14], v[71:72], v[67:68]
	ds_read2_b64 v[67:70], v69 offset1:1
	s_waitcnt lgkmcnt(1)
	v_fma_f64 v[51:52], -v[27:28], v[65:66], v[51:52]
	v_mov_b32_e32 v65, s29
	s_add_i32 s29, s28, s19
	ds_read2_b64 v[83:86], v65 offset1:1
	v_fma_f64 v[65:66], -v[39:40], v[61:62], v[59:60]
	v_mov_b32_e32 v59, s29
	v_fma_f64 v[55:56], -v[15:16], v[73:74], v[55:56]
	ds_read2_b64 v[59:62], v59 offset1:1
	s_waitcnt lgkmcnt(2)
	v_fma_f64 v[51:52], -v[29:30], v[69:70], v[51:52]
	s_add_i32 s29, s28, s20
	v_mov_b32_e32 v69, s29
	s_sub_i32 s29, s5, 19
	s_lshl_b32 s30, s29, 3
	s_add_i32 s31, s30, s8
	v_fma_f64 v[55:56], -v[17:18], v[77:78], v[55:56]
	ds_read2_b64 v[69:72], v69 offset1:1
	s_waitcnt lgkmcnt(1)
	v_fma_f64 v[51:52], -v[31:32], v[61:62], v[51:52]
	v_mov_b32_e32 v61, s31
	ds_read2_b64 v[73:76], v61 offset1:1
	s_add_i32 s31, s30, s14
	s_add_i32 s26, s26, s25
	v_fma_f64 v[89:90], -v[41:42], v[81:82], v[65:66]
	v_fma_f64 v[49:50], -v[21:22], v[49:50], v[55:56]
	v_mov_b32_e32 v55, s31
	ds_read2_b64 v[77:80], v55 offset1:1
	s_waitcnt lgkmcnt(1)
	v_fma_f64 v[55:56], -v[5:6], v[75:76], v[47:48]
	s_add_i32 s31, s30, s16
	v_mov_b32_e32 v47, s26
	v_fma_f64 v[71:72], -v[35:36], v[71:72], v[51:52]
	v_mov_b32_e32 v51, s31
	v_fma_f64 v[49:50], -v[23:24], v[53:54], v[49:50]
	ds_read_b64 v[75:76], v47
	ds_read2_b64 v[51:54], v51 offset1:1
	s_waitcnt lgkmcnt(2)
	v_fma_f64 v[55:56], -v[9:10], v[79:80], v[55:56]
	s_add_i32 s31, s30, s10
	v_mov_b32_e32 v61, s31
	s_add_i32 s26, s28, s21
	v_mul_f64 v[47:48], v[85:86], v[87:88]
	v_fma_f64 v[49:50], -v[27:28], v[63:64], v[49:50]
	ds_read2_b64 v[61:64], v61 offset1:1
	v_fma_f64 v[45:46], -v[5:6], v[73:74], v[45:46]
	s_waitcnt lgkmcnt(1)
	v_fma_f64 v[79:80], -v[11:12], v[53:54], v[55:56]
	v_mov_b32_e32 v53, s26
	ds_read2_b64 v[53:56], v53 offset1:1
	s_add_i32 s26, s28, s23
	v_mov_b32_e32 v65, s26
	v_fma_f64 v[49:50], -v[29:30], v[67:68], v[49:50]
	s_add_i32 s26, s30, s11
	s_waitcnt lgkmcnt(0)
	v_fma_f64 v[55:56], -v[39:40], v[55:56], v[71:72]
	v_fma_f64 v[63:64], -v[13:14], v[63:64], v[79:80]
	v_mov_b32_e32 v71, s26
	ds_read2_b64 v[79:82], v71 offset1:1
	s_add_i32 s26, s30, s12
	ds_read2_b64 v[65:68], v65 offset1:1
	v_fma_f64 v[49:50], -v[31:32], v[59:60], v[49:50]
	v_mov_b32_e32 v59, s26
	ds_read2_b64 v[85:88], v59 offset1:1
	s_waitcnt lgkmcnt(2)
	v_fma_f64 v[59:60], -v[15:16], v[81:82], v[63:64]
	s_add_i32 s26, s28, s24
	v_mov_b32_e32 v71, s26
	s_add_i32 s26, s30, s13
	v_fma_f64 v[63:64], -v[47:48], v[83:84], v[89:90]
	v_fma_f64 v[49:50], -v[35:36], v[69:70], v[49:50]
	s_waitcnt lgkmcnt(1)
	v_fma_f64 v[89:90], -v[41:42], v[67:68], v[55:56]
	v_mov_b32_e32 v55, s26
	s_waitcnt lgkmcnt(0)
	v_fma_f64 v[59:60], -v[17:18], v[87:88], v[59:60]
	ds_read2_b64 v[67:70], v55 offset1:1
	s_add_i32 s26, s30, s15
	v_fma_f64 v[45:46], -v[9:10], v[77:78], v[45:46]
	s_lshl_b32 s29, s29, 8
	v_fma_f64 v[87:88], -v[39:40], v[53:54], v[49:50]
	v_mov_b32_e32 v49, s26
	ds_read2_b64 v[53:56], v49 offset1:1
	s_waitcnt lgkmcnt(1)
	v_fma_f64 v[59:60], -v[21:22], v[69:70], v[59:60]
	ds_read2_b64 v[69:72], v71 offset1:1
	s_add_i32 s26, s28, s25
	v_mul_f64 v[49:50], v[75:76], v[63:64]
	v_mov_b32_e32 v63, s26
	s_add_i32 s26, s30, s17
	ds_read2_b64 v[81:84], v63 offset1:1
	v_fma_f64 v[91:92], -v[41:42], v[65:66], v[87:88]
	s_waitcnt lgkmcnt(2)
	v_fma_f64 v[55:56], -v[23:24], v[55:56], v[59:60]
	v_mov_b32_e32 v59, s26
	ds_read2_b64 v[63:66], v59 offset1:1
	s_waitcnt lgkmcnt(2)
	v_fma_f64 v[75:76], -v[47:48], v[71:72], v[89:90]
	s_add_i32 s26, s30, s18
	v_mov_b32_e32 v59, s26
	ds_read2_b64 v[71:74], v59 offset1:1
	s_add_i32 s26, s8, 0xfffff000
	s_waitcnt lgkmcnt(1)
	v_fma_f64 v[55:56], -v[27:28], v[65:66], v[55:56]
	s_add_i32 s31, s28, s26
	s_add_i32 s28, s28, s27
	v_fma_f64 v[51:52], -v[11:12], v[51:52], v[45:46]
	v_mov_b32_e32 v45, s28
	ds_read_b64 v[95:96], v45
	v_fma_f64 v[59:60], -v[49:50], v[83:84], v[75:76]
	v_mov_b32_e32 v65, s31
	s_waitcnt lgkmcnt(1)
	v_fma_f64 v[55:56], -v[29:30], v[73:74], v[55:56]
	s_add_i32 s31, s30, s19
	ds_read2_b64 v[87:90], v65 offset1:1
	v_fma_f64 v[65:66], -v[47:48], v[69:70], v[91:92]
	v_mov_b32_e32 v69, s31
	ds_read2_b64 v[73:76], v69 offset1:1
	s_add_i32 s28, s30, s21
	s_waitcnt lgkmcnt(1)
	v_mul_f64 v[45:46], v[89:90], v[59:60]
	v_mov_b32_e32 v59, s28
	v_fma_f64 v[51:52], -v[13:14], v[61:62], v[51:52]
	ds_read2_b64 v[59:62], v59 offset1:1
	s_waitcnt lgkmcnt(1)
	v_fma_f64 v[55:56], -v[31:32], v[75:76], v[55:56]
	s_add_i32 s31, s30, s20
	v_mov_b32_e32 v69, s31
	ds_read2_b64 v[91:94], v69 offset1:1
	s_sub_i32 s31, s5, 21
	s_add_i32 s28, s30, s23
	v_fma_f64 v[51:52], -v[15:16], v[79:80], v[51:52]
	s_lshl_b32 s33, s31, 3
	s_waitcnt lgkmcnt(0)
	v_fma_f64 v[55:56], -v[35:36], v[93:94], v[55:56]
	v_mov_b32_e32 v69, s28
	s_add_i32 s28, s33, s8
	v_fma_f64 v[65:66], -v[49:50], v[81:82], v[65:66]
	ds_read2_b64 v[75:78], v69 offset1:1
	s_add_i32 s34, s33, s16
	v_fma_f64 v[51:52], -v[17:18], v[85:86], v[51:52]
	v_mov_b32_e32 v58, s34
	v_fma_f64 v[55:56], -v[39:40], v[61:62], v[55:56]
	v_mov_b32_e32 v61, s28
	ds_read2_b64 v[79:82], v61 offset1:1
	s_add_i32 s28, s33, s14
	v_mov_b32_e32 v61, s28
	ds_read2_b64 v[83:86], v61 offset1:1
	v_fma_f64 v[51:52], -v[21:22], v[67:68], v[51:52]
	s_waitcnt lgkmcnt(1)
	v_fma_f64 v[43:44], -v[5:6], v[81:82], v[43:44]
	v_fma_f64 v[81:82], -v[45:46], v[87:88], v[65:66]
	ds_read2_b64 v[65:68], v58 offset1:1
	s_add_i32 s34, s33, s10
	v_fma_f64 v[55:56], -v[41:42], v[77:78], v[55:56]
	s_add_i32 s28, s30, s24
	v_fma_f64 v[37:38], -v[5:6], v[79:80], v[37:38]
	v_fma_f64 v[61:62], -v[23:24], v[53:54], v[51:52]
	s_waitcnt lgkmcnt(1)
	v_fma_f64 v[43:44], -v[9:10], v[85:86], v[43:44]
	v_mov_b32_e32 v51, s34
	ds_read2_b64 v[51:54], v51 offset1:1
	v_mov_b32_e32 v58, s28
	s_add_i32 s28, s30, s25
	s_add_i32 s34, s33, s13
	s_add_i32 s35, s33, s19
	v_fma_f64 v[77:78], -v[27:28], v[63:64], v[61:62]
	s_waitcnt lgkmcnt(1)
	v_fma_f64 v[43:44], -v[11:12], v[67:68], v[43:44]
	ds_read2_b64 v[67:70], v58 offset1:1
	v_mov_b32_e32 v58, s28
	s_add_i32 s28, s33, s11
	ds_read2_b64 v[61:64], v58 offset1:1
	v_fma_f64 v[37:38], -v[9:10], v[83:84], v[37:38]
	s_waitcnt lgkmcnt(1)
	v_fma_f64 v[85:86], -v[47:48], v[69:70], v[55:56]
	v_fma_f64 v[77:78], -v[29:30], v[71:72], v[77:78]
	;; [unrolled: 1-line block ×3, first 2 shown]
	v_mov_b32_e32 v53, s28
	ds_read2_b64 v[53:56], v53 offset1:1
	s_add_i32 s28, s33, s12
	v_mov_b32_e32 v58, s28
	ds_read2_b64 v[69:72], v58 offset1:1
	v_mov_b32_e32 v58, s34
	v_fma_f64 v[77:78], -v[31:32], v[73:74], v[77:78]
	s_waitcnt lgkmcnt(1)
	v_fma_f64 v[55:56], -v[15:16], v[55:56], v[43:44]
	s_add_i32 s34, s33, s15
	v_fma_f64 v[63:64], -v[49:50], v[63:64], v[85:86]
	s_add_i32 s28, s30, s26
	v_add_u32_e32 v43, s16, v57
	ds_write_b64 v43, v[11:12]
	v_mul_f64 v[43:44], v[95:96], v[81:82]
	v_fma_f64 v[77:78], -v[35:36], v[91:92], v[77:78]
	s_waitcnt lgkmcnt(1)
	v_fma_f64 v[55:56], -v[17:18], v[71:72], v[55:56]
	ds_read2_b64 v[71:74], v58 offset1:1
	v_mov_b32_e32 v58, s34
	ds_read2_b64 v[85:88], v58 offset1:1
	v_mov_b32_e32 v58, s28
	s_add_i32 s28, s30, s27
	ds_read2_b64 v[89:92], v58 offset1:1
	v_fma_f64 v[58:59], -v[39:40], v[59:60], v[77:78]
	s_waitcnt lgkmcnt(2)
	v_fma_f64 v[55:56], -v[21:22], v[73:74], v[55:56]
	v_mov_b32_e32 v60, s28
	s_add_i32 s28, s33, s17
	ds_read2_b64 v[93:96], v60 offset1:1
	v_mov_b32_e32 v60, s28
	ds_read2_b64 v[97:100], v60 offset1:1
	s_add_i32 s28, s33, s18
	v_mov_b32_e32 v60, s28
	s_waitcnt lgkmcnt(3)
	v_fma_f64 v[55:56], -v[23:24], v[87:88], v[55:56]
	v_fma_f64 v[58:59], -v[41:42], v[75:76], v[58:59]
	ds_read2_b64 v[73:76], v60 offset1:1
	v_mov_b32_e32 v60, s35
	s_add_i32 s35, s33, s20
	v_fma_f64 v[37:38], -v[11:12], v[65:66], v[37:38]
	s_add_i32 s28, s8, 0xffffee00
	s_add_i32 s34, s30, s28
	s_waitcnt lgkmcnt(1)
	v_fma_f64 v[55:56], -v[27:28], v[99:100], v[55:56]
	v_fma_f64 v[58:59], -v[47:48], v[67:68], v[58:59]
	s_add_i32 s30, s30, s29
	v_mov_b32_e32 v66, s30
	s_add_i32 s30, s33, s21
	v_fma_f64 v[37:38], -v[13:14], v[51:52], v[37:38]
	v_fma_f64 v[63:64], -v[45:46], v[91:92], v[63:64]
	s_lshl_b32 s31, s31, 8
	s_waitcnt lgkmcnt(0)
	v_fma_f64 v[55:56], -v[29:30], v[75:76], v[55:56]
	ds_read2_b64 v[75:78], v60 offset1:1
	v_mov_b32_e32 v60, s35
	ds_read2_b64 v[79:82], v60 offset1:1
	v_fma_f64 v[67:68], -v[49:50], v[61:62], v[58:59]
	v_mov_b32_e32 v58, s30
	s_add_i32 s30, s33, s23
	s_lshl_b32 s35, s36, 3
	s_waitcnt lgkmcnt(1)
	v_fma_f64 v[55:56], -v[31:32], v[77:78], v[55:56]
	ds_read_b64 v[77:78], v66
	v_mov_b32_e32 v62, s30
	s_add_i32 s30, s35, s8
	v_mov_b32_e32 v60, s34
	v_mov_b32_e32 v51, s30
	ds_read2_b64 v[99:102], v60 offset1:1
	ds_read2_b64 v[58:61], v58 offset1:1
	s_waitcnt lgkmcnt(3)
	v_fma_f64 v[55:56], -v[35:36], v[81:82], v[55:56]
	ds_read2_b64 v[81:84], v51 offset1:1
	s_add_i32 s30, s35, s14
	v_mov_b32_e32 v51, s30
	v_fma_f64 v[87:88], -v[43:44], v[95:96], v[63:64]
	ds_read2_b64 v[62:65], v62 offset1:1
	v_fma_f64 v[37:38], -v[15:16], v[53:54], v[37:38]
	ds_read2_b64 v[51:54], v51 offset1:1
	s_waitcnt lgkmcnt(3)
	v_fma_f64 v[55:56], -v[39:40], v[60:61], v[55:56]
	s_waitcnt lgkmcnt(2)
	v_fma_f64 v[60:61], -v[5:6], v[83:84], v[33:34]
	s_add_i32 s30, s33, s24
	v_fma_f64 v[83:84], -v[45:46], v[89:90], v[67:68]
	v_mov_b32_e32 v68, s30
	s_add_i32 s30, s35, s16
	v_fma_f64 v[37:38], -v[17:18], v[69:70], v[37:38]
	v_fma_f64 v[25:26], -v[5:6], v[81:82], v[25:26]
	s_waitcnt lgkmcnt(1)
	v_fma_f64 v[91:92], -v[41:42], v[64:65], v[55:56]
	s_waitcnt lgkmcnt(0)
	v_fma_f64 v[60:61], -v[9:10], v[53:54], v[60:61]
	v_mov_b32_e32 v53, s30
	ds_read2_b64 v[53:56], v53 offset1:1
	s_add_i32 s30, s35, s10
	v_mov_b32_e32 v64, s30
	ds_read2_b64 v[64:67], v64 offset1:1
	v_fma_f64 v[37:38], -v[21:22], v[71:72], v[37:38]
	s_add_i32 s30, s33, s25
	s_waitcnt lgkmcnt(1)
	v_fma_f64 v[55:56], -v[11:12], v[55:56], v[60:61]
	v_mov_b32_e32 v72, s30
	s_add_i32 s30, s35, s11
	ds_read2_b64 v[68:71], v68 offset1:1
	v_fma_f64 v[60:61], -v[43:44], v[93:94], v[83:84]
	v_fma_f64 v[25:26], -v[9:10], v[51:52], v[25:26]
	;; [unrolled: 1-line block ×3, first 2 shown]
	v_mul_f64 v[33:34], v[101:102], v[87:88]
	s_waitcnt lgkmcnt(1)
	v_fma_f64 v[55:56], -v[13:14], v[66:67], v[55:56]
	v_mov_b32_e32 v66, s30
	ds_read2_b64 v[83:86], v66 offset1:1
	s_add_i32 s30, s35, s12
	v_mov_b32_e32 v66, s30
	s_waitcnt lgkmcnt(1)
	v_fma_f64 v[70:71], -v[47:48], v[70:71], v[91:92]
	ds_read2_b64 v[91:94], v66 offset1:1
	s_add_i32 s30, s33, s26
	s_waitcnt lgkmcnt(1)
	v_fma_f64 v[55:56], -v[15:16], v[85:86], v[55:56]
	v_mov_b32_e32 v66, s30
	s_add_i32 s30, s35, s13
	v_mov_b32_e32 v51, s30
	v_fma_f64 v[25:26], -v[11:12], v[53:54], v[25:26]
	ds_read2_b64 v[87:90], v72 offset1:1
	s_add_i32 s30, s35, s15
	v_fma_f64 v[37:38], -v[27:28], v[97:98], v[37:38]
	s_waitcnt lgkmcnt(1)
	v_fma_f64 v[55:56], -v[17:18], v[93:94], v[55:56]
	ds_read2_b64 v[93:96], v51 offset1:1
	v_mov_b32_e32 v51, s30
	ds_read2_b64 v[51:54], v51 offset1:1
	v_fma_f64 v[25:26], -v[13:14], v[64:65], v[25:26]
	s_waitcnt lgkmcnt(2)
	v_fma_f64 v[70:71], -v[49:50], v[89:90], v[70:71]
	s_add_i32 s30, s33, s27
	v_fma_f64 v[60:61], -v[33:34], v[99:100], v[60:61]
	s_waitcnt lgkmcnt(1)
	v_fma_f64 v[55:56], -v[21:22], v[95:96], v[55:56]
	ds_read2_b64 v[95:98], v66 offset1:1
	v_mov_b32_e32 v66, s30
	s_add_i32 s30, s35, s17
	v_fma_f64 v[83:84], -v[15:16], v[83:84], v[25:26]
	v_fma_f64 v[37:38], -v[29:30], v[73:74], v[37:38]
	s_waitcnt lgkmcnt(0)
	v_fma_f64 v[81:82], -v[45:46], v[97:98], v[70:71]
	ds_read2_b64 v[64:67], v66 offset1:1
	v_fma_f64 v[85:86], -v[23:24], v[53:54], v[55:56]
	v_mov_b32_e32 v53, s30
	ds_read2_b64 v[53:56], v53 offset1:1
	s_add_i32 s30, s35, s18
	v_mov_b32_e32 v25, s30
	ds_read2_b64 v[70:73], v25 offset1:1
	v_mul_f64 v[25:26], v[77:78], v[60:61]
	v_fma_f64 v[60:61], -v[17:18], v[91:92], v[83:84]
	s_waitcnt lgkmcnt(1)
	v_fma_f64 v[55:56], -v[27:28], v[55:56], v[85:86]
	v_fma_f64 v[37:38], -v[31:32], v[75:76], v[37:38]
	s_add_i32 s30, s33, s28
	v_fma_f64 v[66:67], -v[43:44], v[66:67], v[81:82]
	v_mov_b32_e32 v81, s30
	s_add_i32 s30, s35, s19
	s_lshl_b32 s36, s36, 8
	v_fma_f64 v[60:61], -v[21:22], v[93:94], v[60:61]
	s_waitcnt lgkmcnt(0)
	v_fma_f64 v[55:56], -v[29:30], v[72:73], v[55:56]
	v_mov_b32_e32 v72, s30
	ds_read2_b64 v[72:75], v72 offset1:1
	v_fma_f64 v[37:38], -v[35:36], v[79:80], v[37:38]
	s_add_i32 s30, s35, s20
	v_mov_b32_e32 v76, s30
	ds_read2_b64 v[76:79], v76 offset1:1
	v_fma_f64 v[51:52], -v[23:24], v[51:52], v[60:61]
	s_waitcnt lgkmcnt(1)
	v_fma_f64 v[55:56], -v[31:32], v[74:75], v[55:56]
	ds_read2_b64 v[80:83], v81 offset1:1
	s_add_i32 s30, s33, s29
	v_fma_f64 v[37:38], -v[39:40], v[58:59], v[37:38]
	v_mov_b32_e32 v60, s30
	s_add_i32 s30, s35, s21
	ds_read2_b64 v[58:61], v60 offset1:1
	v_fma_f64 v[74:75], -v[27:28], v[53:54], v[51:52]
	s_waitcnt lgkmcnt(2)
	v_fma_f64 v[55:56], -v[35:36], v[78:79], v[55:56]
	v_mov_b32_e32 v78, s30
	ds_read2_b64 v[51:54], v78 offset1:1
	s_waitcnt lgkmcnt(2)
	v_fma_f64 v[66:67], -v[33:34], v[82:83], v[66:67]
	v_fma_f64 v[37:38], -v[41:42], v[62:63], v[37:38]
	s_add_i32 s30, s35, s23
	v_mov_b32_e32 v62, s30
	ds_read2_b64 v[82:85], v62 offset1:1
	s_waitcnt lgkmcnt(1)
	v_fma_f64 v[62:63], -v[39:40], v[53:54], v[55:56]
	s_add_i32 s30, s8, 0xffffec00
	s_add_i32 s34, s33, s30
	v_fma_f64 v[78:79], -v[25:26], v[60:61], v[66:67]
	v_fma_f64 v[60:61], -v[29:30], v[70:71], v[74:75]
	;; [unrolled: 1-line block ×3, first 2 shown]
	v_mov_b32_e32 v53, s34
	s_add_i32 s34, s35, s24
	s_waitcnt lgkmcnt(0)
	v_fma_f64 v[70:71], -v[41:42], v[84:85], v[62:63]
	s_add_i32 s33, s33, s31
	ds_read2_b64 v[53:56], v53 offset1:1
	s_add_i32 s39, s35, s36
	v_fma_f64 v[72:73], -v[31:32], v[72:73], v[60:61]
	v_mov_b32_e32 v60, s34
	ds_read2_b64 v[60:63], v60 offset1:1
	s_add_i32 s34, s35, s25
	v_fma_f64 v[74:75], -v[49:50], v[87:88], v[37:38]
	v_mov_b32_e32 v37, s34
	ds_read2_b64 v[66:69], v37 offset1:1
	v_mov_b32_e32 v37, s33
	ds_read_b64 v[86:87], v37
	s_waitcnt lgkmcnt(2)
	v_fma_f64 v[62:63], -v[47:48], v[62:63], v[70:71]
	v_fma_f64 v[70:71], -v[35:36], v[76:77], v[72:73]
	s_add_i32 s33, s35, s26
	v_mul_f64 v[37:38], v[55:56], v[78:79]
	v_fma_f64 v[55:56], -v[45:46], v[95:96], v[74:75]
	v_add_u32_e32 v89, s12, v57
	ds_write_b64 v89, v[17:18]
	s_waitcnt lgkmcnt(2)
	v_fma_f64 v[84:85], -v[49:50], v[68:69], v[62:63]
	v_mov_b32_e32 v62, s33
	s_sub_i32 s33, s5, 25
	s_lshl_b32 s34, s33, 3
	s_add_i32 s37, s34, s8
	v_fma_f64 v[51:52], -v[39:40], v[51:52], v[70:71]
	v_mov_b32_e32 v63, s37
	ds_read2_b64 v[68:71], v63 offset1:1
	ds_read2_b64 v[76:79], v62 offset1:1
	s_add_i32 s37, s34, s14
	v_mov_b32_e32 v63, s37
	ds_read2_b64 v[72:75], v63 offset1:1
	s_waitcnt lgkmcnt(2)
	v_fma_f64 v[19:20], -v[5:6], v[70:71], v[19:20]
	v_fma_f64 v[51:52], -v[41:42], v[82:83], v[51:52]
	s_add_i32 s37, s35, s27
	v_mov_b32_e32 v62, s37
	s_add_i32 s37, s34, s16
	v_fma_f64 v[7:8], -v[5:6], v[68:69], v[7:8]
	v_fma_f64 v[55:56], -v[43:44], v[64:65], v[55:56]
	ds_read2_b64 v[62:65], v62 offset1:1
	s_waitcnt lgkmcnt(1)
	v_fma_f64 v[19:20], -v[9:10], v[74:75], v[19:20]
	v_fma_f64 v[51:52], -v[47:48], v[60:61], v[51:52]
	v_mov_b32_e32 v60, s37
	v_fma_f64 v[78:79], -v[45:46], v[78:79], v[84:85]
	ds_read2_b64 v[82:85], v60 offset1:1
	s_add_i32 s37, s34, s10
	v_mov_b32_e32 v60, s37
	v_fma_f64 v[7:8], -v[9:10], v[72:73], v[7:8]
	ds_read2_b64 v[68:71], v60 offset1:1
	s_waitcnt lgkmcnt(1)
	v_fma_f64 v[19:20], -v[11:12], v[84:85], v[19:20]
	s_add_i32 s37, s35, s28
	v_mov_b32_e32 v60, s37
	s_add_i32 s37, s34, s11
	v_fma_f64 v[55:56], -v[33:34], v[80:81], v[55:56]
	v_fma_f64 v[74:75], -v[43:44], v[64:65], v[78:79]
	ds_read2_b64 v[78:81], v60 offset1:1
	v_mov_b32_e32 v60, s37
	s_waitcnt lgkmcnt(1)
	v_fma_f64 v[19:20], -v[13:14], v[70:71], v[19:20]
	v_fma_f64 v[7:8], -v[11:12], v[82:83], v[7:8]
	;; [unrolled: 1-line block ×3, first 2 shown]
	ds_read2_b64 v[64:67], v60 offset1:1
	s_add_i32 s37, s34, s12
	v_mov_b32_e32 v60, s37
	ds_read2_b64 v[70:73], v60 offset1:1
	s_add_i32 s37, s35, s29
	s_waitcnt lgkmcnt(1)
	v_fma_f64 v[19:20], -v[15:16], v[66:67], v[19:20]
	v_fma_f64 v[7:8], -v[13:14], v[68:69], v[7:8]
	;; [unrolled: 1-line block ×3, first 2 shown]
	v_mov_b32_e32 v58, s37
	s_add_i32 s37, s34, s13
	v_fma_f64 v[76:77], -v[45:46], v[76:77], v[51:52]
	v_mov_b32_e32 v51, s37
	ds_read2_b64 v[58:61], v58 offset1:1
	ds_read2_b64 v[66:69], v51 offset1:1
	s_waitcnt lgkmcnt(2)
	v_fma_f64 v[19:20], -v[17:18], v[72:73], v[19:20]
	v_fma_f64 v[7:8], -v[15:16], v[64:65], v[7:8]
	;; [unrolled: 1-line block ×3, first 2 shown]
	s_add_i32 s37, s34, s15
	v_mov_b32_e32 v51, s37
	ds_read2_b64 v[72:75], v51 offset1:1
	v_fma_f64 v[55:56], -v[37:38], v[53:54], v[55:56]
	s_add_i32 s37, s35, s30
	s_waitcnt lgkmcnt(1)
	v_fma_f64 v[19:20], -v[21:22], v[68:69], v[19:20]
	v_fma_f64 v[7:8], -v[17:18], v[70:71], v[7:8]
	v_fma_f64 v[80:81], -v[25:26], v[60:61], v[80:81]
	v_mov_b32_e32 v51, s37
	s_add_i32 s37, s34, s17
	ds_read2_b64 v[51:54], v51 offset1:1
	v_mov_b32_e32 v60, s37
	v_fma_f64 v[76:77], -v[43:44], v[62:63], v[76:77]
	s_waitcnt lgkmcnt(1)
	v_fma_f64 v[19:20], -v[23:24], v[74:75], v[19:20]
	v_fma_f64 v[74:75], -v[21:22], v[66:67], v[7:8]
	ds_read2_b64 v[60:63], v60 offset1:1
	s_add_i32 s37, s34, s18
	v_mov_b32_e32 v64, s37
	s_add_i32 s37, s35, s31
	v_mul_f64 v[7:8], v[86:87], v[55:56]
	v_mov_b32_e32 v55, s37
	s_add_i32 s37, s34, s19
	ds_read2_b64 v[68:71], v55 offset1:1
	s_waitcnt lgkmcnt(2)
	v_fma_f64 v[80:81], -v[37:38], v[53:54], v[80:81]
	v_mov_b32_e32 v53, s37
	ds_read2_b64 v[53:56], v53 offset1:1
	s_waitcnt lgkmcnt(2)
	v_fma_f64 v[19:20], -v[27:28], v[62:63], v[19:20]
	v_fma_f64 v[62:63], -v[23:24], v[72:73], v[74:75]
	ds_read2_b64 v[64:67], v64 offset1:1
	s_add_i32 s37, s34, s20
	v_fma_f64 v[72:73], -v[33:34], v[78:79], v[76:77]
	v_mov_b32_e32 v74, s37
	s_add_i32 s37, s34, s21
	s_waitcnt lgkmcnt(2)
	v_fma_f64 v[76:77], -v[7:8], v[70:71], v[80:81]
	s_waitcnt lgkmcnt(0)
	v_fma_f64 v[19:20], -v[29:30], v[66:67], v[19:20]
	v_fma_f64 v[66:67], -v[27:28], v[60:61], v[62:63]
	ds_read2_b64 v[60:63], v74 offset1:1
	v_add_u32_e32 v84, s15, v57
	v_fma_f64 v[58:59], -v[25:26], v[58:59], v[72:73]
	v_fma_f64 v[19:20], -v[31:32], v[55:56], v[19:20]
	v_add_u32_e32 v55, s13, v57
	ds_write_b64 v55, v[21:22]
	v_fma_f64 v[55:56], -v[29:30], v[64:65], v[66:67]
	v_fma_f64 v[78:79], -v[37:38], v[51:52], v[58:59]
	s_waitcnt lgkmcnt(1)
	v_fma_f64 v[19:20], -v[35:36], v[62:63], v[19:20]
	v_mov_b32_e32 v62, s37
	ds_read2_b64 v[62:65], v62 offset1:1
	v_fma_f64 v[66:67], -v[31:32], v[53:54], v[55:56]
	s_add_i32 s37, s34, s23
	v_mov_b32_e32 v70, s37
	ds_read2_b64 v[53:56], v70 offset1:1
	s_add_i32 s37, s8, 0xffffea00
	s_waitcnt lgkmcnt(1)
	v_fma_f64 v[19:20], -v[39:40], v[64:65], v[19:20]
	s_add_i32 s38, s35, s37
	s_add_i32 s35, s34, s24
	v_fma_f64 v[51:52], -v[35:36], v[60:61], v[66:67]
	v_mov_b32_e32 v74, s38
	s_waitcnt lgkmcnt(0)
	v_fma_f64 v[19:20], -v[41:42], v[55:56], v[19:20]
	v_mov_b32_e32 v55, s35
	s_add_i32 s35, s34, s25
	ds_read2_b64 v[58:61], v55 offset1:1
	v_mov_b32_e32 v55, s35
	s_sub_i32 s35, s5, 27
	v_fma_f64 v[51:52], -v[39:40], v[62:63], v[51:52]
	s_lshl_b32 s38, s35, 3
	s_add_i32 s40, s38, s8
	ds_read2_b64 v[62:65], v55 offset1:1
	v_mov_b32_e32 v55, s40
	ds_read2_b64 v[70:73], v55 offset1:1
	s_add_i32 s14, s38, s14
	s_waitcnt lgkmcnt(2)
	v_fma_f64 v[19:20], -v[47:48], v[60:61], v[19:20]
	v_fma_f64 v[55:56], -v[41:42], v[53:54], v[51:52]
	v_mov_b32_e32 v51, s14
	s_waitcnt lgkmcnt(0)
	v_fma_f64 v[3:4], -v[5:6], v[72:73], v[3:4]
	ds_read2_b64 v[51:54], v51 offset1:1
	v_mov_b32_e32 v60, s39
	s_add_i32 s14, s34, s26
	v_fma_f64 v[5:6], -v[5:6], v[70:71], v[1:2]
	ds_read2_b64 v[72:75], v74 offset1:1
	ds_read_b64 v[80:81], v60
	v_fma_f64 v[82:83], -v[47:48], v[58:59], v[55:56]
	v_mov_b32_e32 v60, s14
	s_waitcnt lgkmcnt(2)
	v_fma_f64 v[58:59], -v[9:10], v[53:54], v[3:4]
	s_add_i32 s14, s38, s16
	v_mov_b32_e32 v3, s14
	ds_read2_b64 v[53:56], v3 offset1:1
	s_add_i32 s10, s38, s10
	v_mov_b32_e32 v1, s10
	s_add_i32 s10, s34, s27
	v_fma_f64 v[19:20], -v[49:50], v[64:65], v[19:20]
	v_mov_b32_e32 v64, s10
	v_fma_f64 v[9:10], -v[9:10], v[51:52], v[5:6]
	ds_read2_b64 v[64:67], v64 offset1:1
	s_waitcnt lgkmcnt(1)
	v_fma_f64 v[55:56], -v[11:12], v[55:56], v[58:59]
	ds_read2_b64 v[1:4], v1 offset1:1
	ds_read2_b64 v[58:61], v60 offset1:1
	s_add_i32 s10, s38, s11
	v_fma_f64 v[51:52], -v[49:50], v[62:63], v[82:83]
	ds_write_b64 v84, v[23:24]
	v_fma_f64 v[53:54], -v[11:12], v[53:54], v[9:10]
	s_waitcnt lgkmcnt(1)
	v_fma_f64 v[19:20], -v[45:46], v[60:61], v[19:20]
	v_fma_f64 v[55:56], -v[13:14], v[3:4], v[55:56]
	v_mov_b32_e32 v3, s10
	ds_read2_b64 v[3:6], v3 offset1:1
	s_add_i32 s10, s38, s12
	v_mov_b32_e32 v9, s10
	ds_read2_b64 v[9:12], v9 offset1:1
	v_fma_f64 v[1:2], -v[13:14], v[1:2], v[53:54]
	v_fma_f64 v[62:63], -v[43:44], v[66:67], v[19:20]
	s_waitcnt lgkmcnt(1)
	v_fma_f64 v[5:6], -v[15:16], v[5:6], v[55:56]
	s_add_i32 s10, s34, s28
	v_mov_b32_e32 v53, s10
	s_add_i32 s10, s38, s13
	v_fma_f64 v[51:52], -v[45:46], v[58:59], v[51:52]
	v_mul_f64 v[55:56], v[74:75], v[76:77]
	v_fma_f64 v[19:20], -v[15:16], v[3:4], v[1:2]
	v_fma_f64 v[60:61], -v[7:8], v[68:69], v[78:79]
	s_waitcnt lgkmcnt(0)
	v_fma_f64 v[5:6], -v[17:18], v[11:12], v[5:6]
	v_mov_b32_e32 v11, s10
	ds_read2_b64 v[11:14], v11 offset1:1
	s_add_i32 s10, s38, s15
	v_mov_b32_e32 v1, s10
	ds_read2_b64 v[1:4], v1 offset1:1
	v_fma_f64 v[9:10], -v[17:18], v[9:10], v[19:20]
	s_add_i32 s10, s34, s29
	s_waitcnt lgkmcnt(1)
	v_fma_f64 v[5:6], -v[21:22], v[13:14], v[5:6]
	ds_read2_b64 v[13:16], v53 offset1:1
	v_mov_b32_e32 v53, s10
	ds_read2_b64 v[17:20], v53 offset1:1
	s_add_i32 s10, s38, s17
	v_fma_f64 v[51:52], -v[43:44], v[64:65], v[51:52]
	v_fma_f64 v[21:22], -v[21:22], v[11:12], v[9:10]
	s_waitcnt lgkmcnt(1)
	v_fma_f64 v[15:16], -v[33:34], v[15:16], v[62:63]
	v_fma_f64 v[53:54], -v[23:24], v[3:4], v[5:6]
	v_mov_b32_e32 v3, s10
	ds_read2_b64 v[3:6], v3 offset1:1
	s_add_i32 s10, s38, s18
	v_mov_b32_e32 v9, s10
	ds_read2_b64 v[9:12], v9 offset1:1
	v_fma_f64 v[1:2], -v[23:24], v[1:2], v[21:22]
	s_waitcnt lgkmcnt(2)
	v_fma_f64 v[58:59], -v[25:26], v[19:20], v[15:16]
	s_waitcnt lgkmcnt(1)
	v_fma_f64 v[5:6], -v[27:28], v[5:6], v[53:54]
	s_add_i32 s10, s34, s30
	v_mov_b32_e32 v15, s10
	s_add_i32 s10, s38, s19
	v_fma_f64 v[23:24], -v[33:34], v[13:14], v[51:52]
	v_fma_f64 v[53:54], -v[55:56], v[72:73], v[60:61]
	;; [unrolled: 1-line block ×3, first 2 shown]
	v_add_u32_e32 v60, s17, v57
	s_waitcnt lgkmcnt(0)
	v_fma_f64 v[5:6], -v[29:30], v[11:12], v[5:6]
	v_mov_b32_e32 v11, s10
	ds_read2_b64 v[11:14], v11 offset1:1
	s_add_i32 s10, s38, s20
	v_mov_b32_e32 v1, s10
	ds_read2_b64 v[1:4], v1 offset1:1
	v_fma_f64 v[9:10], -v[29:30], v[9:10], v[19:20]
	s_add_i32 s10, s34, s31
	s_waitcnt lgkmcnt(1)
	v_fma_f64 v[5:6], -v[31:32], v[13:14], v[5:6]
	v_fma_f64 v[17:18], -v[25:26], v[17:18], v[23:24]
	v_mov_b32_e32 v21, s10
	s_add_i32 s10, s38, s21
	ds_read2_b64 v[13:16], v15 offset1:1
	ds_read2_b64 v[19:22], v21 offset1:1
	v_fma_f64 v[51:52], -v[31:32], v[11:12], v[9:10]
	v_mul_f64 v[53:54], v[80:81], v[53:54]
	s_waitcnt lgkmcnt(2)
	v_fma_f64 v[23:24], -v[35:36], v[3:4], v[5:6]
	v_mov_b32_e32 v3, s10
	ds_read2_b64 v[3:6], v3 offset1:1
	s_add_i32 s10, s38, s23
	v_mov_b32_e32 v9, s10
	s_waitcnt lgkmcnt(2)
	v_fma_f64 v[15:16], -v[37:38], v[15:16], v[58:59]
	ds_read2_b64 v[9:12], v9 offset1:1
	v_fma_f64 v[1:2], -v[35:36], v[1:2], v[51:52]
	s_waitcnt lgkmcnt(1)
	v_fma_f64 v[5:6], -v[39:40], v[5:6], v[23:24]
	s_add_i32 s10, s34, s37
	v_fma_f64 v[17:18], -v[37:38], v[13:14], v[17:18]
	ds_write_b64 v60, v[27:28]
	v_fma_f64 v[58:59], -v[7:8], v[21:22], v[15:16]
	v_mov_b32_e32 v15, s10
	v_fma_f64 v[21:22], -v[39:40], v[3:4], v[1:2]
	s_waitcnt lgkmcnt(1)
	v_fma_f64 v[5:6], -v[41:42], v[11:12], v[5:6]
	s_add_i32 s10, s38, s24
	v_mov_b32_e32 v11, s10
	ds_read2_b64 v[11:14], v11 offset1:1
	s_add_i32 s10, s38, s25
	v_mov_b32_e32 v1, s10
	ds_read2_b64 v[1:4], v1 offset1:1
	v_fma_f64 v[9:10], -v[41:42], v[9:10], v[21:22]
	s_waitcnt lgkmcnt(1)
	v_fma_f64 v[5:6], -v[47:48], v[13:14], v[5:6]
	s_add_i32 s10, s34, s36
	v_fma_f64 v[19:20], -v[7:8], v[19:20], v[17:18]
	v_mov_b32_e32 v23, s10
	s_add_i32 s10, s38, s26
	ds_read2_b64 v[13:16], v15 offset1:1
	ds_read2_b64 v[21:24], v23 offset1:1
	v_fma_f64 v[51:52], -v[47:48], v[11:12], v[9:10]
	s_waitcnt lgkmcnt(2)
	v_fma_f64 v[17:18], -v[49:50], v[3:4], v[5:6]
	v_mov_b32_e32 v3, s10
	ds_read2_b64 v[3:6], v3 offset1:1
	s_add_i32 s10, s38, s27
	v_mov_b32_e32 v9, s10
	ds_read2_b64 v[9:12], v9 offset1:1
	s_waitcnt lgkmcnt(3)
	v_fma_f64 v[15:16], -v[55:56], v[15:16], v[58:59]
	v_fma_f64 v[1:2], -v[49:50], v[1:2], v[51:52]
	s_waitcnt lgkmcnt(1)
	v_fma_f64 v[5:6], -v[45:46], v[5:6], v[17:18]
	s_add_i32 s10, s8, 0xffffe800
	s_add_i32 s11, s34, s10
	v_fma_f64 v[19:20], -v[55:56], v[13:14], v[19:20]
	s_addk_i32 s8, 0xe600
	v_fma_f64 v[23:24], -v[53:54], v[23:24], v[15:16]
	v_fma_f64 v[51:52], -v[45:46], v[3:4], v[1:2]
	s_waitcnt lgkmcnt(0)
	v_fma_f64 v[5:6], -v[43:44], v[11:12], v[5:6]
	v_mov_b32_e32 v15, s11
	s_add_i32 s11, s38, s28
	v_mov_b32_e32 v11, s11
	ds_read2_b64 v[11:14], v11 offset1:1
	s_add_i32 s11, s38, s29
	v_mov_b32_e32 v1, s11
	ds_read2_b64 v[1:4], v1 offset1:1
	v_fma_f64 v[9:10], -v[43:44], v[9:10], v[51:52]
	s_waitcnt lgkmcnt(1)
	v_fma_f64 v[5:6], -v[33:34], v[13:14], v[5:6]
	s_mul_i32 s11, s5, 0x108
	s_add_i32 s12, s11, 0xffffe638
	v_mov_b32_e32 v13, s12
	ds_read2_b64 v[15:18], v15 offset1:1
	ds_read_b64 v[51:52], v13
	v_fma_f64 v[13:14], -v[53:54], v[21:22], v[19:20]
	v_fma_f64 v[21:22], -v[33:34], v[11:12], v[9:10]
	s_waitcnt lgkmcnt(2)
	v_fma_f64 v[19:20], -v[25:26], v[3:4], v[5:6]
	s_add_i32 s12, s38, s30
	v_mov_b32_e32 v3, s12
	ds_read2_b64 v[3:6], v3 offset1:1
	s_add_i32 s12, s38, s31
	v_mov_b32_e32 v9, s12
	ds_read2_b64 v[9:12], v9 offset1:1
	v_fma_f64 v[1:2], -v[25:26], v[1:2], v[21:22]
	s_waitcnt lgkmcnt(1)
	v_fma_f64 v[5:6], -v[37:38], v[5:6], v[19:20]
	v_mul_f64 v[17:18], v[17:18], v[23:24]
	v_add_u32_e32 v19, s18, v57
	ds_write_b64 v19, v[29:30]
	v_add_u32_e32 v19, s19, v57
	ds_write_b64 v19, v[31:32]
	s_add_i32 s12, s38, s37
	v_fma_f64 v[19:20], -v[37:38], v[3:4], v[1:2]
	s_waitcnt lgkmcnt(2)
	v_fma_f64 v[5:6], -v[7:8], v[11:12], v[5:6]
	v_mov_b32_e32 v11, s12
	v_fma_f64 v[15:16], -v[17:18], v[15:16], v[13:14]
	ds_read2_b64 v[11:14], v11 offset1:1
	s_add_i32 s12, s38, s36
	v_mov_b32_e32 v1, s12
	ds_read2_b64 v[1:4], v1 offset1:1
	v_fma_f64 v[9:10], -v[7:8], v[9:10], v[19:20]
	s_waitcnt lgkmcnt(1)
	v_fma_f64 v[5:6], -v[55:56], v[13:14], v[5:6]
	v_add_u32_e32 v13, s20, v57
	ds_write_b64 v13, v[35:36]
	v_add_u32_e32 v13, s21, v57
	ds_write_b64 v13, v[39:40]
	v_mul_f64 v[13:14], v[51:52], v[15:16]
	s_add_i32 s12, s38, s10
	v_fma_f64 v[19:20], -v[55:56], v[11:12], v[9:10]
	s_waitcnt lgkmcnt(2)
	v_fma_f64 v[15:16], -v[53:54], v[3:4], v[5:6]
	v_mov_b32_e32 v3, s12
	ds_read2_b64 v[3:6], v3 offset1:1
	s_lshl_b32 s12, s33, 8
	s_add_i32 s13, s38, s12
	v_mov_b32_e32 v9, s13
	ds_read2_b64 v[9:12], v9 offset1:1
	v_fma_f64 v[1:2], -v[53:54], v[1:2], v[19:20]
	s_waitcnt lgkmcnt(1)
	v_fma_f64 v[5:6], -v[17:18], v[5:6], v[15:16]
	s_add_i32 s13, s38, s8
	v_add_u32_e32 v15, s24, v57
	ds_write_b64 v15, v[47:48]
	v_add_u32_e32 v15, s25, v57
	ds_write_b64 v15, v[49:50]
	v_add_u32_e32 v15, s26, v57
	s_addk_i32 s11, 0xe428
	s_waitcnt lgkmcnt(2)
	v_fma_f64 v[5:6], -v[13:14], v[11:12], v[5:6]
	v_fma_f64 v[11:12], -v[17:18], v[3:4], v[1:2]
	v_mov_b32_e32 v1, s13
	ds_read2_b64 v[1:4], v1 offset1:1
	ds_write_b64 v15, v[45:46]
	v_mov_b32_e32 v15, s11
	ds_read_b64 v[15:16], v15
	v_add_u32_e32 v21, s23, v57
	s_waitcnt lgkmcnt(2)
	v_mul_f64 v[3:4], v[3:4], v[5:6]
	v_fma_f64 v[5:6], -v[13:14], v[9:10], v[11:12]
	v_add_u32_e32 v9, s27, v57
	ds_write_b64 v9, v[43:44]
	v_add_u32_e32 v9, s28, v57
	ds_write_b64 v9, v[33:34]
	;; [unrolled: 2-line block ×3, first 2 shown]
	v_add_u32_e32 v9, s30, v57
	v_fma_f64 v[1:2], -v[3:4], v[1:2], v[5:6]
	v_add_u32_e32 v5, s31, v57
	ds_write_b64 v5, v[7:8]
	v_add_u32_e32 v5, s37, v57
	ds_write_b64 v5, v[55:56]
	;; [unrolled: 2-line block ×3, first 2 shown]
	v_add_u32_e32 v5, s10, v57
	s_waitcnt lgkmcnt(6)
	v_mul_f64 v[1:2], v[15:16], v[1:2]
	ds_write_b64 v5, v[17:18]
	v_add_u32_e32 v5, s12, v57
	ds_write_b64 v5, v[13:14]
	v_add_u32_e32 v5, s8, v57
	ds_write_b64 v5, v[3:4]
	v_lshl_add_u32 v3, s35, 8, v57
	s_sub_i32 s5, s5, 28
	ds_write_b64 v21, v[41:42]
	ds_write_b64 v9, v[37:38]
	ds_write_b64 v3, v[1:2]
.LBB102_33:
	s_cmp_lt_i32 s5, 0
	s_cbranch_scc1 .LBB102_50
; %bb.34:
	s_and_b32 s8, s5, 3
	s_cmp_eq_u32 s8, 3
	s_mov_b32 s8, s5
	s_cbranch_scc1 .LBB102_39
; %bb.35:
	s_add_i32 s8, s5, 1
	s_and_b32 s10, s8, 3
	s_lshl_b32 s8, s22, 8
	s_lshl_b32 s11, s5, 3
	s_add_i32 s11, s8, s11
	v_lshl_or_b32 v1, v0, 3, s8
	s_addk_i32 s11, 0xff00
	v_add_u32_e32 v3, 0x1f00, v1
	s_mov_b32 s12, 0
	s_mov_b32 s8, s5
	s_branch .LBB102_37
.LBB102_36:                             ;   in Loop: Header=BB102_37 Depth=1
	s_mul_i32 s13, s8, 0x108
	v_mov_b32_e32 v5, s13
	ds_read_b64 v[5:6], v5
	s_add_i32 s8, s8, -1
	s_add_i32 s12, s12, 1
	s_add_i32 s11, s11, -8
	s_cmp_lg_u32 s12, s10
	s_waitcnt lgkmcnt(0)
	v_mul_f64 v[1:2], v[5:6], v[1:2]
	ds_write_b64 v4, v[1:2]
	s_cbranch_scc0 .LBB102_39
.LBB102_37:                             ; =>This Loop Header: Depth=1
                                        ;     Child Loop BB102_38 Depth 2
	s_lshl_b32 s13, s8, 8
	v_add_u32_e32 v4, s13, v57
	ds_read_b64 v[1:2], v4
	s_cmp_le_i32 s4, s8
	v_mov_b32_e32 v5, v3
	s_mov_b32 s13, s11
	s_mov_b32 s14, s4
	s_cbranch_scc1 .LBB102_36
.LBB102_38:                             ;   Parent Loop BB102_37 Depth=1
                                        ; =>  This Inner Loop Header: Depth=2
	v_mov_b32_e32 v8, s13
	ds_read_b64 v[6:7], v5
	ds_read_b64 v[8:9], v8
	s_add_i32 s14, s14, -1
	s_addk_i32 s13, 0xff00
	s_cmp_gt_i32 s14, s8
	v_add_u32_e32 v5, 0xffffff00, v5
	s_waitcnt lgkmcnt(0)
	v_fma_f64 v[1:2], -v[6:7], v[8:9], v[1:2]
	s_cbranch_scc1 .LBB102_38
	s_branch .LBB102_36
.LBB102_39:
	s_cmp_lt_u32 s5, 3
	s_cbranch_scc1 .LBB102_50
; %bb.40:
	s_lshl_b32 s10, s22, 8
	s_lshl_b32 s5, s8, 3
	s_add_i32 s12, s10, s5
	v_lshl_or_b32 v1, v0, 3, s10
	s_add_i32 s5, s12, 0xffffff00
	v_add_u32_e32 v5, 0x1f00, v1
	s_add_i32 s10, s12, 0xfffffef8
	s_add_i32 s11, s12, 0xfffffef0
	s_addk_i32 s12, 0xfee8
	s_branch .LBB102_42
.LBB102_41:                             ;   in Loop: Header=BB102_42 Depth=1
	s_addk_i32 s13, 0xfef8
	v_mov_b32_e32 v3, s13
	ds_read_b64 v[3:4], v3
	s_add_i32 s13, s8, -4
	s_sub_i32 s5, s5, 32
	s_sub_i32 s10, s10, 32
	s_sub_i32 s11, s11, 32
	s_waitcnt lgkmcnt(0)
	v_mul_f64 v[1:2], v[3:4], v[1:2]
	s_sub_i32 s12, s12, 32
	s_cmp_lt_i32 s8, 4
	s_mov_b32 s8, s13
	ds_write_b64 v6, v[1:2]
	s_cbranch_scc1 .LBB102_50
.LBB102_42:                             ; =>This Loop Header: Depth=1
                                        ;     Child Loop BB102_43 Depth 2
                                        ;     Child Loop BB102_45 Depth 2
                                        ;     Child Loop BB102_47 Depth 2
                                        ;     Child Loop BB102_49 Depth 2
	s_lshl_b32 s14, s8, 8
	v_add_u32_e32 v7, s14, v57
	ds_read_b64 v[3:4], v7
	s_cmp_le_i32 s4, s8
	v_mov_b32_e32 v1, v5
	s_mov_b32 s13, s5
	s_mov_b32 s15, s4
	s_cbranch_scc1 .LBB102_44
.LBB102_43:                             ;   Parent Loop BB102_42 Depth=1
                                        ; =>  This Inner Loop Header: Depth=2
	v_mov_b32_e32 v2, s13
	ds_read_b64 v[8:9], v1
	ds_read_b64 v[10:11], v2
	s_add_i32 s15, s15, -1
	s_addk_i32 s13, 0xff00
	s_cmp_gt_i32 s15, s8
	v_add_u32_e32 v1, 0xffffff00, v1
	s_waitcnt lgkmcnt(0)
	v_fma_f64 v[3:4], -v[8:9], v[10:11], v[3:4]
	s_cbranch_scc1 .LBB102_43
.LBB102_44:                             ;   in Loop: Header=BB102_42 Depth=1
	s_mul_i32 s13, s8, 0x108
	v_mov_b32_e32 v1, s13
	ds_read_b64 v[8:9], v1
	s_addk_i32 s14, 0xff00
	v_add_u32_e32 v6, s14, v57
	ds_read_b64 v[1:2], v6
	s_mov_b32 s14, s10
	s_waitcnt lgkmcnt(1)
	v_mul_f64 v[8:9], v[8:9], v[3:4]
	v_mov_b32_e32 v3, v5
	s_cmp_le_i32 s22, s8
	s_mov_b32 s15, s22
	ds_write_b64 v7, v[8:9]
	s_cbranch_scc1 .LBB102_46
.LBB102_45:                             ;   Parent Loop BB102_42 Depth=1
                                        ; =>  This Inner Loop Header: Depth=2
	v_mov_b32_e32 v4, s14
	ds_read_b64 v[7:8], v3
	ds_read_b64 v[9:10], v4
	s_add_i32 s15, s15, -1
	s_addk_i32 s14, 0xff00
	s_cmp_gt_i32 s15, s8
	v_add_u32_e32 v3, 0xffffff00, v3
	s_waitcnt lgkmcnt(0)
	v_fma_f64 v[1:2], -v[7:8], v[9:10], v[1:2]
	s_cbranch_scc1 .LBB102_45
.LBB102_46:                             ;   in Loop: Header=BB102_42 Depth=1
	s_addk_i32 s13, 0xfef8
	v_mov_b32_e32 v3, s13
	ds_read_b64 v[8:9], v3
	s_add_i32 s14, s8, -2
	s_lshl_b32 s15, s14, 8
	v_add_u32_e32 v7, s15, v57
	ds_read_b64 v[3:4], v7
	s_waitcnt lgkmcnt(1)
	v_mul_f64 v[8:9], v[8:9], v[1:2]
	v_mov_b32_e32 v1, v5
	s_mov_b32 s15, s11
	s_cmp_le_i32 s4, s14
	s_mov_b32 s16, s4
	ds_write_b64 v6, v[8:9]
	s_cbranch_scc1 .LBB102_48
.LBB102_47:                             ;   Parent Loop BB102_42 Depth=1
                                        ; =>  This Inner Loop Header: Depth=2
	v_mov_b32_e32 v2, s15
	ds_read_b64 v[8:9], v1
	ds_read_b64 v[10:11], v2
	s_add_i32 s16, s16, -1
	s_addk_i32 s15, 0xff00
	s_cmp_gt_i32 s16, s14
	v_add_u32_e32 v1, 0xffffff00, v1
	s_waitcnt lgkmcnt(0)
	v_fma_f64 v[3:4], -v[8:9], v[10:11], v[3:4]
	s_cbranch_scc1 .LBB102_47
.LBB102_48:                             ;   in Loop: Header=BB102_42 Depth=1
	s_addk_i32 s13, 0xfef8
	v_mov_b32_e32 v1, s13
	ds_read_b64 v[8:9], v1
	s_add_i32 s14, s8, -3
	s_lshl_b32 s15, s14, 8
	v_add_u32_e32 v6, s15, v57
	ds_read_b64 v[1:2], v6
	s_waitcnt lgkmcnt(1)
	v_mul_f64 v[8:9], v[8:9], v[3:4]
	v_mov_b32_e32 v3, v5
	s_mov_b32 s15, s12
	s_cmp_le_i32 s4, s14
	s_mov_b32 s16, s4
	ds_write_b64 v7, v[8:9]
	s_cbranch_scc1 .LBB102_41
.LBB102_49:                             ;   Parent Loop BB102_42 Depth=1
                                        ; =>  This Inner Loop Header: Depth=2
	v_mov_b32_e32 v4, s15
	ds_read_b64 v[7:8], v3
	ds_read_b64 v[9:10], v4
	s_add_i32 s16, s16, -1
	s_addk_i32 s15, 0xff00
	s_cmp_gt_i32 s16, s14
	v_add_u32_e32 v3, 0xffffff00, v3
	s_waitcnt lgkmcnt(0)
	v_fma_f64 v[1:2], -v[7:8], v[9:10], v[1:2]
	s_cbranch_scc1 .LBB102_49
	s_branch .LBB102_41
.LBB102_50:
	s_waitcnt lgkmcnt(0)
	; wave barrier
	s_and_saveexec_b64 s[4:5], s[0:1]
	s_cbranch_execz .LBB102_54
; %bb.51:
	s_andn2_b64 vcc, exec, s[2:3]
	s_cbranch_vccnz .LBB102_54
; %bb.52:
	v_mad_i64_i32 v[1:2], s[0:1], s9, v0, 0
	v_mov_b32_e32 v3, s7
	v_lshlrev_b64 v[1:2], 3, v[1:2]
	v_add_co_u32_e32 v1, vcc, s6, v1
	v_addc_co_u32_e32 v2, vcc, v3, v2, vcc
	v_mov_b32_e32 v3, 0x2000
	v_lshl_or_b32 v0, v0, 3, v3
.LBB102_53:                             ; =>This Inner Loop Header: Depth=1
	ds_read_b64 v[3:4], v0
	s_add_i32 s22, s22, -1
	v_add_u32_e32 v0, 0x100, v0
	s_cmp_lg_u32 s22, 0
	s_waitcnt lgkmcnt(0)
	global_store_dwordx2 v[1:2], v[3:4], off
	v_add_co_u32_e32 v1, vcc, 8, v1
	v_addc_co_u32_e32 v2, vcc, 0, v2, vcc
	s_cbranch_scc1 .LBB102_53
.LBB102_54:
	s_endpgm
	.section	.rodata,"a",@progbits
	.p2align	6, 0x0
	.amdhsa_kernel _ZL38rocblas_trsm_small_left_device_sharedBILi32ELi32ELb0EddPKdPdEv13rocblas_fill_18rocblas_operation_17rocblas_diagonal_iiT3_T4_lilT5_lili
		.amdhsa_group_segment_fixed_size 16384
		.amdhsa_private_segment_fixed_size 0
		.amdhsa_kernarg_size 360
		.amdhsa_user_sgpr_count 6
		.amdhsa_user_sgpr_private_segment_buffer 1
		.amdhsa_user_sgpr_dispatch_ptr 0
		.amdhsa_user_sgpr_queue_ptr 0
		.amdhsa_user_sgpr_kernarg_segment_ptr 1
		.amdhsa_user_sgpr_dispatch_id 0
		.amdhsa_user_sgpr_flat_scratch_init 0
		.amdhsa_user_sgpr_private_segment_size 0
		.amdhsa_uses_dynamic_stack 0
		.amdhsa_system_sgpr_private_segment_wavefront_offset 0
		.amdhsa_system_sgpr_workgroup_id_x 1
		.amdhsa_system_sgpr_workgroup_id_y 0
		.amdhsa_system_sgpr_workgroup_id_z 1
		.amdhsa_system_sgpr_workgroup_info 0
		.amdhsa_system_vgpr_workitem_id 0
		.amdhsa_next_free_vgpr 200
		.amdhsa_next_free_sgpr 98
		.amdhsa_reserve_vcc 1
		.amdhsa_reserve_flat_scratch 0
		.amdhsa_float_round_mode_32 0
		.amdhsa_float_round_mode_16_64 0
		.amdhsa_float_denorm_mode_32 3
		.amdhsa_float_denorm_mode_16_64 3
		.amdhsa_dx10_clamp 1
		.amdhsa_ieee_mode 1
		.amdhsa_fp16_overflow 0
		.amdhsa_exception_fp_ieee_invalid_op 0
		.amdhsa_exception_fp_denorm_src 0
		.amdhsa_exception_fp_ieee_div_zero 0
		.amdhsa_exception_fp_ieee_overflow 0
		.amdhsa_exception_fp_ieee_underflow 0
		.amdhsa_exception_fp_ieee_inexact 0
		.amdhsa_exception_int_div_zero 0
	.end_amdhsa_kernel
	.section	.text._ZL38rocblas_trsm_small_left_device_sharedBILi32ELi32ELb0EddPKdPdEv13rocblas_fill_18rocblas_operation_17rocblas_diagonal_iiT3_T4_lilT5_lili,"axG",@progbits,_ZL38rocblas_trsm_small_left_device_sharedBILi32ELi32ELb0EddPKdPdEv13rocblas_fill_18rocblas_operation_17rocblas_diagonal_iiT3_T4_lilT5_lili,comdat
.Lfunc_end102:
	.size	_ZL38rocblas_trsm_small_left_device_sharedBILi32ELi32ELb0EddPKdPdEv13rocblas_fill_18rocblas_operation_17rocblas_diagonal_iiT3_T4_lilT5_lili, .Lfunc_end102-_ZL38rocblas_trsm_small_left_device_sharedBILi32ELi32ELb0EddPKdPdEv13rocblas_fill_18rocblas_operation_17rocblas_diagonal_iiT3_T4_lilT5_lili
                                        ; -- End function
	.set _ZL38rocblas_trsm_small_left_device_sharedBILi32ELi32ELb0EddPKdPdEv13rocblas_fill_18rocblas_operation_17rocblas_diagonal_iiT3_T4_lilT5_lili.num_vgpr, 200
	.set _ZL38rocblas_trsm_small_left_device_sharedBILi32ELi32ELb0EddPKdPdEv13rocblas_fill_18rocblas_operation_17rocblas_diagonal_iiT3_T4_lilT5_lili.num_agpr, 0
	.set _ZL38rocblas_trsm_small_left_device_sharedBILi32ELi32ELb0EddPKdPdEv13rocblas_fill_18rocblas_operation_17rocblas_diagonal_iiT3_T4_lilT5_lili.numbered_sgpr, 41
	.set _ZL38rocblas_trsm_small_left_device_sharedBILi32ELi32ELb0EddPKdPdEv13rocblas_fill_18rocblas_operation_17rocblas_diagonal_iiT3_T4_lilT5_lili.num_named_barrier, 0
	.set _ZL38rocblas_trsm_small_left_device_sharedBILi32ELi32ELb0EddPKdPdEv13rocblas_fill_18rocblas_operation_17rocblas_diagonal_iiT3_T4_lilT5_lili.private_seg_size, 0
	.set _ZL38rocblas_trsm_small_left_device_sharedBILi32ELi32ELb0EddPKdPdEv13rocblas_fill_18rocblas_operation_17rocblas_diagonal_iiT3_T4_lilT5_lili.uses_vcc, 1
	.set _ZL38rocblas_trsm_small_left_device_sharedBILi32ELi32ELb0EddPKdPdEv13rocblas_fill_18rocblas_operation_17rocblas_diagonal_iiT3_T4_lilT5_lili.uses_flat_scratch, 0
	.set _ZL38rocblas_trsm_small_left_device_sharedBILi32ELi32ELb0EddPKdPdEv13rocblas_fill_18rocblas_operation_17rocblas_diagonal_iiT3_T4_lilT5_lili.has_dyn_sized_stack, 0
	.set _ZL38rocblas_trsm_small_left_device_sharedBILi32ELi32ELb0EddPKdPdEv13rocblas_fill_18rocblas_operation_17rocblas_diagonal_iiT3_T4_lilT5_lili.has_recursion, 0
	.set _ZL38rocblas_trsm_small_left_device_sharedBILi32ELi32ELb0EddPKdPdEv13rocblas_fill_18rocblas_operation_17rocblas_diagonal_iiT3_T4_lilT5_lili.has_indirect_call, 0
	.section	.AMDGPU.csdata,"",@progbits
; Kernel info:
; codeLenInByte = 31692
; TotalNumSgprs: 45
; NumVgprs: 200
; ScratchSize: 0
; MemoryBound: 0
; FloatMode: 240
; IeeeMode: 1
; LDSByteSize: 16384 bytes/workgroup (compile time only)
; SGPRBlocks: 12
; VGPRBlocks: 49
; NumSGPRsForWavesPerEU: 102
; NumVGPRsForWavesPerEU: 200
; Occupancy: 1
; WaveLimiterHint : 0
; COMPUTE_PGM_RSRC2:SCRATCH_EN: 0
; COMPUTE_PGM_RSRC2:USER_SGPR: 6
; COMPUTE_PGM_RSRC2:TRAP_HANDLER: 0
; COMPUTE_PGM_RSRC2:TGID_X_EN: 1
; COMPUTE_PGM_RSRC2:TGID_Y_EN: 0
; COMPUTE_PGM_RSRC2:TGID_Z_EN: 1
; COMPUTE_PGM_RSRC2:TIDIG_COMP_CNT: 0
	.section	.text._ZL30rocblas_trsm_small_left_deviceILi32ELi32ELb0EddPKdPdEv13rocblas_fill_18rocblas_operation_17rocblas_diagonal_iiT3_T4_lilT5_lili,"axG",@progbits,_ZL30rocblas_trsm_small_left_deviceILi32ELi32ELb0EddPKdPdEv13rocblas_fill_18rocblas_operation_17rocblas_diagonal_iiT3_T4_lilT5_lili,comdat
	.globl	_ZL30rocblas_trsm_small_left_deviceILi32ELi32ELb0EddPKdPdEv13rocblas_fill_18rocblas_operation_17rocblas_diagonal_iiT3_T4_lilT5_lili ; -- Begin function _ZL30rocblas_trsm_small_left_deviceILi32ELi32ELb0EddPKdPdEv13rocblas_fill_18rocblas_operation_17rocblas_diagonal_iiT3_T4_lilT5_lili
	.p2align	8
	.type	_ZL30rocblas_trsm_small_left_deviceILi32ELi32ELb0EddPKdPdEv13rocblas_fill_18rocblas_operation_17rocblas_diagonal_iiT3_T4_lilT5_lili,@function
_ZL30rocblas_trsm_small_left_deviceILi32ELi32ELb0EddPKdPdEv13rocblas_fill_18rocblas_operation_17rocblas_diagonal_iiT3_T4_lilT5_lili: ; @_ZL30rocblas_trsm_small_left_deviceILi32ELi32ELb0EddPKdPdEv13rocblas_fill_18rocblas_operation_17rocblas_diagonal_iiT3_T4_lilT5_lili
; %bb.0:
	s_load_dwordx4 s[8:11], s[4:5], 0x4
	s_load_dwordx4 s[0:3], s[4:5], 0x18
	s_load_dwordx2 s[20:21], s[4:5], 0x28
	s_load_dwordx4 s[12:15], s[4:5], 0x38
	s_load_dwordx2 s[16:17], s[4:5], 0x48
	s_waitcnt lgkmcnt(0)
	s_min_i32 s22, s10, 32
	v_cmp_gt_i32_e32 vcc, s22, v0
	s_and_saveexec_b64 s[18:19], vcc
	s_cbranch_execz .LBB103_6
; %bb.1:
	s_load_dword s24, s[4:5], 0x30
	s_mul_i32 s13, s13, s7
	s_mul_hi_u32 s23, s12, s7
	s_mul_i32 s12, s12, s7
	s_add_i32 s13, s23, s13
	s_waitcnt lgkmcnt(0)
	s_ashr_i32 s25, s24, 31
	s_lshl_b64 s[12:13], s[12:13], 3
	s_add_u32 s12, s2, s12
	s_addc_u32 s13, s3, s13
	s_lshl_b64 s[2:3], s[20:21], 3
	s_add_u32 s2, s12, s2
	s_addc_u32 s3, s13, s3
	v_lshlrev_b32_e32 v3, 3, v0
	v_mov_b32_e32 v2, s3
	v_add_co_u32_e32 v1, vcc, s2, v3
	s_lshl_b64 s[2:3], s[24:25], 3
	v_addc_co_u32_e32 v2, vcc, 0, v2, vcc
	v_mov_b32_e32 v4, s3
	v_mov_b32_e32 v5, v3
	s_mov_b32 s3, s22
.LBB103_2:                              ; =>This Inner Loop Header: Depth=1
	global_load_dwordx2 v[6:7], v[1:2], off
	v_add_co_u32_e32 v1, vcc, s2, v1
	s_add_i32 s3, s3, -1
	v_addc_co_u32_e32 v2, vcc, v2, v4, vcc
	s_cmp_eq_u32 s3, 0
	s_waitcnt vmcnt(0)
	ds_write_b64 v5, v[6:7]
	v_add_u32_e32 v5, 0x100, v5
	s_cbranch_scc0 .LBB103_2
; %bb.3:
	v_lshlrev_b32_e32 v4, 8, v0
	v_mov_b32_e32 v1, 0
	s_cmpk_lg_i32 s9, 0x84
	v_mov_b32_e32 v2, 0x3ff00000
	v_add_u32_e32 v3, v3, v4
	s_cbranch_scc0 .LBB103_5
; %bb.4:
	ds_read_b64 v[1:2], v3
	s_waitcnt lgkmcnt(0)
	v_div_scale_f64 v[4:5], s[2:3], v[1:2], v[1:2], 1.0
	v_div_scale_f64 v[10:11], vcc, 1.0, v[1:2], 1.0
	v_rcp_f64_e32 v[6:7], v[4:5]
	v_fma_f64 v[8:9], -v[4:5], v[6:7], 1.0
	v_fma_f64 v[6:7], v[6:7], v[8:9], v[6:7]
	v_fma_f64 v[8:9], -v[4:5], v[6:7], 1.0
	v_fma_f64 v[6:7], v[6:7], v[8:9], v[6:7]
	v_mul_f64 v[8:9], v[10:11], v[6:7]
	v_fma_f64 v[4:5], -v[4:5], v[8:9], v[10:11]
	v_div_fmas_f64 v[4:5], v[4:5], v[6:7], v[8:9]
	v_div_fixup_f64 v[1:2], v[4:5], v[1:2], 1.0
.LBB103_5:
	ds_write_b64 v3, v[1:2]
.LBB103_6:
	s_or_b64 exec, exec, s[18:19]
	s_load_dword s2, s[4:5], 0x68
	s_waitcnt lgkmcnt(0)
	; wave barrier
	s_add_i32 s3, s2, -1
	s_lshl_b32 s2, s6, 5
	s_sub_i32 s9, s11, s2
	s_cmp_ge_u32 s6, s3
	s_cselect_b32 s3, s9, 32
	v_cmp_gt_i32_e32 vcc, s3, v0
	s_and_saveexec_b64 s[12:13], vcc
	s_cbranch_execz .LBB103_51
; %bb.7:
	s_load_dwordx2 s[12:13], s[4:5], 0x58
	s_load_dword s6, s[4:5], 0x50
	v_add_u32_e32 v0, s2, v0
	s_waitcnt lgkmcnt(0)
	s_mul_i32 s3, s13, s7
	s_mul_hi_u32 s4, s12, s7
	s_mul_i32 s2, s12, s7
	s_add_i32 s3, s4, s3
	s_lshl_b64 s[2:3], s[2:3], 3
	s_add_u32 s4, s14, s2
	s_addc_u32 s5, s15, s3
	v_mad_i64_i32 v[0:1], s[2:3], s6, v0, 0
	s_lshl_b64 s[2:3], s[16:17], 3
	s_add_u32 s2, s4, s2
	v_lshlrev_b64 v[0:1], 3, v[0:1]
	s_addc_u32 s3, s5, s3
	v_mov_b32_e32 v2, s3
	v_add_co_u32_e32 v64, vcc, s2, v0
	v_addc_co_u32_e32 v65, vcc, v2, v1, vcc
	s_cmpk_eq_i32 s8, 0x6f
	s_mov_b64 s[2:3], -1
	s_cbranch_scc1 .LBB103_25
; %bb.8:
	s_cmp_lt_i32 s10, 32
	s_cselect_b64 s[2:3], -1, 0
	s_cmp_gt_i32 s10, 31
	s_mov_b32 s4, 0
	s_cbranch_scc0 .LBB103_10
; %bb.9:
	global_load_dwordx4 v[0:3], v[64:65], off
	global_load_dwordx4 v[12:15], v[64:65], off offset:16
	global_load_dwordx4 v[4:7], v[64:65], off offset:32
	global_load_dwordx4 v[8:11], v[64:65], off offset:48
	global_load_dwordx4 v[16:19], v[64:65], off offset:64
	global_load_dwordx4 v[42:45], v[64:65], off offset:80
	v_mov_b32_e32 v66, 0
	ds_read2_b64 v[20:23], v66 offset1:66
	ds_read_b128 v[24:27], v66 offset:256
	ds_read_b128 v[30:33], v66 offset:512
	;; [unrolled: 1-line block ×3, first 2 shown]
	global_load_dwordx4 v[50:53], v[64:65], off offset:112
	global_load_dwordx4 v[54:57], v[64:65], off offset:96
	s_movk_i32 s4, 0x800
	v_add_u32_e64 v111, s4, 0
	s_movk_i32 s4, 0x1000
	s_waitcnt vmcnt(7)
	v_mul_f64 v[0:1], s[0:1], v[0:1]
	s_waitcnt lgkmcnt(3)
	v_mul_f64 v[0:1], v[20:21], v[0:1]
	s_waitcnt lgkmcnt(2)
	;; [unrolled: 2-line block ×3, first 2 shown]
	v_mul_f64 v[24:25], v[0:1], v[30:31]
	v_fma_f64 v[2:3], s[0:1], v[2:3], -v[20:21]
	s_waitcnt lgkmcnt(0)
	v_mul_f64 v[20:21], v[0:1], v[46:47]
	s_waitcnt vmcnt(6)
	v_fma_f64 v[12:13], s[0:1], v[12:13], -v[24:25]
	v_mul_f64 v[2:3], v[26:27], v[2:3]
	ds_read_b128 v[24:27], v66 offset:1024
	v_fma_f64 v[20:21], s[0:1], v[14:15], -v[20:21]
	global_load_dwordx4 v[34:37], v[64:65], off offset:176
	global_load_dwordx4 v[28:31], v[64:65], off offset:160
	;; [unrolled: 1-line block ×3, first 2 shown]
	ds_read_b128 v[67:70], v66 offset:1280
	global_load_dwordx4 v[71:74], v[64:65], off offset:128
	global_load_dwordx4 v[38:41], v[64:65], off offset:192
	s_waitcnt lgkmcnt(1)
	v_mul_f64 v[24:25], v[0:1], v[24:25]
	v_fma_f64 v[32:33], -v[2:3], v[32:33], v[12:13]
	s_waitcnt lgkmcnt(0)
	v_mul_f64 v[62:63], v[0:1], v[67:68]
	v_fma_f64 v[67:68], -v[2:3], v[48:49], v[20:21]
	ds_read_b128 v[12:15], v66 offset:784
	s_waitcnt vmcnt(10)
	v_fma_f64 v[24:25], s[0:1], v[4:5], -v[24:25]
	v_mul_f64 v[4:5], v[22:23], v[32:33]
	v_fma_f64 v[6:7], s[0:1], v[6:7], -v[62:63]
	ds_read_b128 v[20:23], v66 offset:1040
	ds_read2_b64 v[46:49], v66 offset0:132 offset1:198
	ds_read_b128 v[75:78], v66 offset:1296
	ds_read_b128 v[79:82], v66 offset:1312
	ds_read_b128 v[83:86], v66 offset:1536
	v_fma_f64 v[32:33], -v[2:3], v[26:27], v[24:25]
	ds_read_b128 v[24:27], v66 offset:1552
	ds_read_b128 v[87:90], v66 offset:1568
	;; [unrolled: 1-line block ×3, first 2 shown]
	s_waitcnt lgkmcnt(8)
	v_fma_f64 v[12:13], -v[4:5], v[12:13], v[67:68]
	s_waitcnt lgkmcnt(3)
	v_mul_f64 v[62:63], v[0:1], v[83:84]
	v_fma_f64 v[83:84], -v[2:3], v[69:70], v[6:7]
	ds_read_b128 v[95:98], v66 offset:1808
	v_fma_f64 v[20:21], -v[4:5], v[20:21], v[32:33]
	s_waitcnt lgkmcnt(1)
	v_mul_f64 v[32:33], v[0:1], v[91:92]
	v_mul_f64 v[6:7], v[14:15], v[12:13]
	ds_read_b128 v[12:15], v66 offset:1824
	ds_read_b128 v[67:70], v66 offset:1840
	;; [unrolled: 1-line block ×3, first 2 shown]
	s_waitcnt vmcnt(9)
	v_fma_f64 v[8:9], s[0:1], v[8:9], -v[62:63]
	v_fma_f64 v[62:63], -v[4:5], v[75:76], v[83:84]
	ds_read_b128 v[103:106], v66 offset:2304
	s_waitcnt lgkmcnt(1)
	v_mul_f64 v[91:92], v[0:1], v[99:100]
	v_fma_f64 v[10:11], s[0:1], v[10:11], -v[32:33]
	v_fma_f64 v[75:76], -v[6:7], v[22:23], v[20:21]
	s_waitcnt lgkmcnt(0)
	v_mul_f64 v[99:100], v[0:1], v[103:104]
	v_fma_f64 v[103:104], -v[2:3], v[85:86], v[8:9]
	v_fma_f64 v[32:33], -v[6:7], v[77:78], v[62:63]
	ds_read_b128 v[20:23], v66 offset:2064
	ds_read_b128 v[83:86], v66 offset:2080
	v_fma_f64 v[10:11], -v[2:3], v[93:94], v[10:11]
	v_mul_f64 v[8:9], v[46:47], v[75:76]
	s_waitcnt vmcnt(8)
	v_fma_f64 v[46:47], s[0:1], v[16:17], -v[91:92]
	v_fma_f64 v[62:63], s[0:1], v[18:19], -v[99:100]
	v_fma_f64 v[24:25], -v[4:5], v[24:25], v[103:104]
	ds_read_b128 v[75:78], v66 offset:2096
	ds_read_b128 v[107:110], v66 offset:2560
	;; [unrolled: 1-line block ×4, first 2 shown]
	v_fma_f64 v[95:96], -v[4:5], v[95:96], v[10:11]
	v_fma_f64 v[32:33], -v[8:9], v[79:80], v[32:33]
	v_fma_f64 v[46:47], -v[2:3], v[101:102], v[46:47]
	v_fma_f64 v[62:63], -v[2:3], v[105:106], v[62:63]
	s_waitcnt lgkmcnt(2)
	v_mul_f64 v[99:100], v[0:1], v[107:108]
	v_fma_f64 v[103:104], -v[6:7], v[26:27], v[24:25]
	ds_read_b128 v[24:27], v66 offset:2336
	v_mul_f64 v[10:11], v[81:82], v[32:33]
	v_fma_f64 v[20:21], -v[4:5], v[20:21], v[46:47]
	v_fma_f64 v[46:47], -v[6:7], v[97:98], v[95:96]
	s_waitcnt lgkmcnt(2)
	v_fma_f64 v[16:17], -v[4:5], v[16:17], v[62:63]
	v_fma_f64 v[87:88], -v[8:9], v[87:88], v[103:104]
	ds_read_b128 v[95:98], v66 offset:3072
	ds_read_b128 v[79:82], v66 offset:2352
	;; [unrolled: 1-line block ×3, first 2 shown]
	v_fma_f64 v[62:63], -v[6:7], v[22:23], v[20:21]
	v_fma_f64 v[12:13], -v[8:9], v[12:13], v[46:47]
	;; [unrolled: 1-line block ×4, first 2 shown]
	ds_read_b128 v[20:23], v66 offset:3328
	v_fma_f64 v[62:63], -v[8:9], v[83:84], v[62:63]
	v_fma_f64 v[83:84], -v[10:11], v[14:15], v[12:13]
	ds_read_b128 v[14:17], v66 offset:2592
	s_waitcnt lgkmcnt(6)
	v_mul_f64 v[32:33], v[0:1], v[91:92]
	s_waitcnt vmcnt(7)
	v_fma_f64 v[91:92], s[0:1], v[42:43], -v[99:100]
	v_mul_f64 v[12:13], v[48:49], v[46:47]
	s_waitcnt lgkmcnt(1)
	v_mul_f64 v[46:47], v[0:1], v[20:21]
	ds_read_b128 v[99:102], v66 offset:2832
	v_fma_f64 v[24:25], -v[8:9], v[24:25], v[18:19]
	v_fma_f64 v[62:63], -v[10:11], v[85:86], v[62:63]
	ds_read_b128 v[18:21], v66 offset:2848
	v_fma_f64 v[32:33], s[0:1], v[44:45], -v[32:33]
	ds_read_b128 v[42:45], v66 offset:3088
	v_fma_f64 v[91:92], -v[2:3], v[109:110], v[91:92]
	v_mul_f64 v[87:88], v[0:1], v[95:96]
	v_fma_f64 v[67:68], -v[12:13], v[67:68], v[83:84]
	s_waitcnt vmcnt(5)
	v_fma_f64 v[56:57], s[0:1], v[56:57], -v[46:47]
	v_fma_f64 v[85:86], -v[10:11], v[26:27], v[24:25]
	v_fma_f64 v[62:63], -v[12:13], v[75:76], v[62:63]
	v_fma_f64 v[32:33], -v[2:3], v[93:94], v[32:33]
	v_fma_f64 v[89:90], -v[4:5], v[103:104], v[91:92]
	v_fma_f64 v[48:49], s[0:1], v[54:55], -v[87:88]
	v_fma_f64 v[22:23], -v[2:3], v[22:23], v[56:57]
	s_waitcnt lgkmcnt(2)
	v_fma_f64 v[32:33], -v[4:5], v[99:100], v[32:33]
	v_fma_f64 v[54:55], -v[6:7], v[105:106], v[89:90]
	;; [unrolled: 1-line block ×3, first 2 shown]
	ds_read_b128 v[24:27], v66 offset:3344
	ds_read_b128 v[46:49], v66 offset:2608
	v_fma_f64 v[32:33], -v[6:7], v[101:102], v[32:33]
	s_waitcnt lgkmcnt(1)
	v_fma_f64 v[75:76], -v[4:5], v[24:25], v[22:23]
	v_fma_f64 v[54:55], -v[8:9], v[14:15], v[54:55]
	v_mul_f64 v[14:15], v[69:70], v[67:68]
	v_fma_f64 v[42:43], -v[4:5], v[42:43], v[83:84]
	v_fma_f64 v[18:19], -v[8:9], v[18:19], v[32:33]
	v_fma_f64 v[32:33], -v[12:13], v[79:80], v[85:86]
	v_fma_f64 v[16:17], -v[10:11], v[16:17], v[54:55]
	v_fma_f64 v[62:63], -v[14:15], v[77:78], v[62:63]
	v_fma_f64 v[77:78], -v[6:7], v[44:45], v[42:43]
	ds_read_b128 v[54:57], v66 offset:3104
	ds_read2_b64 v[67:70], v111 offset0:8 offset1:74
	v_fma_f64 v[26:27], -v[6:7], v[26:27], v[75:76]
	v_fma_f64 v[79:80], -v[10:11], v[20:21], v[18:19]
	;; [unrolled: 1-line block ×3, first 2 shown]
	s_waitcnt lgkmcnt(2)
	v_fma_f64 v[46:47], -v[12:13], v[46:47], v[16:17]
	s_waitcnt lgkmcnt(0)
	v_mul_f64 v[16:17], v[67:68], v[62:63]
	v_fma_f64 v[54:55], -v[8:9], v[54:55], v[77:78]
	ds_read_b128 v[18:21], v66 offset:2864
	ds_read_b128 v[22:25], v66 offset:2368
	;; [unrolled: 1-line block ×3, first 2 shown]
	s_waitcnt lgkmcnt(2)
	v_fma_f64 v[18:19], -v[12:13], v[18:19], v[79:80]
	v_fma_f64 v[62:63], -v[14:15], v[48:49], v[46:47]
	s_waitcnt lgkmcnt(1)
	v_fma_f64 v[22:23], -v[16:17], v[22:23], v[32:33]
	s_waitcnt lgkmcnt(0)
	v_fma_f64 v[32:33], -v[8:9], v[42:43], v[26:27]
	v_fma_f64 v[42:43], -v[10:11], v[56:57], v[54:55]
	ds_read_b128 v[46:49], v66 offset:2624
	ds_read_b128 v[75:78], v66 offset:3120
	v_fma_f64 v[67:68], -v[14:15], v[20:21], v[18:19]
	s_waitcnt lgkmcnt(1)
	v_fma_f64 v[46:47], -v[16:17], v[46:47], v[62:63]
	v_mul_f64 v[18:19], v[24:25], v[22:23]
	v_fma_f64 v[32:33], -v[10:11], v[44:45], v[32:33]
	s_waitcnt lgkmcnt(0)
	v_fma_f64 v[62:63], -v[12:13], v[75:76], v[42:43]
	ds_read_b128 v[54:57], v66 offset:3424
	ds_read_b128 v[20:23], v66 offset:2880
	;; [unrolled: 1-line block ×4, first 2 shown]
	s_waitcnt lgkmcnt(2)
	v_fma_f64 v[20:21], -v[16:17], v[20:21], v[67:68]
	v_fma_f64 v[67:68], -v[18:19], v[48:49], v[46:47]
	s_waitcnt lgkmcnt(0)
	v_fma_f64 v[32:33], -v[12:13], v[42:43], v[32:33]
	v_fma_f64 v[42:43], -v[14:15], v[77:78], v[62:63]
	ds_read_b128 v[46:49], v66 offset:3840
	ds_read_b128 v[79:82], v66 offset:3856
	;; [unrolled: 1-line block ×4, first 2 shown]
	v_mul_f64 v[24:25], v[0:1], v[24:25]
	s_waitcnt lgkmcnt(3)
	v_mul_f64 v[46:47], v[0:1], v[46:47]
	v_fma_f64 v[22:23], -v[18:19], v[22:23], v[20:21]
	v_mul_f64 v[20:21], v[69:70], v[67:68]
	v_fma_f64 v[32:33], -v[14:15], v[44:45], v[32:33]
	s_waitcnt lgkmcnt(0)
	v_fma_f64 v[62:63], -v[16:17], v[75:76], v[42:43]
	ds_read_b128 v[67:70], v66 offset:4112
	ds_read_b128 v[87:90], v66 offset:4352
	;; [unrolled: 1-line block ×5, first 2 shown]
	v_fma_f64 v[24:25], s[0:1], v[50:51], -v[24:25]
	v_fma_f64 v[46:47], s[0:1], v[52:53], -v[46:47]
	ds_read_b128 v[50:53], v66 offset:3600
	s_waitcnt lgkmcnt(3)
	v_fma_f64 v[22:23], -v[20:21], v[91:92], v[22:23]
	s_waitcnt lgkmcnt(1)
	v_fma_f64 v[32:33], -v[16:17], v[95:96], v[32:33]
	v_fma_f64 v[62:63], -v[18:19], v[77:78], v[62:63]
	ds_read_b128 v[75:78], v66 offset:3152
	v_mul_f64 v[83:84], v[0:1], v[83:84]
	v_fma_f64 v[26:27], -v[2:3], v[26:27], v[24:25]
	v_mul_f64 v[87:88], v[0:1], v[87:88]
	ds_read_b128 v[103:106], v66 offset:4608
	v_mul_f64 v[22:23], v[93:94], v[22:23]
	v_fma_f64 v[32:33], -v[18:19], v[97:98], v[32:33]
	ds_read_b128 v[95:98], v66 offset:3408
	s_waitcnt lgkmcnt(2)
	v_fma_f64 v[62:63], -v[20:21], v[75:76], v[62:63]
	ds_read_b128 v[91:94], v66 offset:4864
	s_waitcnt vmcnt(1)
	v_fma_f64 v[83:84], s[0:1], v[71:72], -v[83:84]
	v_fma_f64 v[87:88], s[0:1], v[73:74], -v[87:88]
	ds_read_b128 v[71:74], v66 offset:3632
	ds_read_b128 v[99:102], v66 offset:4480
	s_waitcnt lgkmcnt(3)
	v_fma_f64 v[24:25], -v[20:21], v[95:96], v[32:33]
	v_fma_f64 v[95:96], -v[2:3], v[48:49], v[46:47]
	;; [unrolled: 1-line block ×3, first 2 shown]
	ds_read_b128 v[46:49], v66 offset:3616
	v_fma_f64 v[26:27], -v[4:5], v[50:51], v[26:27]
	ds_read2_b64 v[75:78], v111 offset0:140 offset1:206
	v_mul_f64 v[62:63], v[0:1], v[103:104]
	s_waitcnt lgkmcnt(4)
	v_mul_f64 v[91:92], v[0:1], v[91:92]
	v_fma_f64 v[97:98], -v[22:23], v[97:98], v[24:25]
	v_fma_f64 v[103:104], -v[2:3], v[89:90], v[87:88]
	s_waitcnt lgkmcnt(0)
	v_mul_f64 v[24:25], v[75:76], v[32:33]
	v_fma_f64 v[75:76], -v[4:5], v[79:80], v[95:96]
	v_fma_f64 v[95:96], -v[6:7], v[52:53], v[26:27]
	ds_read_b128 v[87:90], v66 offset:3872
	v_fma_f64 v[32:33], s[0:1], v[58:59], -v[62:63]
	v_fma_f64 v[62:63], s[0:1], v[60:61], -v[91:92]
	v_fma_f64 v[91:92], -v[2:3], v[85:86], v[83:84]
	v_fma_f64 v[42:43], -v[4:5], v[42:43], v[103:104]
	;; [unrolled: 1-line block ×5, first 2 shown]
	ds_read_b128 v[58:61], v66 offset:3648
	v_fma_f64 v[32:33], -v[2:3], v[105:106], v[32:33]
	v_fma_f64 v[62:63], -v[2:3], v[93:94], v[62:63]
	;; [unrolled: 1-line block ×4, first 2 shown]
	v_mul_f64 v[26:27], v[56:57], v[54:55]
	ds_read_b128 v[54:57], v66 offset:3888
	s_waitcnt lgkmcnt(2)
	v_fma_f64 v[75:76], -v[8:9], v[87:88], v[75:76]
	v_fma_f64 v[105:106], -v[10:11], v[48:49], v[46:47]
	ds_read_b128 v[46:49], v66 offset:4128
	ds_read_b128 v[107:110], v66 offset:4880
	;; [unrolled: 1-line block ×3, first 2 shown]
	v_fma_f64 v[103:104], -v[6:7], v[69:70], v[67:68]
	ds_read_b128 v[42:45], v66 offset:4624
	ds_read_b128 v[95:98], v66 offset:3904
	;; [unrolled: 1-line block ×3, first 2 shown]
	v_fma_f64 v[75:76], -v[10:11], v[89:90], v[75:76]
	v_fma_f64 v[71:72], -v[12:13], v[71:72], v[105:106]
	ds_read_b128 v[87:90], v66 offset:4384
	s_waitcnt lgkmcnt(5)
	v_fma_f64 v[62:63], -v[4:5], v[107:108], v[62:63]
	ds_read_b128 v[83:86], v66 offset:3664
	ds_read_b128 v[50:53], v66 offset:3680
	s_waitcnt lgkmcnt(6)
	v_mul_f64 v[79:80], v[0:1], v[79:80]
	s_waitcnt lgkmcnt(2)
	v_fma_f64 v[87:88], -v[8:9], v[87:88], v[111:112]
	v_fma_f64 v[54:55], -v[12:13], v[54:55], v[75:76]
	;; [unrolled: 1-line block ×3, first 2 shown]
	ds_read_b128 v[71:74], v66 offset:4160
	v_fma_f64 v[46:47], -v[8:9], v[46:47], v[103:104]
	v_fma_f64 v[62:63], -v[6:7], v[109:110], v[62:63]
	ds_read_b128 v[91:94], v66 offset:3936
	v_fma_f64 v[28:29], s[0:1], v[28:29], -v[79:80]
	v_fma_f64 v[107:108], -v[10:11], v[89:90], v[87:88]
	ds_read_b128 v[87:90], v66 offset:4640
	v_fma_f64 v[32:33], -v[4:5], v[42:43], v[32:33]
	v_fma_f64 v[111:112], -v[14:15], v[56:57], v[54:55]
	;; [unrolled: 1-line block ×3, first 2 shown]
	ds_read_b128 v[46:49], v66 offset:4144
	v_fma_f64 v[58:59], -v[16:17], v[58:59], v[75:76]
	ds_read_b128 v[54:57], v66 offset:4400
	v_fma_f64 v[28:29], -v[2:3], v[81:82], v[28:29]
	;; [unrolled: 2-line block ×3, first 2 shown]
	ds_read_b128 v[42:45], v66 offset:4176
	s_waitcnt lgkmcnt(3)
	v_fma_f64 v[46:47], -v[12:13], v[46:47], v[103:104]
	v_fma_f64 v[95:96], -v[16:17], v[95:96], v[111:112]
	ds_read_b128 v[103:106], v66 offset:4896
	v_fma_f64 v[32:33], -v[8:9], v[87:88], v[32:33]
	v_fma_f64 v[75:76], -v[14:15], v[48:49], v[46:47]
	ds_read_b128 v[46:49], v66 offset:4192
	v_fma_f64 v[32:33], -v[10:11], v[89:90], v[32:33]
	ds_read_b128 v[87:90], v66 offset:4416
	s_waitcnt lgkmcnt(5)
	v_fma_f64 v[54:55], -v[12:13], v[54:55], v[107:108]
	v_fma_f64 v[107:108], -v[18:19], v[60:61], v[58:59]
	;; [unrolled: 1-line block ×4, first 2 shown]
	ds_read_b128 v[95:98], v66 offset:4432
	ds_read_b128 v[58:61], v66 offset:4208
	v_fma_f64 v[109:110], -v[14:15], v[56:57], v[54:55]
	v_fma_f64 v[83:84], -v[20:21], v[83:84], v[107:108]
	;; [unrolled: 1-line block ×4, first 2 shown]
	ds_read_b128 v[54:57], v66 offset:4656
	ds_read_b128 v[71:74], v66 offset:4448
	s_waitcnt lgkmcnt(4)
	v_fma_f64 v[87:88], -v[16:17], v[87:88], v[109:110]
	v_fma_f64 v[75:76], -v[22:23], v[85:86], v[83:84]
	;; [unrolled: 1-line block ×4, first 2 shown]
	ds_read_b128 v[67:70], v66 offset:4704
	v_fma_f64 v[62:63], -v[8:9], v[103:104], v[62:63]
	ds_read_b128 v[83:86], v66 offset:4464
	s_waitcnt lgkmcnt(3)
	v_fma_f64 v[32:33], -v[12:13], v[54:55], v[32:33]
	v_fma_f64 v[109:110], -v[18:19], v[89:90], v[87:88]
	;; [unrolled: 1-line block ×3, first 2 shown]
	ds_read_b128 v[87:90], v66 offset:4688
	v_fma_f64 v[91:92], -v[24:25], v[91:92], v[107:108]
	v_fma_f64 v[62:63], -v[10:11], v[105:106], v[62:63]
	ds_read_b128 v[103:106], v66 offset:4912
	v_fma_f64 v[32:33], -v[14:15], v[56:57], v[32:33]
	ds_read_b128 v[54:57], v66 offset:4672
	v_fma_f64 v[75:76], -v[20:21], v[95:96], v[109:110]
	v_fma_f64 v[109:110], -v[22:23], v[44:45], v[42:43]
	ds_read_b128 v[42:45], v66 offset:4928
	v_fma_f64 v[107:108], -v[26:27], v[52:53], v[50:51]
	s_waitcnt lgkmcnt(2)
	v_fma_f64 v[62:63], -v[12:13], v[103:104], v[62:63]
	ds_read_b128 v[50:53], v66 offset:4944
	s_waitcnt lgkmcnt(2)
	v_fma_f64 v[32:33], -v[16:17], v[54:55], v[32:33]
	v_fma_f64 v[113:114], -v[26:27], v[93:94], v[91:92]
	v_fma_f64 v[111:112], -v[22:23], v[97:98], v[75:76]
	ds_read_b128 v[91:94], v66 offset:5376
	v_fma_f64 v[46:47], -v[24:25], v[46:47], v[109:110]
	ds_read_b128 v[95:98], v66 offset:5168
	v_fma_f64 v[62:63], -v[14:15], v[105:106], v[62:63]
	;; [unrolled: 2-line block ×4, first 2 shown]
	s_waitcnt lgkmcnt(1)
	v_fma_f64 v[103:104], -v[4:5], v[103:104], v[28:29]
	v_mul_f64 v[28:29], v[77:78], v[107:108]
	ds_read_b128 v[75:78], v66 offset:5392
	v_mul_f64 v[91:92], v[0:1], v[91:92]
	v_fma_f64 v[32:33], -v[20:21], v[87:88], v[32:33]
	v_fma_f64 v[62:63], -v[16:17], v[42:43], v[62:63]
	;; [unrolled: 1-line block ×6, first 2 shown]
	v_add_u32_e64 v42, s4, 0
	v_fma_f64 v[79:80], s[0:1], v[30:31], -v[91:92]
	v_fma_f64 v[32:33], -v[22:23], v[89:90], v[32:33]
	v_fma_f64 v[62:63], -v[18:19], v[44:45], v[62:63]
	;; [unrolled: 1-line block ×3, first 2 shown]
	s_movk_i32 s4, 0x1800
	s_waitcnt lgkmcnt(1)
	v_fma_f64 v[54:55], -v[8:9], v[54:55], v[103:104]
	v_mul_f64 v[30:31], v[81:82], v[48:49]
	v_fma_f64 v[32:33], -v[24:25], v[67:68], v[32:33]
	v_fma_f64 v[62:63], -v[20:21], v[50:51], v[62:63]
	;; [unrolled: 1-line block ×6, first 2 shown]
	ds_read_b128 v[43:46], v66 offset:4720
	ds_read_b128 v[54:57], v66 offset:4736
	ds_read2_b64 v[47:50], v42 offset0:16 offset1:82
	v_fma_f64 v[81:82], -v[26:27], v[69:70], v[32:33]
	v_fma_f64 v[51:52], -v[22:23], v[52:53], v[62:63]
	ds_read_b128 v[58:61], v66 offset:4960
	s_waitcnt lgkmcnt(4)
	v_fma_f64 v[75:76], -v[4:5], v[75:76], v[71:72]
	v_fma_f64 v[73:74], -v[12:13], v[95:96], v[73:74]
	;; [unrolled: 1-line block ×3, first 2 shown]
	ds_read_b128 v[67:70], v66 offset:5632
	s_waitcnt lgkmcnt(2)
	v_mul_f64 v[32:33], v[47:48], v[79:80]
	v_fma_f64 v[43:44], -v[28:29], v[43:44], v[81:82]
	ds_read_b128 v[79:82], v66 offset:4976
	s_waitcnt lgkmcnt(2)
	v_fma_f64 v[51:52], -v[24:25], v[58:59], v[51:52]
	s_waitcnt lgkmcnt(1)
	v_mul_f64 v[47:48], v[0:1], v[67:68]
	v_fma_f64 v[83:84], -v[14:15], v[97:98], v[73:74]
	v_fma_f64 v[67:68], -v[6:7], v[77:78], v[75:76]
	ds_read_b128 v[71:74], v66 offset:5184
	ds_read_b128 v[75:78], v66 offset:5408
	v_fma_f64 v[62:63], -v[32:33], v[99:100], v[62:63]
	v_fma_f64 v[43:44], -v[30:31], v[45:46], v[43:44]
	v_fma_f64 v[45:46], s[0:1], v[34:35], -v[47:48]
	s_waitcnt lgkmcnt(1)
	v_fma_f64 v[58:59], -v[16:17], v[71:72], v[83:84]
	s_waitcnt lgkmcnt(0)
	v_fma_f64 v[47:48], -v[8:9], v[75:76], v[67:68]
	v_fma_f64 v[71:72], -v[26:27], v[60:61], v[51:52]
	ds_read_b128 v[83:86], v66 offset:5200
	v_mul_f64 v[34:35], v[101:102], v[62:63]
	v_fma_f64 v[62:63], -v[32:33], v[54:55], v[43:44]
	ds_read_b128 v[51:54], v66 offset:5888
	v_fma_f64 v[43:44], -v[2:3], v[69:70], v[45:46]
	v_fma_f64 v[73:74], -v[18:19], v[73:74], v[58:59]
	;; [unrolled: 1-line block ×4, first 2 shown]
	ds_read_b128 v[58:61], v66 offset:5424
	ds_read_b128 v[67:70], v66 offset:5648
	;; [unrolled: 1-line block ×3, first 2 shown]
	v_fma_f64 v[91:92], -v[34:35], v[56:57], v[62:63]
	s_waitcnt lgkmcnt(1)
	v_fma_f64 v[67:68], -v[4:5], v[67:68], v[43:44]
	v_fma_f64 v[93:94], -v[30:31], v[81:82], v[79:80]
	ds_read_b128 v[79:82], v66 offset:5232
	v_fma_f64 v[87:88], -v[12:13], v[58:59], v[87:88]
	ds_read_b128 v[55:58], v66 offset:5216
	;; [unrolled: 2-line block ×3, first 2 shown]
	v_mul_f64 v[51:52], v[0:1], v[51:52]
	global_load_dwordx4 v[44:47], v[64:65], off offset:208
	v_fma_f64 v[87:88], -v[14:15], v[60:61], v[87:88]
	ds_read_b128 v[59:62], v66 offset:6144
	v_fma_f64 v[83:84], -v[22:23], v[85:86], v[83:84]
	v_fma_f64 v[85:86], -v[6:7], v[69:70], v[67:68]
	v_fma_f64 v[36:37], s[0:1], v[36:37], -v[51:52]
	ds_read_b128 v[67:70], v66 offset:4992
	s_waitcnt lgkmcnt(3)
	v_fma_f64 v[55:56], -v[24:25], v[55:56], v[83:84]
	v_fma_f64 v[75:76], -v[8:9], v[75:76], v[85:86]
	;; [unrolled: 1-line block ×3, first 2 shown]
	ds_read_b128 v[51:54], v66 offset:5440
	ds_read_b128 v[83:86], v66 offset:5456
	s_waitcnt lgkmcnt(1)
	v_fma_f64 v[51:52], -v[16:17], v[51:52], v[87:88]
	v_fma_f64 v[75:76], -v[10:11], v[77:78], v[75:76]
	;; [unrolled: 1-line block ×4, first 2 shown]
	ds_read_b128 v[87:90], v66 offset:6160
	ds_read_b128 v[55:58], v66 offset:5008
	v_fma_f64 v[67:68], -v[32:33], v[67:68], v[93:94]
	v_fma_f64 v[77:78], -v[18:19], v[53:54], v[51:52]
	ds_read_b128 v[51:54], v66 offset:5920
	v_mul_f64 v[59:60], v[0:1], v[59:60]
	v_fma_f64 v[71:72], -v[6:7], v[73:74], v[71:72]
	v_fma_f64 v[73:74], -v[28:29], v[79:80], v[95:96]
	s_waitcnt lgkmcnt(3)
	v_fma_f64 v[77:78], -v[20:21], v[83:84], v[77:78]
	s_waitcnt vmcnt(1)
	v_fma_f64 v[59:60], s[0:1], v[38:39], -v[59:60]
	ds_read_b128 v[36:39], v66 offset:5680
	s_waitcnt lgkmcnt(1)
	v_fma_f64 v[83:84], -v[8:9], v[51:52], v[71:72]
	v_fma_f64 v[81:82], -v[30:31], v[81:82], v[73:74]
	ds_read_b128 v[71:74], v66 offset:5248
	v_fma_f64 v[85:86], -v[22:23], v[85:86], v[77:78]
	v_fma_f64 v[79:80], -v[2:3], v[61:62], v[59:60]
	ds_read_b128 v[59:62], v66 offset:5696
	s_waitcnt lgkmcnt(2)
	v_fma_f64 v[75:76], -v[12:13], v[36:37], v[75:76]
	v_mul_f64 v[36:37], v[49:50], v[91:92]
	ds_read_b128 v[48:51], v66 offset:5936
	v_fma_f64 v[83:84], -v[10:11], v[53:54], v[83:84]
	v_fma_f64 v[79:80], -v[4:5], v[87:88], v[79:80]
	;; [unrolled: 1-line block ×4, first 2 shown]
	ds_read_b128 v[75:78], v66 offset:5472
	ds_read_b128 v[67:70], v66 offset:5264
	s_waitcnt lgkmcnt(2)
	v_fma_f64 v[48:49], -v[12:13], v[48:49], v[83:84]
	v_fma_f64 v[71:72], -v[32:33], v[71:72], v[81:82]
	;; [unrolled: 1-line block ×5, first 2 shown]
	ds_read_b128 v[52:55], v66 offset:6176
	ds_read_b128 v[79:82], v66 offset:5488
	s_waitcnt lgkmcnt(3)
	v_fma_f64 v[75:76], -v[24:25], v[75:76], v[85:86]
	v_fma_f64 v[83:84], -v[34:35], v[73:74], v[71:72]
	s_waitcnt lgkmcnt(1)
	v_fma_f64 v[52:53], -v[8:9], v[52:53], v[89:90]
	v_fma_f64 v[89:90], -v[14:15], v[50:51], v[48:49]
	;; [unrolled: 1-line block ×3, first 2 shown]
	ds_read_b128 v[59:62], v66 offset:5712
	ds_read_b128 v[71:74], v66 offset:6192
	;; [unrolled: 1-line block ×3, first 2 shown]
	v_mul_f64 v[38:39], v[57:58], v[87:88]
	v_fma_f64 v[87:88], -v[26:27], v[77:78], v[75:76]
	ds_read_b128 v[75:78], v66 offset:5968
	v_fma_f64 v[91:92], -v[10:11], v[54:55], v[52:53]
	s_waitcnt lgkmcnt(1)
	v_fma_f64 v[48:49], -v[16:17], v[48:49], v[89:90]
	v_fma_f64 v[85:86], -v[20:21], v[59:60], v[85:86]
	ds_read_b128 v[52:55], v66 offset:6400
	v_fma_f64 v[67:68], -v[36:37], v[67:68], v[83:84]
	ds_read_b128 v[56:59], v66 offset:5728
	v_fma_f64 v[79:80], -v[28:29], v[79:80], v[87:88]
	v_fma_f64 v[71:72], -v[12:13], v[71:72], v[91:92]
	;; [unrolled: 1-line block ×4, first 2 shown]
	ds_read_b128 v[60:63], v66 offset:6416
	s_waitcnt lgkmcnt(2)
	v_mul_f64 v[52:53], v[0:1], v[52:53]
	v_fma_f64 v[99:100], -v[38:39], v[69:70], v[67:68]
	ds_read_b128 v[67:70], v66 offset:6208
	ds_read_b128 v[83:86], v66 offset:5536
	v_fma_f64 v[71:72], -v[14:15], v[73:74], v[71:72]
	v_fma_f64 v[75:76], -v[20:21], v[75:76], v[89:90]
	s_waitcnt lgkmcnt(3)
	v_fma_f64 v[56:57], -v[24:25], v[56:57], v[87:88]
	v_fma_f64 v[87:88], -v[30:31], v[81:82], v[79:80]
	v_fma_f64 v[40:41], s[0:1], v[40:41], -v[52:53]
	ds_read_b128 v[79:82], v66 offset:6656
	global_load_dwordx4 v[48:51], v[64:65], off offset:224
	v_fma_f64 v[93:94], -v[22:23], v[77:78], v[75:76]
	ds_read_b128 v[75:78], v66 offset:5984
	s_waitcnt lgkmcnt(3)
	v_fma_f64 v[67:68], -v[16:17], v[67:68], v[71:72]
	v_fma_f64 v[40:41], -v[2:3], v[54:55], v[40:41]
	v_fma_f64 v[91:92], -v[26:27], v[58:59], v[56:57]
	ds_read_b128 v[52:55], v66 offset:5504
	ds_read_b128 v[71:74], v66 offset:5520
	;; [unrolled: 1-line block ×3, first 2 shown]
	s_waitcnt lgkmcnt(3)
	v_fma_f64 v[75:76], -v[24:25], v[75:76], v[93:94]
	s_waitcnt lgkmcnt(2)
	v_fma_f64 v[52:53], -v[32:33], v[52:53], v[87:88]
	v_fma_f64 v[40:41], -v[4:5], v[60:61], v[40:41]
	;; [unrolled: 1-line block ×3, first 2 shown]
	ds_read_b128 v[67:70], v66 offset:6224
	v_mul_f64 v[79:80], v[0:1], v[79:80]
	ds_read_b128 v[87:90], v66 offset:5760
	s_waitcnt lgkmcnt(2)
	v_fma_f64 v[56:57], -v[28:29], v[56:57], v[91:92]
	v_fma_f64 v[75:76], -v[26:27], v[77:78], v[75:76]
	;; [unrolled: 1-line block ×3, first 2 shown]
	s_waitcnt lgkmcnt(1)
	v_fma_f64 v[67:68], -v[20:21], v[67:68], v[60:61]
	ds_read_b128 v[60:63], v66 offset:6432
	ds_read_b128 v[91:94], v66 offset:6000
	ds_read2_b64 v[95:98], v42 offset0:148 offset1:214
	s_waitcnt vmcnt(1)
	v_fma_f64 v[77:78], s[0:1], v[44:45], -v[79:80]
	s_waitcnt lgkmcnt(1)
	v_fma_f64 v[75:76], -v[28:29], v[91:92], v[75:76]
	v_fma_f64 v[40:41], -v[8:9], v[60:61], v[40:41]
	;; [unrolled: 1-line block ×6, first 2 shown]
	ds_read_b128 v[42:45], v66 offset:6448
	ds_read_b128 v[52:55], v66 offset:6240
	;; [unrolled: 1-line block ×3, first 2 shown]
	v_fma_f64 v[79:80], -v[10:11], v[62:63], v[40:41]
	v_fma_f64 v[71:72], -v[36:37], v[71:72], v[60:61]
	s_waitcnt lgkmcnt(1)
	v_fma_f64 v[52:53], -v[24:25], v[52:53], v[67:68]
	v_fma_f64 v[67:68], -v[32:33], v[87:88], v[69:70]
	ds_read_b128 v[60:63], v66 offset:6256
	s_waitcnt lgkmcnt(1)
	v_fma_f64 v[56:57], -v[4:5], v[56:57], v[77:78]
	v_mul_f64 v[40:41], v[95:96], v[99:100]
	v_fma_f64 v[42:43], -v[12:13], v[42:43], v[79:80]
	v_fma_f64 v[79:80], -v[30:31], v[93:94], v[75:76]
	;; [unrolled: 1-line block ×4, first 2 shown]
	ds_read_b128 v[52:55], v66 offset:6016
	ds_read_b128 v[67:70], v66 offset:6688
	;; [unrolled: 1-line block ×3, first 2 shown]
	v_fma_f64 v[89:90], -v[6:7], v[58:59], v[56:57]
	ds_read_b128 v[56:59], v66 offset:6032
	v_fma_f64 v[91:92], -v[14:15], v[44:45], v[42:43]
	s_waitcnt lgkmcnt(3)
	v_fma_f64 v[52:53], -v[32:33], v[52:53], v[79:80]
	v_fma_f64 v[60:61], -v[28:29], v[60:61], v[81:82]
	ds_read_b128 v[42:45], v66 offset:6464
	s_waitcnt lgkmcnt(2)
	v_fma_f64 v[75:76], -v[36:37], v[75:76], v[87:88]
	v_fma_f64 v[67:68], -v[8:9], v[67:68], v[89:90]
	;; [unrolled: 1-line block ×3, first 2 shown]
	ds_read_b128 v[71:74], v66 offset:5792
	v_fma_f64 v[87:88], -v[34:35], v[54:55], v[52:53]
	ds_read_b128 v[52:55], v66 offset:6272
	s_waitcnt lgkmcnt(2)
	v_fma_f64 v[42:43], -v[16:17], v[42:43], v[91:92]
	v_fma_f64 v[81:82], -v[30:31], v[62:63], v[60:61]
	;; [unrolled: 1-line block ×3, first 2 shown]
	ds_read_b128 v[60:63], v66 offset:6704
	ds_read_b128 v[67:70], v66 offset:6480
	v_fma_f64 v[79:80], -v[40:41], v[83:84], v[79:80]
	v_fma_f64 v[83:84], -v[38:39], v[77:78], v[75:76]
	;; [unrolled: 1-line block ×4, first 2 shown]
	s_waitcnt lgkmcnt(2)
	v_fma_f64 v[52:53], -v[32:33], v[52:53], v[81:82]
	s_waitcnt lgkmcnt(1)
	v_fma_f64 v[60:61], -v[12:13], v[60:61], v[89:90]
	ds_read_b128 v[75:78], v66 offset:6288
	v_mul_f64 v[42:43], v[85:86], v[79:80]
	v_fma_f64 v[71:72], -v[40:41], v[71:72], v[83:84]
	v_fma_f64 v[83:84], -v[38:39], v[58:59], v[56:57]
	s_waitcnt lgkmcnt(1)
	v_fma_f64 v[44:45], -v[20:21], v[67:68], v[44:45]
	v_fma_f64 v[67:68], -v[34:35], v[54:55], v[52:53]
	;; [unrolled: 1-line block ×3, first 2 shown]
	ds_read_b128 v[52:55], v66 offset:6720
	ds_read_b128 v[79:82], v66 offset:6048
	global_load_dwordx4 v[56:59], v[64:65], off offset:240
	v_fma_f64 v[87:88], -v[42:43], v[73:74], v[71:72]
	v_fma_f64 v[44:45], -v[22:23], v[69:70], v[44:45]
	s_waitcnt lgkmcnt(0)
	v_fma_f64 v[79:80], -v[40:41], v[79:80], v[83:84]
	v_fma_f64 v[52:53], -v[16:17], v[52:53], v[85:86]
	;; [unrolled: 1-line block ×3, first 2 shown]
	ds_read_b128 v[60:63], v66 offset:6912
	ds_read_b128 v[67:70], v66 offset:6496
	;; [unrolled: 1-line block ×3, first 2 shown]
	s_waitcnt lgkmcnt(2)
	v_mul_f64 v[60:61], v[0:1], v[60:61]
	s_waitcnt lgkmcnt(1)
	v_fma_f64 v[67:68], -v[24:25], v[67:68], v[44:45]
	v_fma_f64 v[79:80], -v[42:43], v[81:82], v[79:80]
	;; [unrolled: 1-line block ×4, first 2 shown]
	ds_read_b128 v[52:55], v66 offset:6736
	ds_read_b128 v[75:78], v66 offset:6304
	v_mul_f64 v[44:45], v[97:98], v[87:88]
	v_fma_f64 v[46:47], s[0:1], v[46:47], -v[60:61]
	v_fma_f64 v[85:86], -v[26:27], v[69:70], v[67:68]
	ds_read_b128 v[67:70], v66 offset:6512
	s_waitcnt lgkmcnt(2)
	v_fma_f64 v[52:53], -v[20:21], v[52:53], v[81:82]
	s_waitcnt lgkmcnt(1)
	v_fma_f64 v[75:76], -v[40:41], v[75:76], v[83:84]
	v_fma_f64 v[71:72], -v[44:45], v[71:72], v[79:80]
	;; [unrolled: 1-line block ×3, first 2 shown]
	s_waitcnt lgkmcnt(0)
	v_fma_f64 v[67:68], -v[28:29], v[67:68], v[85:86]
	ds_read_b128 v[60:63], v66 offset:6928
	v_fma_f64 v[87:88], -v[22:23], v[54:55], v[52:53]
	v_fma_f64 v[85:86], -v[42:43], v[77:78], v[75:76]
	ds_read_b128 v[75:78], v66 offset:6320
	ds_read_b128 v[79:82], v66 offset:6752
	v_mul_f64 v[46:47], v[73:74], v[71:72]
	s_waitcnt lgkmcnt(2)
	v_fma_f64 v[60:61], -v[4:5], v[60:61], v[83:84]
	ds_read_b128 v[71:74], v66 offset:7168
	v_fma_f64 v[89:90], -v[30:31], v[69:70], v[67:68]
	s_waitcnt lgkmcnt(1)
	v_fma_f64 v[79:80], -v[24:25], v[79:80], v[87:88]
	v_fma_f64 v[75:76], -v[44:45], v[75:76], v[85:86]
	ds_read_b128 v[52:55], v66 offset:6528
	ds_read_b128 v[83:86], v66 offset:7184
	s_waitcnt lgkmcnt(2)
	v_mul_f64 v[91:92], v[0:1], v[71:72]
	ds_read_b128 v[68:71], v66 offset:6544
	v_fma_f64 v[87:88], -v[6:7], v[62:63], v[60:61]
	ds_read_b128 v[60:63], v66 offset:6944
	s_waitcnt lgkmcnt(3)
	v_fma_f64 v[52:53], -v[32:33], v[52:53], v[89:90]
	v_fma_f64 v[89:90], -v[26:27], v[81:82], v[79:80]
	;; [unrolled: 1-line block ×3, first 2 shown]
	ds_read_b128 v[75:78], v66 offset:6960
	ds_read_b128 v[79:82], v66 offset:6768
	s_waitcnt vmcnt(1)
	v_fma_f64 v[48:49], s[0:1], v[48:49], -v[91:92]
	v_add_u32_e64 v67, s4, 0
	s_waitcnt lgkmcnt(2)
	v_fma_f64 v[60:61], -v[8:9], v[60:61], v[87:88]
	s_mov_b32 s4, 32
	v_fma_f64 v[97:98], -v[34:35], v[54:55], v[52:53]
	ds_read2_b64 v[52:55], v67 offset0:24 offset1:90
	s_waitcnt lgkmcnt(1)
	v_fma_f64 v[79:80], -v[28:29], v[79:80], v[89:90]
	ds_read_b128 v[87:90], v66 offset:7424
	ds_read_b128 v[91:94], v66 offset:6784
	v_fma_f64 v[72:73], -v[2:3], v[73:74], v[48:49]
	s_waitcnt lgkmcnt(2)
	v_mul_f64 v[48:49], v[52:53], v[95:96]
	s_waitcnt lgkmcnt(1)
	v_mul_f64 v[52:53], v[0:1], v[87:88]
	v_fma_f64 v[99:100], -v[10:11], v[62:63], v[60:61]
	v_fma_f64 v[68:69], -v[36:37], v[68:69], v[97:98]
	ds_read_b128 v[60:63], v66 offset:6592
	v_fma_f64 v[87:88], -v[30:31], v[81:82], v[79:80]
	v_fma_f64 v[83:84], -v[4:5], v[83:84], v[72:73]
	v_fma_f64 v[101:102], s[0:1], v[50:51], -v[52:53]
	v_fma_f64 v[95:96], -v[12:13], v[75:76], v[99:100]
	ds_read_b128 v[72:75], v66 offset:7680
	v_fma_f64 v[99:100], -v[38:39], v[70:71], v[68:69]
	ds_read_b128 v[68:71], v66 offset:7440
	ds_read_b128 v[79:82], v66 offset:6560
	v_fma_f64 v[103:104], -v[6:7], v[85:86], v[83:84]
	ds_read_b128 v[50:53], v66 offset:6576
	s_waitcnt lgkmcnt(3)
	v_mul_f64 v[72:73], v[0:1], v[72:73]
	v_fma_f64 v[101:102], -v[2:3], v[89:90], v[101:102]
	v_fma_f64 v[76:77], -v[14:15], v[77:78], v[95:96]
	ds_read_b128 v[83:86], v66 offset:7936
	ds_read_b128 v[95:98], v66 offset:7200
	v_fma_f64 v[91:92], -v[32:33], v[91:92], v[87:88]
	ds_read_b128 v[87:90], v66 offset:6976
	s_waitcnt lgkmcnt(4)
	v_fma_f64 v[99:100], -v[40:41], v[79:80], v[99:100]
	s_waitcnt lgkmcnt(2)
	v_mul_f64 v[83:84], v[0:1], v[83:84]
	s_waitcnt vmcnt(0)
	v_fma_f64 v[56:57], s[0:1], v[56:57], -v[72:73]
	s_waitcnt lgkmcnt(1)
	v_fma_f64 v[95:96], -v[8:9], v[95:96], v[103:104]
	v_fma_f64 v[68:69], -v[4:5], v[68:69], v[101:102]
	v_fma_f64 v[103:104], -v[34:35], v[93:94], v[91:92]
	ds_read_b128 v[91:94], v66 offset:7216
	s_waitcnt lgkmcnt(1)
	v_fma_f64 v[76:77], -v[16:17], v[87:88], v[76:77]
	v_fma_f64 v[83:84], s[0:1], v[58:59], -v[83:84]
	v_fma_f64 v[87:88], -v[2:3], v[74:75], v[56:57]
	v_fma_f64 v[101:102], -v[10:11], v[97:98], v[95:96]
	;; [unrolled: 1-line block ×3, first 2 shown]
	ds_read_b128 v[56:59], v66 offset:7696
	ds_read_b128 v[68:71], v66 offset:7456
	;; [unrolled: 1-line block ×3, first 2 shown]
	v_fma_f64 v[89:90], -v[18:19], v[89:90], v[76:77]
	ds_read_b128 v[95:98], v66 offset:6800
	ds_read_b128 v[76:79], v66 offset:6816
	s_waitcnt lgkmcnt(4)
	v_fma_f64 v[56:57], -v[4:5], v[56:57], v[87:88]
	v_fma_f64 v[87:88], -v[2:3], v[85:86], v[83:84]
	;; [unrolled: 1-line block ×3, first 2 shown]
	s_waitcnt lgkmcnt(3)
	v_fma_f64 v[68:69], -v[8:9], v[68:69], v[105:106]
	ds_read_b128 v[83:86], v66 offset:7952
	s_waitcnt lgkmcnt(2)
	v_fma_f64 v[95:96], -v[36:37], v[95:96], v[103:104]
	v_fma_f64 v[99:100], -v[42:43], v[81:82], v[99:100]
	;; [unrolled: 1-line block ×3, first 2 shown]
	s_waitcnt lgkmcnt(0)
	v_fma_f64 v[83:84], -v[4:5], v[83:84], v[87:88]
	v_fma_f64 v[91:92], -v[14:15], v[93:94], v[91:92]
	v_fma_f64 v[93:94], -v[10:11], v[70:71], v[68:69]
	ds_read_b128 v[68:71], v66 offset:7232
	v_fma_f64 v[72:73], -v[20:21], v[72:73], v[89:90]
	ds_read_b128 v[56:59], v66 offset:7712
	ds_read_b128 v[87:90], v66 offset:7472
	v_fma_f64 v[95:96], -v[38:39], v[97:98], v[95:96]
	v_fma_f64 v[50:51], -v[44:45], v[50:51], v[99:100]
	s_waitcnt lgkmcnt(2)
	v_fma_f64 v[68:69], -v[16:17], v[68:69], v[91:92]
	s_waitcnt lgkmcnt(1)
	v_fma_f64 v[56:57], -v[8:9], v[56:57], v[101:102]
	v_fma_f64 v[101:102], -v[6:7], v[85:86], v[83:84]
	;; [unrolled: 1-line block ×3, first 2 shown]
	ds_read_b128 v[72:75], v66 offset:7008
	ds_read_b128 v[83:86], v66 offset:7968
	s_waitcnt lgkmcnt(2)
	v_fma_f64 v[87:88], -v[12:13], v[87:88], v[93:94]
	ds_read_b128 v[91:94], v66 offset:7248
	v_fma_f64 v[76:77], -v[40:41], v[76:77], v[95:96]
	v_fma_f64 v[97:98], -v[18:19], v[70:71], v[68:69]
	v_fma_f64 v[105:106], -v[10:11], v[58:59], v[56:57]
	s_waitcnt lgkmcnt(1)
	v_fma_f64 v[83:84], -v[8:9], v[83:84], v[101:102]
	v_fma_f64 v[72:73], -v[24:25], v[72:73], v[103:104]
	ds_read_b128 v[56:59], v66 offset:7728
	v_fma_f64 v[87:88], -v[14:15], v[89:90], v[87:88]
	ds_read_b128 v[68:71], v66 offset:7488
	v_fma_f64 v[89:90], -v[10:11], v[85:86], v[83:84]
	v_fma_f64 v[101:102], -v[26:27], v[74:75], v[72:73]
	ds_read_b128 v[83:86], v66 offset:7024
	ds_read_b128 v[72:75], v66 offset:7984
	s_waitcnt lgkmcnt(3)
	v_fma_f64 v[56:57], -v[12:13], v[56:57], v[105:106]
	v_fma_f64 v[91:92], -v[20:21], v[91:92], v[97:98]
	s_waitcnt lgkmcnt(0)
	v_fma_f64 v[72:73], -v[12:13], v[72:73], v[89:90]
	v_fma_f64 v[89:90], -v[28:29], v[83:84], v[101:102]
	ds_read_b128 v[80:83], v66 offset:7504
	v_fma_f64 v[68:69], -v[16:17], v[68:69], v[87:88]
	v_fma_f64 v[87:88], -v[14:15], v[58:59], v[56:57]
	ds_read_b128 v[56:59], v66 offset:7744
	v_fma_f64 v[91:92], -v[22:23], v[93:94], v[91:92]
	v_fma_f64 v[89:90], -v[30:31], v[85:86], v[89:90]
	;; [unrolled: 1-line block ×3, first 2 shown]
	s_waitcnt lgkmcnt(0)
	v_fma_f64 v[56:57], -v[16:17], v[56:57], v[87:88]
	v_fma_f64 v[87:88], -v[14:15], v[74:75], v[72:73]
	ds_read_b128 v[68:71], v66 offset:7264
	ds_read_b128 v[72:75], v66 offset:8000
	s_waitcnt lgkmcnt(1)
	v_fma_f64 v[68:69], -v[24:25], v[68:69], v[91:92]
	v_fma_f64 v[80:81], -v[20:21], v[80:81], v[95:96]
	;; [unrolled: 1-line block ×3, first 2 shown]
	ds_read_b128 v[56:59], v66 offset:7040
	s_waitcnt lgkmcnt(1)
	v_fma_f64 v[72:73], -v[16:17], v[72:73], v[87:88]
	ds_read_b128 v[84:87], v66 offset:7760
	v_fma_f64 v[95:96], -v[42:43], v[78:79], v[76:77]
	ds_read_b128 v[76:79], v66 offset:7520
	s_waitcnt lgkmcnt(2)
	v_fma_f64 v[56:57], -v[32:33], v[56:57], v[89:90]
	v_fma_f64 v[88:89], -v[22:23], v[82:83], v[80:81]
	;; [unrolled: 1-line block ×3, first 2 shown]
	ds_read_b128 v[72:75], v66 offset:7280
	s_waitcnt lgkmcnt(2)
	v_fma_f64 v[84:85], -v[20:21], v[84:85], v[93:94]
	v_fma_f64 v[92:93], -v[26:27], v[70:71], v[68:69]
	ds_read_b128 v[68:71], v66 offset:8016
	ds_read_b128 v[80:83], v66 offset:7056
	s_waitcnt lgkmcnt(3)
	v_fma_f64 v[76:77], -v[24:25], v[76:77], v[88:89]
	v_fma_f64 v[99:100], -v[34:35], v[58:59], v[56:57]
	s_waitcnt lgkmcnt(1)
	v_fma_f64 v[68:69], -v[20:21], v[68:69], v[90:91]
	v_fma_f64 v[97:98], -v[22:23], v[86:87], v[84:85]
	ds_read_b128 v[56:59], v66 offset:7776
	ds_read_b128 v[84:87], v66 offset:6832
	v_fma_f64 v[72:73], -v[28:29], v[72:73], v[92:93]
	v_fma_f64 v[76:77], -v[26:27], v[78:79], v[76:77]
	ds_read_b128 v[88:91], v66 offset:7536
	s_waitcnt lgkmcnt(3)
	v_fma_f64 v[78:79], -v[36:37], v[80:81], v[99:100]
	v_fma_f64 v[80:81], -v[22:23], v[70:71], v[68:69]
	;; [unrolled: 1-line block ×3, first 2 shown]
	s_waitcnt lgkmcnt(2)
	v_fma_f64 v[56:57], -v[24:25], v[56:57], v[97:98]
	ds_read_b128 v[68:71], v66 offset:6848
	ds_read_b128 v[50:53], v66 offset:8032
	v_fma_f64 v[97:98], -v[30:31], v[74:75], v[72:73]
	s_waitcnt lgkmcnt(2)
	v_fma_f64 v[88:89], -v[28:29], v[88:89], v[76:77]
	ds_read_b128 v[72:75], v66 offset:7792
	v_fma_f64 v[101:102], -v[38:39], v[82:83], v[78:79]
	s_waitcnt lgkmcnt(1)
	v_fma_f64 v[50:51], -v[24:25], v[50:51], v[80:81]
	ds_read_b128 v[76:79], v66 offset:7072
	v_fma_f64 v[99:100], -v[26:27], v[58:59], v[56:57]
	ds_read_b128 v[56:59], v66 offset:7296
	ds_read_b128 v[80:83], v66 offset:7552
	v_fma_f64 v[88:89], -v[30:31], v[90:91], v[88:89]
	v_fma_f64 v[84:85], -v[44:45], v[84:85], v[95:96]
	s_waitcnt lgkmcnt(2)
	v_fma_f64 v[76:77], -v[40:41], v[76:77], v[101:102]
	s_waitcnt lgkmcnt(1)
	v_fma_f64 v[56:57], -v[32:33], v[56:57], v[97:98]
	v_fma_f64 v[90:91], -v[26:27], v[52:53], v[50:51]
	ds_read_b128 v[50:53], v66 offset:8048
	v_fma_f64 v[72:73], -v[28:29], v[72:73], v[99:100]
	v_fma_f64 v[60:61], -v[48:49], v[60:61], v[92:93]
	;; [unrolled: 1-line block ×5, first 2 shown]
	ds_read_b128 v[56:59], v66 offset:7312
	s_waitcnt lgkmcnt(2)
	v_fma_f64 v[80:81], -v[32:33], v[80:81], v[88:89]
	v_fma_f64 v[96:97], -v[30:31], v[74:75], v[72:73]
	s_waitcnt lgkmcnt(1)
	v_fma_f64 v[50:51], -v[28:29], v[50:51], v[90:91]
	ds_read_b128 v[72:75], v66 offset:7808
	ds_read_b128 v[88:91], v66 offset:7088
	;; [unrolled: 1-line block ×3, first 2 shown]
	v_fma_f64 v[68:69], -v[48:49], v[68:69], v[84:85]
	s_waitcnt lgkmcnt(3)
	v_fma_f64 v[56:57], -v[36:37], v[56:57], v[94:95]
	v_fma_f64 v[80:81], -v[34:35], v[82:83], v[80:81]
	s_waitcnt lgkmcnt(2)
	v_fma_f64 v[72:73], -v[32:33], v[72:73], v[96:97]
	v_fma_f64 v[82:83], -v[30:31], v[52:53], v[50:51]
	ds_read_b128 v[50:53], v66 offset:8064
	s_waitcnt lgkmcnt(2)
	v_fma_f64 v[88:89], -v[44:45], v[88:89], v[98:99]
	v_fma_f64 v[86:87], -v[38:39], v[58:59], v[56:57]
	ds_read_b128 v[56:59], v66 offset:7328
	;; [unrolled: 4-line block ×3, first 2 shown]
	s_waitcnt lgkmcnt(2)
	v_fma_f64 v[82:83], -v[32:33], v[50:51], v[82:83]
	v_mul_f64 v[50:51], v[62:63], v[60:61]
	ds_read_b128 v[60:63], v66 offset:7584
	s_waitcnt lgkmcnt(2)
	v_fma_f64 v[56:57], -v[40:41], v[56:57], v[86:87]
	v_fma_f64 v[88:89], -v[46:47], v[90:91], v[88:89]
	;; [unrolled: 1-line block ×3, first 2 shown]
	s_waitcnt lgkmcnt(1)
	v_fma_f64 v[72:73], -v[36:37], v[72:73], v[80:81]
	ds_read_b128 v[76:79], v66 offset:8080
	v_fma_f64 v[52:53], -v[34:35], v[52:53], v[82:83]
	v_fma_f64 v[90:91], -v[42:43], v[58:59], v[56:57]
	ds_read_b128 v[56:59], v66 offset:7344
	s_waitcnt lgkmcnt(2)
	v_fma_f64 v[60:61], -v[40:41], v[60:61], v[86:87]
	v_fma_f64 v[92:93], -v[38:39], v[74:75], v[72:73]
	ds_read_b128 v[72:75], v66 offset:7840
	ds_read_b128 v[80:83], v66 offset:7104
	;; [unrolled: 1-line block ×3, first 2 shown]
	s_waitcnt lgkmcnt(4)
	v_fma_f64 v[52:53], -v[36:37], v[76:77], v[52:53]
	s_waitcnt lgkmcnt(3)
	v_fma_f64 v[56:57], -v[44:45], v[56:57], v[90:91]
	v_fma_f64 v[90:91], -v[50:51], v[70:71], v[68:69]
	;; [unrolled: 1-line block ×3, first 2 shown]
	ds_read_b128 v[60:63], v66 offset:7120
	ds_read_b128 v[68:71], v66 offset:8096
	v_fma_f64 v[52:53], -v[38:39], v[78:79], v[52:53]
	s_waitcnt lgkmcnt(3)
	v_fma_f64 v[78:79], -v[48:49], v[80:81], v[88:89]
	v_fma_f64 v[72:73], -v[40:41], v[72:73], v[92:93]
	;; [unrolled: 1-line block ×3, first 2 shown]
	ds_read_b128 v[56:59], v66 offset:7360
	s_waitcnt lgkmcnt(3)
	v_fma_f64 v[76:77], -v[44:45], v[84:85], v[76:77]
	s_waitcnt lgkmcnt(1)
	v_fma_f64 v[68:69], -v[40:41], v[68:69], v[52:53]
	v_mul_f64 v[52:53], v[54:55], v[90:91]
	v_fma_f64 v[78:79], -v[50:51], v[82:83], v[78:79]
	s_waitcnt lgkmcnt(0)
	v_fma_f64 v[80:81], -v[48:49], v[56:57], v[80:81]
	ds_read_b128 v[54:57], v66 offset:7616
	v_fma_f64 v[76:77], -v[46:47], v[86:87], v[76:77]
	v_fma_f64 v[84:85], -v[42:43], v[74:75], v[72:73]
	ds_read_b128 v[72:75], v66 offset:7856
	v_fma_f64 v[82:83], -v[42:43], v[70:71], v[68:69]
	ds_read_b128 v[68:71], v66 offset:8112
	v_fma_f64 v[78:79], -v[52:53], v[60:61], v[78:79]
	v_fma_f64 v[80:81], -v[50:51], v[58:59], v[80:81]
	ds_read_b128 v[58:61], v66 offset:7376
	s_waitcnt lgkmcnt(3)
	v_fma_f64 v[76:77], -v[48:49], v[54:55], v[76:77]
	v_mul_f64 v[54:55], v[62:63], v[78:79]
	s_waitcnt lgkmcnt(0)
	v_fma_f64 v[62:63], -v[52:53], v[58:59], v[80:81]
	v_fma_f64 v[76:77], -v[50:51], v[56:57], v[76:77]
	ds_read_b128 v[56:59], v66 offset:7632
	v_fma_f64 v[72:73], -v[44:45], v[72:73], v[84:85]
	v_fma_f64 v[80:81], -v[54:55], v[60:61], v[62:63]
	ds_read2_b64 v[60:63], v67 offset0:156 offset1:222
	s_waitcnt lgkmcnt(1)
	v_fma_f64 v[76:77], -v[52:53], v[56:57], v[76:77]
	v_fma_f64 v[84:85], -v[46:47], v[74:75], v[72:73]
	ds_read_b128 v[72:75], v66 offset:7872
	v_fma_f64 v[68:69], -v[44:45], v[68:69], v[82:83]
	s_waitcnt lgkmcnt(1)
	v_mul_f64 v[56:57], v[60:61], v[80:81]
	v_fma_f64 v[76:77], -v[54:55], v[58:59], v[76:77]
	s_waitcnt lgkmcnt(0)
	v_fma_f64 v[72:73], -v[48:49], v[72:73], v[84:85]
	v_fma_f64 v[78:79], -v[46:47], v[70:71], v[68:69]
	ds_read_b128 v[68:71], v66 offset:8128
	v_fma_f64 v[82:83], -v[50:51], v[74:75], v[72:73]
	ds_read_b128 v[72:75], v66 offset:7888
	s_waitcnt lgkmcnt(1)
	v_fma_f64 v[67:68], -v[48:49], v[68:69], v[78:79]
	s_waitcnt lgkmcnt(0)
	v_fma_f64 v[72:73], -v[52:53], v[72:73], v[82:83]
	v_fma_f64 v[78:79], -v[50:51], v[70:71], v[67:68]
	ds_read_b128 v[58:61], v66 offset:7648
	ds_read_b128 v[67:70], v66 offset:8144
	global_store_dwordx4 v[64:65], v[0:3], off
	s_waitcnt lgkmcnt(1)
	v_fma_f64 v[58:59], -v[56:57], v[58:59], v[76:77]
	v_fma_f64 v[75:76], -v[54:55], v[74:75], v[72:73]
	ds_read_b128 v[71:74], v66 offset:7904
	s_waitcnt lgkmcnt(1)
	v_fma_f64 v[67:68], -v[52:53], v[67:68], v[78:79]
	v_mul_f64 v[58:59], v[60:61], v[58:59]
	s_waitcnt lgkmcnt(0)
	v_fma_f64 v[60:61], -v[56:57], v[71:72], v[75:76]
	v_fma_f64 v[71:72], -v[54:55], v[69:70], v[67:68]
	ds_read_b128 v[67:70], v66 offset:8160
	v_fma_f64 v[60:61], -v[58:59], v[73:74], v[60:61]
	s_waitcnt lgkmcnt(0)
	v_fma_f64 v[67:68], -v[56:57], v[67:68], v[71:72]
	v_mul_f64 v[60:61], v[62:63], v[60:61]
	v_fma_f64 v[62:63], -v[58:59], v[69:70], v[67:68]
	ds_read_b128 v[66:69], v66 offset:8176
	global_store_dwordx4 v[64:65], v[4:7], off offset:16
	global_store_dwordx4 v[64:65], v[8:11], off offset:32
	;; [unrolled: 1-line block ×7, first 2 shown]
	s_waitcnt lgkmcnt(0)
	v_fma_f64 v[0:1], -v[60:61], v[66:67], v[62:63]
	v_mul_f64 v[62:63], v[68:69], v[0:1]
	global_store_dwordx4 v[64:65], v[32:35], off offset:128
	global_store_dwordx4 v[64:65], v[36:39], off offset:144
	;; [unrolled: 1-line block ×8, first 2 shown]
.LBB103_10:
	s_cmp_lt_i32 s4, s22
	s_cbranch_scc0 .LBB103_24
; %bb.11:
	s_or_b32 s8, s4, 27
	s_cmp_ge_u32 s8, s22
	s_cbranch_scc1 .LBB103_19
; %bb.12:
	s_lshl_b32 s5, s4, 3
	v_add_co_u32_e32 v56, vcc, s5, v64
	v_addc_co_u32_e32 v57, vcc, 0, v65, vcc
	global_load_dwordx4 v[0:3], v[56:57], off offset:48
	global_load_dwordx4 v[4:7], v[56:57], off offset:32
	global_load_dwordx4 v[8:11], v[56:57], off offset:16
	global_load_dwordx4 v[12:15], v[56:57], off
	global_load_dwordx4 v[16:19], v[56:57], off offset:112
	global_load_dwordx4 v[20:23], v[56:57], off offset:96
	;; [unrolled: 1-line block ×10, first 2 shown]
	s_andn2_b64 vcc, exec, s[2:3]
	s_cbranch_vccnz .LBB103_14
; %bb.13:
	s_lshl_b32 s7, s4, 8
	s_lshl_b32 s6, s8, 8
	s_mov_b64 s[2:3], 0
	s_branch .LBB103_15
.LBB103_14:
	s_mov_b64 s[2:3], -1
                                        ; implicit-def: $sgpr7
                                        ; implicit-def: $sgpr6
.LBB103_15:
	s_waitcnt vmcnt(10)
	v_mul_f64 v[72:73], s[0:1], v[12:13]
	v_mul_f64 v[70:71], s[0:1], v[14:15]
	v_mul_f64 v[68:69], s[0:1], v[8:9]
	v_mul_f64 v[12:13], s[0:1], v[10:11]
	v_mul_f64 v[4:5], s[0:1], v[4:5]
	v_mul_f64 v[10:11], s[0:1], v[6:7]
	v_mul_f64 v[6:7], s[0:1], v[0:1]
	v_mul_f64 v[8:9], s[0:1], v[2:3]
	s_waitcnt vmcnt(6)
	v_mul_f64 v[66:67], s[0:1], v[28:29]
	v_mul_f64 v[62:63], s[0:1], v[30:31]
	v_mul_f64 v[14:15], s[0:1], v[24:25]
	v_mul_f64 v[60:61], s[0:1], v[26:27]
	v_mul_f64 v[26:27], s[0:1], v[20:21]
	v_mul_f64 v[22:23], s[0:1], v[22:23]
	v_mul_f64 v[16:17], s[0:1], v[16:17]
	v_mul_f64 v[18:19], s[0:1], v[18:19]
	;; [unrolled: 9-line block ×3, first 2 shown]
	s_waitcnt vmcnt(0)
	v_mul_f64 v[38:39], s[0:1], v[52:53]
	v_mul_f64 v[40:41], s[0:1], v[54:55]
	;; [unrolled: 1-line block ×4, first 2 shown]
	s_andn2_b64 vcc, exec, s[2:3]
	s_cbranch_vccnz .LBB103_18
; %bb.16:
	s_lshl_b32 s7, s4, 8
	v_mov_b32_e32 v0, v64
	s_lshl_b32 s6, s8, 8
	v_mov_b32_e32 v1, v65
	s_mov_b32 s2, s7
	s_mov_b32 s3, s4
.LBB103_17:                             ; =>This Inner Loop Header: Depth=1
	global_load_dwordx2 v[2:3], v[0:1], off
	v_mov_b32_e32 v54, s2
	v_add_u32_e32 v55, 0x800, v54
	v_add_u32_e32 v110, 0x1000, v54
	ds_read2_b64 v[32:35], v54 offset1:32
	ds_read2_b64 v[50:53], v54 offset0:64 offset1:96
	ds_read2_b64 v[74:77], v54 offset0:128 offset1:160
	ds_read2_b64 v[78:81], v54 offset0:192 offset1:224
	v_add_u32_e32 v54, 0x1800, v54
	ds_read2_b64 v[82:85], v55 offset1:32
	ds_read2_b64 v[86:89], v55 offset0:64 offset1:96
	ds_read2_b64 v[90:93], v55 offset0:128 offset1:160
	;; [unrolled: 1-line block ×3, first 2 shown]
	ds_read2_b64 v[98:101], v110 offset1:32
	ds_read2_b64 v[102:105], v110 offset0:64 offset1:96
	ds_read2_b64 v[106:109], v110 offset0:128 offset1:160
	;; [unrolled: 1-line block ×3, first 2 shown]
	ds_read2_b64 v[114:117], v54 offset1:32
	ds_read2_b64 v[118:121], v54 offset0:64 offset1:96
	s_add_i32 s3, s3, -1
	s_add_i32 s2, s2, 8
	v_add_co_u32_e32 v0, vcc, 8, v0
	s_cmp_lg_u32 s3, 0
	v_addc_co_u32_e32 v1, vcc, 0, v1, vcc
	s_waitcnt vmcnt(0) lgkmcnt(13)
	v_fma_f64 v[72:73], -v[2:3], v[32:33], v[72:73]
	v_fma_f64 v[70:71], -v[2:3], v[34:35], v[70:71]
	s_waitcnt lgkmcnt(12)
	v_fma_f64 v[68:69], -v[2:3], v[50:51], v[68:69]
	v_fma_f64 v[12:13], -v[2:3], v[52:53], v[12:13]
	s_waitcnt lgkmcnt(11)
	;; [unrolled: 3-line block ×13, first 2 shown]
	v_fma_f64 v[48:49], -v[2:3], v[118:119], v[48:49]
	v_fma_f64 v[46:47], -v[2:3], v[120:121], v[46:47]
	s_cbranch_scc1 .LBB103_17
.LBB103_18:
	s_add_i32 s2, s5, s7
	v_mov_b32_e32 v51, s2
	ds_read2_b64 v[32:35], v51 offset1:66
	s_lshl_b32 s2, s4, 8
	s_add_i32 s2, s5, s2
	v_mov_b32_e32 v50, s2
	ds_read_b128 v[52:55], v50 offset:256
	s_waitcnt lgkmcnt(1)
	v_mul_f64 v[0:1], v[32:33], v[72:73]
	v_add_u32_e32 v120, 0x800, v51
	s_add_i32 s2, s5, s6
	s_or_b32 s4, s4, 28
	s_waitcnt lgkmcnt(0)
	v_fma_f64 v[2:3], -v[0:1], v[52:53], v[70:71]
	ds_read_b128 v[70:73], v50 offset:512
	v_mul_f64 v[2:3], v[54:55], v[2:3]
	ds_read_b128 v[52:55], v50 offset:768
	s_waitcnt lgkmcnt(1)
	v_fma_f64 v[32:33], -v[0:1], v[70:71], v[68:69]
	ds_read_b128 v[68:71], v50 offset:1024
	s_waitcnt lgkmcnt(1)
	v_fma_f64 v[12:13], -v[0:1], v[52:53], v[12:13]
	s_waitcnt lgkmcnt(0)
	v_fma_f64 v[68:69], -v[0:1], v[68:69], v[4:5]
	v_fma_f64 v[32:33], -v[2:3], v[72:73], v[32:33]
	;; [unrolled: 1-line block ×4, first 2 shown]
	v_mul_f64 v[4:5], v[34:35], v[32:33]
	ds_read_b128 v[32:35], v50 offset:1280
	ds_read_b128 v[52:55], v50 offset:784
	;; [unrolled: 1-line block ×3, first 2 shown]
	s_waitcnt lgkmcnt(2)
	v_fma_f64 v[32:33], -v[0:1], v[32:33], v[10:11]
	s_waitcnt lgkmcnt(0)
	v_fma_f64 v[72:73], -v[0:1], v[72:73], v[6:7]
	v_fma_f64 v[52:53], -v[4:5], v[52:53], v[12:13]
	ds_read_b128 v[10:13], v50 offset:1040
	ds_read_b128 v[68:71], v50 offset:1792
	v_fma_f64 v[78:79], -v[2:3], v[34:35], v[32:33]
	s_waitcnt lgkmcnt(1)
	v_fma_f64 v[10:11], -v[4:5], v[10:11], v[76:77]
	ds_read_b128 v[32:35], v50 offset:1296
	s_waitcnt lgkmcnt(1)
	v_fma_f64 v[68:69], -v[0:1], v[68:69], v[8:9]
	v_mul_f64 v[6:7], v[54:55], v[52:53]
	v_fma_f64 v[72:73], -v[2:3], v[74:75], v[72:73]
	s_waitcnt lgkmcnt(0)
	v_fma_f64 v[32:33], -v[4:5], v[32:33], v[78:79]
	v_fma_f64 v[74:75], -v[2:3], v[70:71], v[68:69]
	;; [unrolled: 1-line block ×3, first 2 shown]
	ds_read_b128 v[8:11], v50 offset:1552
	ds_read2_b64 v[52:55], v51 offset0:132 offset1:198
	v_fma_f64 v[76:77], -v[6:7], v[34:35], v[32:33]
	s_waitcnt lgkmcnt(1)
	v_fma_f64 v[72:73], -v[4:5], v[8:9], v[72:73]
	ds_read_b128 v[32:35], v50 offset:1808
	ds_read_b128 v[68:71], v50 offset:1312
	s_waitcnt lgkmcnt(2)
	v_mul_f64 v[8:9], v[52:53], v[12:13]
	s_waitcnt lgkmcnt(1)
	v_fma_f64 v[32:33], -v[4:5], v[32:33], v[74:75]
	v_fma_f64 v[52:53], -v[6:7], v[10:11], v[72:73]
	ds_read_b128 v[10:13], v50 offset:1568
	s_waitcnt lgkmcnt(1)
	v_fma_f64 v[68:69], -v[8:9], v[68:69], v[76:77]
	v_fma_f64 v[72:73], -v[6:7], v[34:35], v[32:33]
	ds_read_b128 v[32:35], v50 offset:1824
	s_waitcnt lgkmcnt(1)
	v_fma_f64 v[52:53], -v[8:9], v[10:11], v[52:53]
	v_mul_f64 v[10:11], v[70:71], v[68:69]
	s_waitcnt lgkmcnt(0)
	v_fma_f64 v[32:33], -v[8:9], v[32:33], v[72:73]
	ds_read_b128 v[68:71], v50 offset:1840
	ds_read_b128 v[72:75], v50 offset:2048
	;; [unrolled: 1-line block ×4, first 2 shown]
	s_waitcnt lgkmcnt(2)
	v_fma_f64 v[72:73], -v[0:1], v[72:73], v[66:67]
	v_fma_f64 v[12:13], -v[10:11], v[12:13], v[52:53]
	v_fma_f64 v[100:101], -v[10:11], v[34:35], v[32:33]
	v_mul_f64 v[12:13], v[54:55], v[12:13]
	ds_read_b128 v[32:35], v50 offset:2096
	ds_read2_b64 v[52:55], v120 offset0:8 offset1:74
	ds_read_b128 v[84:87], v50 offset:2304
	ds_read_b128 v[88:91], v50 offset:2320
	;; [unrolled: 1-line block ×4, first 2 shown]
	s_waitcnt lgkmcnt(3)
	v_fma_f64 v[62:63], -v[0:1], v[84:85], v[62:63]
	v_fma_f64 v[84:85], -v[2:3], v[74:75], v[72:73]
	;; [unrolled: 1-line block ×3, first 2 shown]
	ds_read_b128 v[66:69], v50 offset:2368
	ds_read_b128 v[100:103], v50 offset:2560
	;; [unrolled: 1-line block ×4, first 2 shown]
	s_waitcnt lgkmcnt(2)
	v_fma_f64 v[100:101], -v[0:1], v[100:101], v[14:15]
	v_fma_f64 v[84:85], -v[4:5], v[76:77], v[84:85]
	s_waitcnt lgkmcnt(0)
	v_fma_f64 v[116:117], -v[0:1], v[72:73], v[60:61]
	v_fma_f64 v[86:87], -v[2:3], v[86:87], v[62:63]
	v_mul_f64 v[14:15], v[70:71], v[108:109]
	ds_read_b128 v[108:111], v50 offset:2592
	ds_read_b128 v[112:115], v50 offset:3072
	;; [unrolled: 1-line block ×4, first 2 shown]
	v_fma_f64 v[118:119], -v[2:3], v[102:103], v[100:101]
	v_fma_f64 v[78:79], -v[6:7], v[78:79], v[84:85]
	s_waitcnt lgkmcnt(2)
	v_fma_f64 v[26:27], -v[0:1], v[112:113], v[26:27]
	v_fma_f64 v[112:113], -v[2:3], v[74:75], v[116:117]
	;; [unrolled: 1-line block ×3, first 2 shown]
	s_waitcnt lgkmcnt(0)
	v_fma_f64 v[16:17], -v[0:1], v[70:71], v[16:17]
	ds_read_b128 v[100:103], v50 offset:2832
	ds_read_b128 v[74:77], v50 offset:2608
	;; [unrolled: 1-line block ×3, first 2 shown]
	v_fma_f64 v[116:117], -v[8:9], v[80:81], v[78:79]
	ds_read_b128 v[78:81], v50 offset:3344
	v_fma_f64 v[22:23], -v[0:1], v[60:61], v[22:23]
	v_fma_f64 v[104:105], -v[4:5], v[104:105], v[118:119]
	v_fma_f64 v[26:27], -v[2:3], v[114:115], v[26:27]
	v_fma_f64 v[114:115], -v[6:7], v[90:91], v[88:89]
	v_fma_f64 v[16:17], -v[2:3], v[72:73], v[16:17]
	ds_read_b128 v[70:73], v50 offset:3088
	ds_read_b128 v[88:91], v50 offset:2864
	v_fma_f64 v[22:23], -v[2:3], v[62:63], v[22:23]
	ds_read_b128 v[60:63], v50 offset:2848
	s_waitcnt lgkmcnt(6)
	v_fma_f64 v[100:101], -v[4:5], v[100:101], v[112:113]
	v_fma_f64 v[112:113], -v[6:7], v[106:107], v[104:105]
	;; [unrolled: 1-line block ×3, first 2 shown]
	ds_read_b128 v[104:107], v50 offset:2880
	s_waitcnt lgkmcnt(4)
	v_fma_f64 v[22:23], -v[4:5], v[78:79], v[22:23]
	v_fma_f64 v[78:79], -v[6:7], v[102:103], v[100:101]
	ds_read_b128 v[100:103], v50 offset:2896
	s_waitcnt lgkmcnt(4)
	v_fma_f64 v[26:27], -v[4:5], v[70:71], v[26:27]
	v_fma_f64 v[70:71], -v[10:11], v[82:83], v[116:117]
	;; [unrolled: 1-line block ×4, first 2 shown]
	ds_read_b128 v[92:95], v50 offset:3104
	v_fma_f64 v[22:23], -v[6:7], v[80:81], v[22:23]
	s_waitcnt lgkmcnt(3)
	v_fma_f64 v[60:61], -v[8:9], v[60:61], v[78:79]
	ds_read_b128 v[78:81], v50 offset:3136
	v_fma_f64 v[26:27], -v[6:7], v[72:73], v[26:27]
	v_fma_f64 v[32:33], -v[12:13], v[32:33], v[70:71]
	;; [unrolled: 1-line block ×4, first 2 shown]
	ds_read_b128 v[70:73], v50 offset:3120
	ds_read_b128 v[108:111], v50 offset:3152
	s_waitcnt lgkmcnt(3)
	v_fma_f64 v[26:27], -v[8:9], v[92:93], v[26:27]
	v_fma_f64 v[112:113], -v[14:15], v[34:35], v[32:33]
	ds_read_b128 v[32:35], v50 offset:3600
	v_fma_f64 v[74:75], -v[12:13], v[74:75], v[82:83]
	v_fma_f64 v[92:93], -v[10:11], v[62:63], v[60:61]
	ds_read_b128 v[60:63], v50 offset:3360
	v_fma_f64 v[82:83], -v[14:15], v[98:99], v[96:97]
	ds_read_b128 v[96:99], v50 offset:3840
	s_waitcnt lgkmcnt(2)
	v_fma_f64 v[32:33], -v[4:5], v[32:33], v[16:17]
	v_mul_f64 v[16:17], v[52:53], v[112:113]
	v_fma_f64 v[26:27], -v[10:11], v[94:95], v[26:27]
	v_fma_f64 v[112:113], -v[14:15], v[76:77], v[74:75]
	ds_read_b128 v[74:77], v50 offset:3376
	s_waitcnt lgkmcnt(2)
	v_fma_f64 v[22:23], -v[8:9], v[60:61], v[22:23]
	v_fma_f64 v[52:53], -v[12:13], v[88:89], v[92:93]
	s_waitcnt lgkmcnt(1)
	v_fma_f64 v[18:19], -v[0:1], v[96:97], v[18:19]
	v_fma_f64 v[96:97], -v[6:7], v[34:35], v[32:33]
	;; [unrolled: 1-line block ×4, first 2 shown]
	ds_read_b128 v[92:95], v50 offset:3856
	ds_read_b128 v[32:35], v50 offset:3392
	v_fma_f64 v[22:23], -v[10:11], v[62:63], v[22:23]
	ds_read_b128 v[60:63], v50 offset:3616
	v_fma_f64 v[52:53], -v[14:15], v[90:91], v[52:53]
	v_fma_f64 v[70:71], -v[2:3], v[98:99], v[18:19]
	v_mul_f64 v[18:19], v[68:69], v[66:67]
	ds_read_b128 v[88:91], v50 offset:3408
	s_waitcnt lgkmcnt(1)
	v_fma_f64 v[60:61], -v[8:9], v[60:61], v[96:97]
	v_fma_f64 v[96:97], -v[16:17], v[84:85], v[112:113]
	ds_read_b128 v[66:69], v50 offset:3632
	ds_read_b128 v[82:85], v50 offset:4096
	v_fma_f64 v[22:23], -v[12:13], v[74:75], v[22:23]
	v_fma_f64 v[26:27], -v[14:15], v[72:73], v[26:27]
	;; [unrolled: 1-line block ×4, first 2 shown]
	s_waitcnt lgkmcnt(0)
	v_fma_f64 v[82:83], -v[0:1], v[82:83], v[20:21]
	v_fma_f64 v[72:73], -v[10:11], v[62:63], v[60:61]
	;; [unrolled: 1-line block ×3, first 2 shown]
	ds_read_b128 v[60:63], v50 offset:4112
	v_fma_f64 v[22:23], -v[14:15], v[76:77], v[22:23]
	v_fma_f64 v[26:27], -v[16:17], v[78:79], v[26:27]
	;; [unrolled: 1-line block ×6, first 2 shown]
	v_mul_f64 v[20:21], v[54:55], v[74:75]
	ds_read_b128 v[52:55], v50 offset:3648
	ds_read_b128 v[70:73], v50 offset:3872
	v_fma_f64 v[22:23], -v[16:17], v[32:33], v[22:23]
	v_fma_f64 v[26:27], -v[18:19], v[80:81], v[26:27]
	s_waitcnt lgkmcnt(0)
	v_fma_f64 v[70:71], -v[8:9], v[70:71], v[78:79]
	v_fma_f64 v[32:33], -v[14:15], v[68:69], v[66:67]
	;; [unrolled: 1-line block ×6, first 2 shown]
	ds_read2_b64 v[66:69], v120 offset0:140 offset1:206
	ds_read_b128 v[74:77], v50 offset:3888
	v_fma_f64 v[82:83], -v[10:11], v[72:73], v[70:71]
	v_fma_f64 v[52:53], -v[16:17], v[52:53], v[32:33]
	v_mul_f64 v[22:23], v[102:103], v[78:79]
	v_fma_f64 v[78:79], -v[6:7], v[62:63], v[60:61]
	ds_read_b128 v[32:35], v50 offset:4352
	ds_read_b128 v[60:63], v50 offset:4128
	;; [unrolled: 1-line block ×3, first 2 shown]
	s_waitcnt lgkmcnt(3)
	v_fma_f64 v[74:75], -v[12:13], v[74:75], v[82:83]
	s_waitcnt lgkmcnt(2)
	v_fma_f64 v[24:25], -v[0:1], v[32:33], v[24:25]
	v_fma_f64 v[32:33], -v[18:19], v[54:55], v[52:53]
	;; [unrolled: 1-line block ×3, first 2 shown]
	s_waitcnt lgkmcnt(1)
	v_fma_f64 v[60:61], -v[8:9], v[60:61], v[78:79]
	v_fma_f64 v[82:83], -v[20:21], v[88:89], v[80:81]
	ds_read_b128 v[52:55], v50 offset:4368
	ds_read_b128 v[78:81], v50 offset:4144
	v_fma_f64 v[74:75], -v[14:15], v[76:77], v[74:75]
	v_fma_f64 v[84:85], -v[2:3], v[34:35], v[24:25]
	v_mul_f64 v[24:25], v[66:67], v[26:27]
	v_fma_f64 v[26:27], -v[10:11], v[62:63], v[60:61]
	ds_read_b128 v[60:63], v50 offset:3424
	s_waitcnt lgkmcnt(3)
	v_fma_f64 v[70:71], -v[20:21], v[70:71], v[32:33]
	ds_read_b128 v[32:35], v50 offset:3904
	v_fma_f64 v[76:77], -v[22:23], v[90:91], v[82:83]
	s_waitcnt lgkmcnt(3)
	v_fma_f64 v[52:53], -v[4:5], v[52:53], v[84:85]
	v_fma_f64 v[66:67], -v[22:23], v[72:73], v[70:71]
	ds_read_b128 v[70:73], v50 offset:3680
	s_waitcnt lgkmcnt(1)
	v_fma_f64 v[32:33], -v[16:17], v[32:33], v[74:75]
	v_fma_f64 v[60:61], -v[24:25], v[60:61], v[76:77]
	ds_read_b128 v[74:77], v50 offset:3920
	v_fma_f64 v[78:79], -v[12:13], v[78:79], v[26:27]
	v_fma_f64 v[82:83], -v[6:7], v[54:55], v[52:53]
	s_waitcnt lgkmcnt(1)
	v_fma_f64 v[66:67], -v[24:25], v[70:71], v[66:67]
	v_fma_f64 v[70:71], -v[18:19], v[34:35], v[32:33]
	ds_read_b128 v[32:35], v50 offset:4608
	ds_read_b128 v[52:55], v50 offset:4384
	v_mul_f64 v[26:27], v[62:63], v[60:61]
	v_fma_f64 v[86:87], -v[14:15], v[80:81], v[78:79]
	ds_read_b128 v[60:63], v50 offset:4160
	s_waitcnt lgkmcnt(2)
	v_fma_f64 v[32:33], -v[0:1], v[32:33], v[58:59]
	s_waitcnt lgkmcnt(1)
	v_fma_f64 v[52:53], -v[8:9], v[52:53], v[82:83]
	ds_read_b128 v[78:81], v50 offset:4400
	ds_read_b128 v[82:85], v50 offset:4176
	v_fma_f64 v[58:59], -v[20:21], v[74:75], v[70:71]
	v_fma_f64 v[66:67], -v[26:27], v[72:73], v[66:67]
	s_waitcnt lgkmcnt(2)
	v_fma_f64 v[70:71], -v[16:17], v[60:61], v[86:87]
	v_fma_f64 v[74:75], -v[2:3], v[34:35], v[32:33]
	v_fma_f64 v[86:87], -v[10:11], v[54:55], v[52:53]
	v_fma_f64 v[90:91], -v[22:23], v[76:77], v[58:59]
	ds_read_b128 v[32:35], v50 offset:4624
	ds_read_b128 v[52:55], v50 offset:3936
	;; [unrolled: 1-line block ×3, first 2 shown]
	v_fma_f64 v[62:63], -v[18:19], v[62:63], v[70:71]
	ds_read_b128 v[70:73], v50 offset:4640
	s_waitcnt lgkmcnt(3)
	v_fma_f64 v[32:33], -v[4:5], v[32:33], v[74:75]
	v_fma_f64 v[78:79], -v[12:13], v[78:79], v[86:87]
	s_waitcnt lgkmcnt(1)
	v_fma_f64 v[28:29], -v[0:1], v[58:59], v[28:29]
	v_fma_f64 v[52:53], -v[24:25], v[52:53], v[90:91]
	ds_read_b128 v[74:77], v50 offset:4880
	ds_read_b128 v[86:89], v50 offset:3952
	;; [unrolled: 1-line block ×3, first 2 shown]
	v_fma_f64 v[58:59], -v[20:21], v[82:83], v[62:63]
	v_fma_f64 v[62:63], -v[6:7], v[34:35], v[32:33]
	;; [unrolled: 1-line block ×5, first 2 shown]
	ds_read_b128 v[52:55], v50 offset:5120
	ds_read_b128 v[32:35], v50 offset:4416
	v_fma_f64 v[96:97], -v[22:23], v[84:85], v[58:59]
	v_mul_f64 v[28:29], v[68:69], v[66:67]
	s_waitcnt lgkmcnt(5)
	v_fma_f64 v[62:63], -v[8:9], v[70:71], v[62:63]
	s_waitcnt lgkmcnt(1)
	v_fma_f64 v[44:45], -v[0:1], v[52:53], v[44:45]
	v_fma_f64 v[74:75], -v[4:5], v[74:75], v[80:81]
	ds_read_b128 v[58:61], v50 offset:4432
	ds_read_b128 v[66:69], v50 offset:4192
	s_waitcnt lgkmcnt(2)
	v_fma_f64 v[32:33], -v[16:17], v[32:33], v[78:79]
	ds_read_b128 v[78:81], v50 offset:4208
	ds_read_b128 v[82:85], v50 offset:5136
	v_fma_f64 v[62:63], -v[10:11], v[72:73], v[62:63]
	ds_read_b128 v[70:73], v50 offset:4656
	s_waitcnt lgkmcnt(3)
	v_fma_f64 v[66:67], -v[24:25], v[66:67], v[96:97]
	v_fma_f64 v[44:45], -v[2:3], v[54:55], v[44:45]
	;; [unrolled: 1-line block ×4, first 2 shown]
	ds_read_b128 v[32:35], v50 offset:4672
	ds_read_b128 v[52:55], v50 offset:4896
	;; [unrolled: 1-line block ×3, first 2 shown]
	s_waitcnt lgkmcnt(3)
	v_fma_f64 v[62:63], -v[12:13], v[70:71], v[62:63]
	v_fma_f64 v[70:71], -v[28:29], v[86:87], v[94:95]
	;; [unrolled: 1-line block ×3, first 2 shown]
	s_waitcnt lgkmcnt(1)
	v_fma_f64 v[52:53], -v[8:9], v[52:53], v[96:97]
	v_fma_f64 v[82:83], -v[26:27], v[68:69], v[66:67]
	ds_read_b128 v[66:69], v50 offset:5392
	s_waitcnt lgkmcnt(1)
	v_fma_f64 v[74:75], -v[0:1], v[74:75], v[30:31]
	v_fma_f64 v[62:63], -v[14:15], v[72:73], v[62:63]
	;; [unrolled: 1-line block ×3, first 2 shown]
	ds_read_b128 v[94:97], v50 offset:4912
	v_fma_f64 v[44:45], -v[6:7], v[84:85], v[44:45]
	v_fma_f64 v[72:73], -v[10:11], v[54:55], v[52:53]
	ds_read_b128 v[52:55], v50 offset:5152
	v_fma_f64 v[78:79], -v[28:29], v[78:79], v[82:83]
	v_fma_f64 v[74:75], -v[2:3], v[76:77], v[74:75]
	;; [unrolled: 1-line block ×4, first 2 shown]
	v_mul_f64 v[30:31], v[88:89], v[70:71]
	s_waitcnt lgkmcnt(0)
	v_fma_f64 v[44:45], -v[8:9], v[52:53], v[44:45]
	v_fma_f64 v[52:53], -v[12:13], v[94:95], v[72:73]
	ds_read_b128 v[58:61], v50 offset:4448
	ds_read_b128 v[70:73], v50 offset:4464
	v_add_u32_e32 v94, 0x1000, v51
	v_fma_f64 v[66:67], -v[4:5], v[66:67], v[74:75]
	v_fma_f64 v[82:83], -v[18:19], v[34:35], v[32:33]
	ds_read_b128 v[32:35], v50 offset:4688
	s_waitcnt lgkmcnt(2)
	v_fma_f64 v[58:59], -v[24:25], v[58:59], v[62:63]
	v_fma_f64 v[44:45], -v[10:11], v[54:55], v[44:45]
	;; [unrolled: 1-line block ×3, first 2 shown]
	ds_read_b128 v[74:77], v50 offset:5168
	ds_read_b128 v[52:55], v50 offset:4928
	v_fma_f64 v[62:63], -v[6:7], v[68:69], v[66:67]
	ds_read_b128 v[66:69], v50 offset:4704
	s_waitcnt lgkmcnt(3)
	v_fma_f64 v[32:33], -v[20:21], v[32:33], v[82:83]
	ds_read_b128 v[82:85], v50 offset:5408
	v_mov_b32_e32 v96, s2
	v_add_u32_e32 v51, 0x1800, v51
	s_waitcnt lgkmcnt(0)
	v_fma_f64 v[62:63], -v[8:9], v[82:83], v[62:63]
	v_fma_f64 v[82:83], -v[30:31], v[80:81], v[78:79]
	;; [unrolled: 1-line block ×3, first 2 shown]
	ds_read_b128 v[32:35], v50 offset:5184
	v_fma_f64 v[44:45], -v[12:13], v[74:75], v[44:45]
	v_fma_f64 v[74:75], -v[26:27], v[60:61], v[58:59]
	ds_read_b128 v[58:61], v50 offset:4944
	v_fma_f64 v[52:53], -v[16:17], v[52:53], v[86:87]
	v_fma_f64 v[62:63], -v[10:11], v[84:85], v[62:63]
	;; [unrolled: 1-line block ×6, first 2 shown]
	ds_read2_b64 v[52:55], v94 offset0:16 offset1:82
	ds_read_b128 v[74:77], v50 offset:5424
	ds_read_b128 v[78:81], v50 offset:5632
	s_waitcnt lgkmcnt(4)
	v_fma_f64 v[84:85], -v[16:17], v[32:33], v[44:45]
	s_waitcnt lgkmcnt(2)
	v_mul_f64 v[32:33], v[52:53], v[82:83]
	v_fma_f64 v[52:53], -v[20:21], v[58:59], v[86:87]
	s_waitcnt lgkmcnt(1)
	v_fma_f64 v[58:59], -v[12:13], v[74:75], v[62:63]
	v_fma_f64 v[62:63], -v[30:31], v[72:73], v[70:71]
	;; [unrolled: 1-line block ×5, first 2 shown]
	ds_read_b128 v[74:77], v50 offset:5648
	s_waitcnt lgkmcnt(1)
	v_fma_f64 v[70:71], -v[0:1], v[78:79], v[42:43]
	ds_read_b128 v[42:45], v50 offset:5200
	v_fma_f64 v[78:79], -v[26:27], v[68:69], v[66:67]
	ds_read_b128 v[66:69], v50 offset:4720
	ds_read_b128 v[58:61], v50 offset:4960
	v_fma_f64 v[62:63], -v[32:33], v[90:91], v[62:63]
	v_fma_f64 v[84:85], -v[2:3], v[80:81], v[70:71]
	ds_read_b128 v[70:73], v50 offset:5440
	s_waitcnt lgkmcnt(3)
	v_fma_f64 v[34:35], -v[20:21], v[42:43], v[34:35]
	s_waitcnt lgkmcnt(2)
	v_fma_f64 v[42:43], -v[28:29], v[66:67], v[78:79]
	;; [unrolled: 2-line block ×3, first 2 shown]
	ds_read_b128 v[78:81], v50 offset:4736
	s_waitcnt lgkmcnt(1)
	v_fma_f64 v[66:67], -v[16:17], v[70:71], v[82:83]
	v_fma_f64 v[58:59], -v[4:5], v[74:75], v[84:85]
	ds_read_b128 v[82:85], v50 offset:4976
	v_fma_f64 v[34:35], -v[22:23], v[44:45], v[34:35]
	v_fma_f64 v[70:71], -v[30:31], v[68:69], v[42:43]
	ds_read_b128 v[42:45], v50 offset:5216
	;; [unrolled: 3-line block ×3, first 2 shown]
	v_fma_f64 v[74:75], -v[6:7], v[76:77], v[58:59]
	ds_read_b128 v[58:61], v50 offset:5456
	s_waitcnt lgkmcnt(2)
	v_fma_f64 v[42:43], -v[24:25], v[42:43], v[34:35]
	v_mul_f64 v[34:35], v[92:93], v[62:63]
	v_fma_f64 v[62:63], -v[32:33], v[78:79], v[70:71]
	v_fma_f64 v[52:53], -v[28:29], v[82:83], v[52:53]
	s_waitcnt lgkmcnt(0)
	v_fma_f64 v[58:59], -v[20:21], v[58:59], v[72:73]
	v_fma_f64 v[66:67], -v[8:9], v[66:67], v[74:75]
	;; [unrolled: 1-line block ×3, first 2 shown]
	ds_read_b128 v[42:45], v50 offset:5232
	v_fma_f64 v[62:63], -v[34:35], v[80:81], v[62:63]
	v_fma_f64 v[52:53], -v[30:31], v[84:85], v[52:53]
	;; [unrolled: 1-line block ×3, first 2 shown]
	ds_read_b128 v[58:61], v50 offset:5472
	v_fma_f64 v[82:83], -v[10:11], v[68:69], v[66:67]
	s_waitcnt lgkmcnt(1)
	v_fma_f64 v[42:43], -v[28:29], v[42:43], v[70:71]
	ds_read_b128 v[66:69], v50 offset:5680
	ds_read_b128 v[70:73], v50 offset:5888
	;; [unrolled: 1-line block ×3, first 2 shown]
	s_waitcnt lgkmcnt(3)
	v_fma_f64 v[58:59], -v[24:25], v[58:59], v[78:79]
	s_waitcnt lgkmcnt(1)
	v_fma_f64 v[36:37], -v[0:1], v[70:71], v[36:37]
	v_fma_f64 v[66:67], -v[12:13], v[66:67], v[82:83]
	s_waitcnt lgkmcnt(0)
	v_fma_f64 v[52:53], -v[32:33], v[74:75], v[52:53]
	v_fma_f64 v[70:71], -v[30:31], v[44:45], v[42:43]
	ds_read_b128 v[78:81], v50 offset:5488
	ds_read_b128 v[82:85], v50 offset:5696
	;; [unrolled: 1-line block ×3, first 2 shown]
	v_fma_f64 v[74:75], -v[26:27], v[60:61], v[58:59]
	ds_read_b128 v[58:61], v50 offset:5248
	v_fma_f64 v[66:67], -v[14:15], v[68:69], v[66:67]
	v_fma_f64 v[68:69], -v[2:3], v[72:73], v[36:37]
	v_mul_f64 v[36:37], v[54:55], v[62:63]
	v_fma_f64 v[62:63], -v[34:35], v[76:77], v[52:53]
	ds_read_b128 v[52:55], v50 offset:5008
	s_waitcnt lgkmcnt(1)
	v_fma_f64 v[58:59], -v[32:33], v[58:59], v[70:71]
	v_fma_f64 v[70:71], -v[28:29], v[78:79], v[74:75]
	;; [unrolled: 1-line block ×3, first 2 shown]
	s_waitcnt lgkmcnt(0)
	v_fma_f64 v[52:53], -v[36:37], v[52:53], v[62:63]
	v_fma_f64 v[62:63], -v[34:35], v[60:61], v[58:59]
	ds_read_b128 v[58:61], v50 offset:6144
	v_fma_f64 v[42:43], -v[4:5], v[42:43], v[68:69]
	v_fma_f64 v[82:83], -v[30:31], v[80:81], v[70:71]
	ds_read_b128 v[66:69], v50 offset:5264
	ds_read_b128 v[70:73], v50 offset:5504
	v_fma_f64 v[86:87], -v[18:19], v[84:85], v[74:75]
	s_waitcnt lgkmcnt(2)
	v_fma_f64 v[38:39], -v[0:1], v[58:59], v[38:39]
	s_waitcnt lgkmcnt(1)
	v_fma_f64 v[62:63], -v[36:37], v[66:67], v[62:63]
	v_fma_f64 v[88:89], -v[6:7], v[44:45], v[42:43]
	s_waitcnt lgkmcnt(0)
	v_fma_f64 v[58:59], -v[32:33], v[70:71], v[82:83]
	ds_read_b128 v[42:45], v50 offset:5712
	ds_read_b128 v[74:77], v50 offset:5920
	;; [unrolled: 1-line block ×4, first 2 shown]
	s_waitcnt lgkmcnt(3)
	v_fma_f64 v[42:43], -v[20:21], v[42:43], v[86:87]
	s_waitcnt lgkmcnt(2)
	v_fma_f64 v[70:71], -v[8:9], v[74:75], v[88:89]
	v_fma_f64 v[74:75], -v[2:3], v[60:61], v[38:39]
	v_mul_f64 v[38:39], v[54:55], v[52:53]
	v_fma_f64 v[66:67], -v[34:35], v[72:73], v[58:59]
	ds_read_b128 v[52:55], v50 offset:5728
	ds_read_b128 v[58:61], v50 offset:5936
	v_fma_f64 v[86:87], -v[22:23], v[44:45], v[42:43]
	ds_read2_b64 v[42:45], v94 offset0:148 offset1:214
	v_fma_f64 v[76:77], -v[10:11], v[76:77], v[70:71]
	s_waitcnt lgkmcnt(4)
	v_fma_f64 v[74:75], -v[4:5], v[78:79], v[74:75]
	ds_read_b128 v[70:73], v50 offset:5536
	v_fma_f64 v[62:63], -v[38:39], v[68:69], v[62:63]
	s_waitcnt lgkmcnt(4)
	v_fma_f64 v[82:83], -v[36:37], v[82:83], v[66:67]
	ds_read_b128 v[66:69], v50 offset:6400
	s_waitcnt lgkmcnt(4)
	v_fma_f64 v[52:53], -v[24:25], v[52:53], v[86:87]
	s_waitcnt lgkmcnt(3)
	v_fma_f64 v[58:59], -v[12:13], v[58:59], v[76:77]
	v_fma_f64 v[86:87], -v[6:7], v[80:81], v[74:75]
	s_waitcnt lgkmcnt(0)
	v_fma_f64 v[66:67], -v[0:1], v[66:67], v[40:41]
	ds_read_b128 v[74:77], v50 offset:6176
	v_mul_f64 v[40:41], v[42:43], v[62:63]
	v_fma_f64 v[42:43], -v[38:39], v[84:85], v[82:83]
	ds_read_b128 v[82:85], v50 offset:6656
	ds_read_b128 v[78:81], v50 offset:6416
	v_fma_f64 v[92:93], -v[14:15], v[60:61], v[58:59]
	ds_read_b128 v[58:61], v50 offset:5952
	s_waitcnt lgkmcnt(3)
	v_fma_f64 v[74:75], -v[8:9], v[74:75], v[86:87]
	v_fma_f64 v[90:91], -v[2:3], v[68:69], v[66:67]
	s_waitcnt lgkmcnt(2)
	v_fma_f64 v[48:49], -v[0:1], v[82:83], v[48:49]
	v_fma_f64 v[62:63], -v[26:27], v[54:55], v[52:53]
	ds_read_b128 v[52:55], v50 offset:6192
	ds_read_b128 v[66:69], v96
	ds_read_b128 v[86:89], v50 offset:5744
	s_waitcnt lgkmcnt(3)
	v_fma_f64 v[58:59], -v[16:17], v[58:59], v[92:93]
	v_fma_f64 v[42:43], -v[40:41], v[70:71], v[42:43]
	;; [unrolled: 1-line block ×5, first 2 shown]
	s_waitcnt lgkmcnt(1)
	v_fma_f64 v[66:67], -v[0:1], v[66:67], v[46:47]
	ds_read_b128 v[46:49], v50 offset:6672
	ds_read_b128 v[74:77], v50 offset:5760
	;; [unrolled: 1-line block ×3, first 2 shown]
	s_waitcnt lgkmcnt(3)
	v_fma_f64 v[62:63], -v[28:29], v[86:87], v[62:63]
	v_fma_f64 v[86:87], -v[18:19], v[60:61], v[58:59]
	ds_read_b128 v[58:61], v50 offset:6208
	v_fma_f64 v[52:53], -v[12:13], v[52:53], v[94:95]
	v_fma_f64 v[92:93], -v[6:7], v[80:81], v[78:79]
	s_waitcnt lgkmcnt(3)
	v_fma_f64 v[46:47], -v[4:5], v[46:47], v[90:91]
	v_fma_f64 v[90:91], -v[2:3], v[68:69], v[66:67]
	ds_read_b128 v[78:81], v50 offset:6432
	ds_read_b128 v[66:69], v96 offset:16
	v_fma_f64 v[62:63], -v[30:31], v[88:89], v[62:63]
	s_waitcnt lgkmcnt(3)
	v_fma_f64 v[82:83], -v[20:21], v[82:83], v[86:87]
	v_mul_f64 v[42:43], v[72:73], v[42:43]
	s_waitcnt lgkmcnt(0)
	v_fma_f64 v[66:67], -v[4:5], v[66:67], v[90:91]
	v_fma_f64 v[90:91], -v[14:15], v[54:55], v[52:53]
	ds_read_b128 v[52:55], v50 offset:6448
	v_fma_f64 v[78:79], -v[8:9], v[78:79], v[92:93]
	v_fma_f64 v[92:93], -v[6:7], v[48:49], v[46:47]
	ds_read_b128 v[46:49], v50 offset:6688
	v_fma_f64 v[62:63], -v[32:33], v[74:75], v[62:63]
	v_fma_f64 v[82:83], -v[22:23], v[84:85], v[82:83]
	;; [unrolled: 1-line block ×3, first 2 shown]
	ds_read_b128 v[66:69], v50 offset:6224
	v_fma_f64 v[88:89], -v[10:11], v[80:81], v[78:79]
	ds_read_b128 v[78:81], v96 offset:32
	v_fma_f64 v[62:63], -v[34:35], v[76:77], v[62:63]
	s_waitcnt lgkmcnt(3)
	v_fma_f64 v[52:53], -v[12:13], v[52:53], v[88:89]
	v_fma_f64 v[88:89], -v[14:15], v[54:55], v[52:53]
	ds_read_b128 v[52:55], v50 offset:6464
	s_waitcnt lgkmcnt(3)
	v_fma_f64 v[46:47], -v[8:9], v[46:47], v[92:93]
	s_waitcnt lgkmcnt(0)
	v_fma_f64 v[52:53], -v[16:17], v[52:53], v[88:89]
	v_fma_f64 v[70:71], -v[10:11], v[48:49], v[46:47]
	ds_read_b128 v[46:49], v50 offset:6704
	v_fma_f64 v[74:75], -v[8:9], v[78:79], v[86:87]
	v_fma_f64 v[88:89], -v[18:19], v[54:55], v[52:53]
	ds_read_b128 v[52:55], v50 offset:6240
	s_waitcnt lgkmcnt(1)
	v_fma_f64 v[46:47], -v[12:13], v[46:47], v[70:71]
	v_fma_f64 v[70:71], -v[10:11], v[80:81], v[74:75]
	ds_read_b128 v[78:81], v50 offset:6000
	v_fma_f64 v[58:59], -v[16:17], v[58:59], v[90:91]
	v_fma_f64 v[74:75], -v[14:15], v[48:49], v[46:47]
	ds_read_b128 v[46:49], v50 offset:6720
	v_fma_f64 v[86:87], -v[18:19], v[60:61], v[58:59]
	ds_read_b128 v[58:61], v50 offset:5984
	v_fma_f64 v[66:67], -v[20:21], v[66:67], v[86:87]
	v_fma_f64 v[86:87], -v[22:23], v[68:69], v[66:67]
	ds_read_b128 v[66:69], v50 offset:5776
	s_waitcnt lgkmcnt(1)
	v_fma_f64 v[58:59], -v[24:25], v[58:59], v[82:83]
	ds_read_b128 v[82:85], v96 offset:48
	s_waitcnt lgkmcnt(1)
	v_fma_f64 v[62:63], -v[36:37], v[66:67], v[62:63]
	s_waitcnt lgkmcnt(0)
	v_fma_f64 v[70:71], -v[12:13], v[82:83], v[70:71]
	v_fma_f64 v[52:53], -v[24:25], v[52:53], v[86:87]
	;; [unrolled: 1-line block ×3, first 2 shown]
	ds_read_b128 v[58:61], v50 offset:6480
	v_fma_f64 v[46:47], -v[16:17], v[46:47], v[74:75]
	v_fma_f64 v[62:63], -v[38:39], v[68:69], v[62:63]
	;; [unrolled: 1-line block ×3, first 2 shown]
	s_waitcnt lgkmcnt(0)
	v_fma_f64 v[58:59], -v[20:21], v[58:59], v[88:89]
	v_fma_f64 v[78:79], -v[28:29], v[78:79], v[76:77]
	ds_read_b128 v[74:77], v96 offset:64
	ds_read_b128 v[82:85], v50 offset:6256
	v_fma_f64 v[90:91], -v[18:19], v[48:49], v[46:47]
	ds_read_b128 v[46:49], v50 offset:6736
	ds_read_b128 v[86:89], v50 offset:5792
	s_waitcnt lgkmcnt(3)
	v_fma_f64 v[70:71], -v[16:17], v[74:75], v[70:71]
	v_fma_f64 v[92:93], -v[22:23], v[60:61], v[58:59]
	ds_read_b128 v[58:61], v50 offset:6496
	v_fma_f64 v[66:67], -v[30:31], v[80:81], v[78:79]
	s_waitcnt lgkmcnt(2)
	v_fma_f64 v[46:47], -v[20:21], v[46:47], v[90:91]
	v_fma_f64 v[90:91], -v[26:27], v[54:55], v[52:53]
	s_waitcnt lgkmcnt(1)
	v_fma_f64 v[62:63], -v[40:41], v[86:87], v[62:63]
	v_fma_f64 v[70:71], -v[18:19], v[76:77], v[70:71]
	ds_read_b128 v[52:55], v96 offset:80
	ds_read_b128 v[74:77], v50 offset:6016
	;; [unrolled: 1-line block ×3, first 2 shown]
	s_waitcnt lgkmcnt(3)
	v_fma_f64 v[58:59], -v[24:25], v[58:59], v[92:93]
	v_fma_f64 v[94:95], -v[22:23], v[48:49], v[46:47]
	ds_read_b128 v[46:49], v50 offset:6752
	s_waitcnt lgkmcnt(2)
	v_fma_f64 v[66:67], -v[32:33], v[74:75], v[66:67]
	v_fma_f64 v[62:63], -v[42:43], v[88:89], v[62:63]
	;; [unrolled: 1-line block ×4, first 2 shown]
	ds_read_b128 v[90:93], v50 offset:6512
	v_fma_f64 v[68:69], -v[26:27], v[60:61], v[58:59]
	s_waitcnt lgkmcnt(1)
	v_fma_f64 v[46:47], -v[24:25], v[46:47], v[94:95]
	v_fma_f64 v[74:75], -v[34:35], v[76:77], v[66:67]
	v_mul_f64 v[44:45], v[44:45], v[62:63]
	v_fma_f64 v[72:73], -v[22:23], v[54:55], v[52:53]
	v_fma_f64 v[70:71], -v[30:31], v[84:85], v[70:71]
	ds_read_b128 v[52:55], v96 offset:96
	ds_read_b128 v[58:61], v50 offset:6272
	s_waitcnt lgkmcnt(2)
	v_fma_f64 v[76:77], -v[28:29], v[90:91], v[68:69]
	v_fma_f64 v[82:83], -v[26:27], v[48:49], v[46:47]
	ds_read_b128 v[46:49], v50 offset:6768
	v_fma_f64 v[74:75], -v[36:37], v[78:79], v[74:75]
	ds_read_b128 v[66:69], v50 offset:6288
	s_waitcnt lgkmcnt(3)
	v_fma_f64 v[52:53], -v[24:25], v[52:53], v[72:73]
	s_waitcnt lgkmcnt(2)
	v_fma_f64 v[58:59], -v[32:33], v[58:59], v[70:71]
	ds_read_b128 v[70:73], v50 offset:6528
	v_fma_f64 v[76:77], -v[30:31], v[92:93], v[76:77]
	s_waitcnt lgkmcnt(2)
	v_fma_f64 v[46:47], -v[28:29], v[46:47], v[82:83]
	v_fma_f64 v[80:81], -v[38:39], v[80:81], v[74:75]
	;; [unrolled: 1-line block ×3, first 2 shown]
	ds_read_b128 v[52:55], v96 offset:112
	v_fma_f64 v[82:83], -v[34:35], v[60:61], v[58:59]
	s_waitcnt lgkmcnt(1)
	v_fma_f64 v[70:71], -v[32:33], v[70:71], v[76:77]
	v_fma_f64 v[84:85], -v[30:31], v[48:49], v[46:47]
	ds_read_b128 v[58:61], v50 offset:6784
	ds_read_b128 v[74:77], v50 offset:6544
	;; [unrolled: 1-line block ×3, first 2 shown]
	s_waitcnt lgkmcnt(3)
	v_fma_f64 v[52:53], -v[28:29], v[52:53], v[78:79]
	v_fma_f64 v[66:67], -v[36:37], v[66:67], v[82:83]
	;; [unrolled: 1-line block ×3, first 2 shown]
	s_waitcnt lgkmcnt(2)
	v_fma_f64 v[58:59], -v[32:33], v[58:59], v[84:85]
	s_waitcnt lgkmcnt(0)
	v_fma_f64 v[46:47], -v[40:41], v[46:47], v[80:81]
	v_fma_f64 v[72:73], -v[30:31], v[54:55], v[52:53]
	;; [unrolled: 1-line block ×3, first 2 shown]
	ds_read_b128 v[52:55], v96 offset:128
	ds_read_b128 v[66:69], v50 offset:6304
	v_fma_f64 v[70:71], -v[36:37], v[74:75], v[70:71]
	v_fma_f64 v[74:75], -v[34:35], v[60:61], v[58:59]
	;; [unrolled: 1-line block ×3, first 2 shown]
	ds_read_b128 v[46:49], v50 offset:6800
	s_waitcnt lgkmcnt(2)
	v_fma_f64 v[52:53], -v[32:33], v[52:53], v[72:73]
	ds_read_b128 v[58:61], v50 offset:6064
	s_waitcnt lgkmcnt(2)
	v_fma_f64 v[62:63], -v[40:41], v[66:67], v[62:63]
	v_fma_f64 v[76:77], -v[38:39], v[76:77], v[70:71]
	s_waitcnt lgkmcnt(1)
	v_fma_f64 v[46:47], -v[36:37], v[46:47], v[74:75]
	ds_read_b128 v[70:73], v50 offset:6560
	s_waitcnt lgkmcnt(1)
	v_fma_f64 v[58:59], -v[44:45], v[58:59], v[78:79]
	v_fma_f64 v[80:81], -v[34:35], v[54:55], v[52:53]
	;; [unrolled: 1-line block ×3, first 2 shown]
	ds_read_b128 v[52:55], v96 offset:144
	ds_read_b128 v[66:69], v50 offset:6320
	s_waitcnt lgkmcnt(2)
	v_fma_f64 v[70:71], -v[40:41], v[70:71], v[76:77]
	v_fma_f64 v[48:49], -v[38:39], v[48:49], v[46:47]
	ds_read_b128 v[74:77], v50 offset:6816
	v_mul_f64 v[46:47], v[60:61], v[58:59]
	s_waitcnt lgkmcnt(2)
	v_fma_f64 v[52:53], -v[36:37], v[52:53], v[80:81]
	ds_read_b128 v[58:61], v50 offset:6576
	s_waitcnt lgkmcnt(2)
	v_fma_f64 v[62:63], -v[44:45], v[66:67], v[62:63]
	v_fma_f64 v[66:67], -v[42:43], v[72:73], v[70:71]
	s_waitcnt lgkmcnt(1)
	v_fma_f64 v[48:49], -v[40:41], v[74:75], v[48:49]
	v_fma_f64 v[70:71], -v[38:39], v[54:55], v[52:53]
	ds_read_b128 v[52:55], v96 offset:160
	v_fma_f64 v[62:63], -v[46:47], v[68:69], v[62:63]
	s_waitcnt lgkmcnt(1)
	v_fma_f64 v[58:59], -v[44:45], v[58:59], v[66:67]
	ds_read2_b64 v[66:69], v51 offset0:24 offset1:90
	v_fma_f64 v[74:75], -v[42:43], v[76:77], v[48:49]
	s_waitcnt lgkmcnt(1)
	v_fma_f64 v[51:52], -v[40:41], v[52:53], v[70:71]
	ds_read_b128 v[70:73], v50 offset:6832
	s_waitcnt lgkmcnt(1)
	v_mul_f64 v[48:49], v[66:67], v[62:63]
	v_fma_f64 v[62:63], -v[46:47], v[60:61], v[58:59]
	s_waitcnt lgkmcnt(0)
	v_fma_f64 v[66:67], -v[44:45], v[70:71], v[74:75]
	v_fma_f64 v[70:71], -v[42:43], v[54:55], v[51:52]
	ds_read_b128 v[51:54], v50 offset:6592
	ds_read_b128 v[58:61], v96 offset:176
	s_waitcnt lgkmcnt(1)
	v_fma_f64 v[51:52], -v[48:49], v[51:52], v[62:63]
	v_fma_f64 v[62:63], -v[46:47], v[72:73], v[66:67]
	s_waitcnt lgkmcnt(0)
	v_fma_f64 v[58:59], -v[44:45], v[58:59], v[70:71]
	ds_read_b128 v[70:73], v50 offset:6848
	v_mul_f64 v[50:51], v[53:54], v[51:52]
	s_waitcnt lgkmcnt(0)
	v_fma_f64 v[62:63], -v[48:49], v[70:71], v[62:63]
	ds_read_b128 v[52:55], v96 offset:192
	v_fma_f64 v[58:59], -v[46:47], v[60:61], v[58:59]
	v_fma_f64 v[60:61], -v[50:51], v[72:73], v[62:63]
	s_waitcnt lgkmcnt(0)
	v_fma_f64 v[58:59], -v[48:49], v[52:53], v[58:59]
	v_mul_f64 v[52:53], v[68:69], v[60:61]
	v_fma_f64 v[54:55], -v[50:51], v[54:55], v[58:59]
	ds_read_b128 v[58:61], v96 offset:208
	global_store_dwordx4 v[56:57], v[0:3], off
	global_store_dwordx4 v[56:57], v[4:7], off offset:16
	global_store_dwordx4 v[56:57], v[8:11], off offset:32
	;; [unrolled: 1-line block ×5, first 2 shown]
	s_waitcnt lgkmcnt(0)
	v_fma_f64 v[54:55], -v[52:53], v[58:59], v[54:55]
	v_mul_f64 v[54:55], v[60:61], v[54:55]
	global_store_dwordx4 v[56:57], v[24:27], off offset:96
	global_store_dwordx4 v[56:57], v[28:31], off offset:112
	;; [unrolled: 1-line block ×8, first 2 shown]
.LBB103_19:
	s_cmp_ge_i32 s4, s22
	s_cbranch_scc1 .LBB103_24
; %bb.20:
	s_lshl_b32 s2, s4, 8
	s_mov_b32 s5, 0
	s_branch .LBB103_22
.LBB103_21:                             ;   in Loop: Header=BB103_22 Depth=1
	s_mul_i32 s3, s4, 0x108
	v_mov_b32_e32 v4, s3
	ds_read_b64 v[4:5], v4
	s_add_i32 s4, s4, 1
	s_addk_i32 s2, 0x100
	s_cmp_ge_i32 s4, s22
	s_waitcnt lgkmcnt(0)
	v_mul_f64 v[2:3], v[4:5], v[2:3]
	global_store_dwordx2 v[0:1], v[2:3], off
	s_cbranch_scc1 .LBB103_24
.LBB103_22:                             ; =>This Loop Header: Depth=1
                                        ;     Child Loop BB103_23 Depth 2
	s_lshl_b64 s[6:7], s[4:5], 3
	v_mov_b32_e32 v1, s7
	v_add_co_u32_e32 v0, vcc, s6, v64
	v_addc_co_u32_e32 v1, vcc, v65, v1, vcc
	global_load_dwordx2 v[2:3], v[0:1], off
	v_mov_b32_e32 v4, v64
	s_cmp_eq_u32 s4, 0
	v_mov_b32_e32 v5, v65
	s_mov_b32 s3, s4
	s_mov_b32 s6, s2
	s_waitcnt vmcnt(0)
	v_mul_f64 v[2:3], s[0:1], v[2:3]
	s_cbranch_scc1 .LBB103_21
.LBB103_23:                             ;   Parent Loop BB103_22 Depth=1
                                        ; =>  This Inner Loop Header: Depth=2
	global_load_dwordx2 v[6:7], v[4:5], off
	v_mov_b32_e32 v8, s6
	ds_read_b64 v[8:9], v8
	s_add_i32 s6, s6, 8
	s_add_i32 s3, s3, -1
	v_add_co_u32_e32 v4, vcc, 8, v4
	s_cmp_lg_u32 s3, 0
	v_addc_co_u32_e32 v5, vcc, 0, v5, vcc
	s_waitcnt vmcnt(0) lgkmcnt(0)
	v_fma_f64 v[2:3], -v[6:7], v[8:9], v[2:3]
	s_cbranch_scc1 .LBB103_23
	s_branch .LBB103_21
.LBB103_24:
	s_mov_b64 s[2:3], 0
.LBB103_25:
	s_and_b64 vcc, exec, s[2:3]
	s_cbranch_vccz .LBB103_51
; %bb.26:
	s_add_i32 s14, s22, -1
	s_cmp_gt_i32 s10, 31
	s_mov_b32 s2, s14
	s_cbranch_scc0 .LBB103_28
; %bb.27:
	global_load_dwordx4 v[28:31], v[64:65], off offset:240
	global_load_dwordx4 v[20:23], v[64:65], off offset:224
	;; [unrolled: 1-line block ×5, first 2 shown]
	v_mov_b32_e32 v66, 0
	ds_read_b128 v[0:3], v66 offset:8176
	ds_read_b128 v[24:27], v66 offset:8160
	s_movk_i32 s2, 0x1800
	v_add_u32_e64 v42, s2, 0
	s_movk_i32 s2, 0x1000
	v_add_u32_e64 v127, s2, 0
	s_movk_i32 s2, 0x800
	s_waitcnt vmcnt(4)
	v_mul_f64 v[16:17], s[0:1], v[30:31]
	s_waitcnt lgkmcnt(1)
	v_mul_f64 v[2:3], v[2:3], v[16:17]
	global_load_dwordx4 v[16:19], v[64:65], off offset:160
	v_mul_f64 v[30:31], v[2:3], v[0:1]
	s_waitcnt lgkmcnt(0)
	v_mul_f64 v[0:1], v[2:3], v[26:27]
	v_mul_f64 v[24:25], v[2:3], v[24:25]
	v_fma_f64 v[30:31], s[0:1], v[28:29], -v[30:31]
	ds_read2_b64 v[26:29], v42 offset0:156 offset1:222
	s_waitcnt vmcnt(4)
	v_fma_f64 v[22:23], s[0:1], v[22:23], -v[0:1]
	ds_read_b128 v[38:41], v66 offset:8144
	ds_read_b128 v[43:46], v66 offset:7904
	v_fma_f64 v[24:25], s[0:1], v[20:21], -v[24:25]
	s_waitcnt lgkmcnt(1)
	v_mul_f64 v[47:48], v[2:3], v[40:41]
	v_mul_f64 v[0:1], v[28:29], v[30:31]
	;; [unrolled: 1-line block ×3, first 2 shown]
	s_waitcnt vmcnt(3)
	v_fma_f64 v[38:39], s[0:1], v[14:15], -v[47:48]
	s_waitcnt lgkmcnt(0)
	v_fma_f64 v[36:37], -v[0:1], v[45:46], v[22:23]
	ds_read_b128 v[20:23], v66 offset:7888
	ds_read_b128 v[32:35], v66 offset:7648
	;; [unrolled: 1-line block ×3, first 2 shown]
	v_fma_f64 v[24:25], -v[0:1], v[43:44], v[24:25]
	v_fma_f64 v[12:13], s[0:1], v[12:13], -v[40:41]
	s_waitcnt lgkmcnt(0)
	v_mul_f64 v[55:56], v[2:3], v[30:31]
	v_fma_f64 v[57:58], -v[0:1], v[22:23], v[38:39]
	v_mul_f64 v[14:15], v[34:35], v[36:37]
	ds_read_b128 v[34:37], v66 offset:7632
	ds_read_b128 v[43:46], v66 offset:7616
	;; [unrolled: 1-line block ×4, first 2 shown]
	v_mul_f64 v[67:68], v[2:3], v[28:29]
	v_fma_f64 v[20:21], -v[0:1], v[20:21], v[12:13]
	s_waitcnt vmcnt(2)
	v_fma_f64 v[10:11], s[0:1], v[10:11], -v[55:56]
	v_fma_f64 v[59:60], -v[14:15], v[32:33], v[24:25]
	s_waitcnt lgkmcnt(3)
	v_fma_f64 v[36:37], -v[14:15], v[36:37], v[57:58]
	ds_read_b128 v[22:25], v66 offset:7120
	ds_read_b128 v[30:33], v66 offset:7104
	;; [unrolled: 1-line block ×3, first 2 shown]
	v_fma_f64 v[67:68], s[0:1], v[8:9], -v[67:68]
	v_fma_f64 v[20:21], -v[14:15], v[34:35], v[20:21]
	s_waitcnt lgkmcnt(0)
	v_mul_f64 v[40:41], v[2:3], v[40:41]
	v_mul_f64 v[12:13], v[26:27], v[59:60]
	ds_read_b128 v[26:29], v66 offset:7872
	ds_read_b128 v[55:58], v66 offset:7856
	ds_read_b128 v[59:62], v66 offset:6848
	v_mul_f64 v[69:70], v[2:3], v[38:39]
	s_waitcnt lgkmcnt(2)
	v_fma_f64 v[28:29], -v[0:1], v[28:29], v[10:11]
	v_fma_f64 v[67:68], -v[0:1], v[26:27], v[67:68]
	s_waitcnt vmcnt(1)
	v_fma_f64 v[71:72], s[0:1], v[6:7], -v[40:41]
	v_fma_f64 v[49:50], -v[12:13], v[49:50], v[36:37]
	v_fma_f64 v[20:21], -v[12:13], v[47:48], v[20:21]
	ds_read_b128 v[8:11], v66 offset:8096
	ds_read_b128 v[34:37], v66 offset:7600
	v_fma_f64 v[4:5], s[0:1], v[4:5], -v[69:70]
	v_fma_f64 v[28:29], -v[14:15], v[45:46], v[28:29]
	v_fma_f64 v[43:44], -v[14:15], v[43:44], v[67:68]
	s_waitcnt lgkmcnt(1)
	v_mul_f64 v[10:11], v[2:3], v[10:11]
	v_fma_f64 v[45:46], -v[0:1], v[57:58], v[71:72]
	v_mul_f64 v[6:7], v[24:25], v[49:50]
	ds_read_b128 v[24:27], v66 offset:7584
	ds_read_b128 v[38:41], v66 offset:7840
	v_mul_f64 v[49:50], v[2:3], v[8:9]
	v_fma_f64 v[28:29], -v[12:13], v[53:54], v[28:29]
	v_fma_f64 v[53:54], -v[0:1], v[55:56], v[4:5]
	;; [unrolled: 1-line block ×3, first 2 shown]
	s_waitcnt lgkmcnt(2)
	v_fma_f64 v[36:37], -v[14:15], v[36:37], v[45:46]
	v_fma_f64 v[47:48], -v[6:7], v[22:23], v[20:21]
	ds_read2_b64 v[20:23], v42 offset0:24 offset1:90
	s_waitcnt vmcnt(0)
	v_fma_f64 v[18:19], s[0:1], v[18:19], -v[10:11]
	ds_read_b128 v[8:11], v66 offset:7344
	ds_read_b128 v[42:45], v66 offset:7328
	v_fma_f64 v[28:29], -v[6:7], v[32:33], v[28:29]
	v_fma_f64 v[34:35], -v[14:15], v[34:35], v[53:54]
	s_waitcnt lgkmcnt(1)
	v_fma_f64 v[10:11], -v[12:13], v[10:11], v[36:37]
	v_mul_f64 v[4:5], v[22:23], v[47:48]
	v_fma_f64 v[22:23], s[0:1], v[16:17], -v[49:50]
	v_fma_f64 v[32:33], -v[0:1], v[40:41], v[18:19]
	v_fma_f64 v[36:37], -v[6:7], v[30:31], v[51:52]
	;; [unrolled: 1-line block ×4, first 2 shown]
	ds_read_b128 v[16:19], v66 offset:7088
	ds_read_b128 v[28:31], v66 offset:6592
	v_fma_f64 v[22:23], -v[0:1], v[38:39], v[22:23]
	v_fma_f64 v[26:27], -v[14:15], v[26:27], v[32:33]
	;; [unrolled: 1-line block ×3, first 2 shown]
	s_waitcnt lgkmcnt(1)
	v_fma_f64 v[18:19], -v[6:7], v[18:19], v[10:11]
	v_fma_f64 v[8:9], -v[6:7], v[16:17], v[8:9]
	s_waitcnt lgkmcnt(0)
	v_mul_f64 v[10:11], v[30:31], v[40:41]
	ds_read_b128 v[30:33], v66 offset:6832
	ds_read_b128 v[34:37], v66 offset:7072
	v_fma_f64 v[22:23], -v[14:15], v[24:25], v[22:23]
	v_fma_f64 v[44:45], -v[12:13], v[44:45], v[26:27]
	global_load_dwordx4 v[24:27], v[64:65], off offset:144
	s_waitcnt lgkmcnt(1)
	v_fma_f64 v[32:33], -v[4:5], v[32:33], v[18:19]
	ds_read_b128 v[16:19], v66 offset:6576
	v_fma_f64 v[46:47], -v[4:5], v[30:31], v[8:9]
	v_fma_f64 v[28:29], -v[10:11], v[28:29], v[38:39]
	global_load_dwordx4 v[38:41], v[64:65], off offset:128
	v_fma_f64 v[22:23], -v[12:13], v[42:43], v[22:23]
	s_waitcnt lgkmcnt(1)
	v_fma_f64 v[36:37], -v[6:7], v[36:37], v[44:45]
	ds_read_b128 v[42:45], v66 offset:6320
	s_waitcnt lgkmcnt(1)
	v_fma_f64 v[32:33], -v[10:11], v[18:19], v[32:33]
	global_load_dwordx4 v[48:51], v[64:65], off offset:96
	v_fma_f64 v[16:17], -v[10:11], v[16:17], v[46:47]
	v_mul_f64 v[8:9], v[20:21], v[28:29]
	global_load_dwordx4 v[28:31], v[64:65], off offset:112
	v_fma_f64 v[56:57], -v[6:7], v[34:35], v[22:23]
	ds_read_b128 v[18:21], v66 offset:6816
	global_load_dwordx4 v[52:55], v[64:65], off offset:64
	s_waitcnt lgkmcnt(1)
	v_fma_f64 v[58:59], -v[8:9], v[44:45], v[32:33]
	global_load_dwordx4 v[32:35], v[64:65], off offset:80
	s_waitcnt lgkmcnt(0)
	v_fma_f64 v[36:37], -v[4:5], v[20:21], v[36:37]
	ds_read_b128 v[20:23], v66 offset:6560
	ds_read_b128 v[44:47], v66 offset:6064
	v_fma_f64 v[60:61], -v[4:5], v[18:19], v[56:57]
	v_fma_f64 v[16:17], -v[8:9], v[42:43], v[16:17]
	s_waitcnt lgkmcnt(0)
	v_mul_f64 v[18:19], v[46:47], v[58:59]
	v_fma_f64 v[22:23], -v[10:11], v[22:23], v[36:37]
	ds_read_b128 v[56:59], v66 offset:6304
	v_fma_f64 v[36:37], -v[10:11], v[20:21], v[60:61]
	v_fma_f64 v[16:17], -v[18:19], v[44:45], v[16:17]
	s_waitcnt lgkmcnt(0)
	v_fma_f64 v[46:47], -v[8:9], v[58:59], v[22:23]
	ds_read_b128 v[20:23], v66 offset:6048
	ds_read2_b64 v[42:45], v127 offset0:148 offset1:214
	v_fma_f64 v[36:37], -v[8:9], v[56:57], v[36:37]
	s_waitcnt lgkmcnt(0)
	v_mul_f64 v[16:17], v[44:45], v[16:17]
	v_fma_f64 v[22:23], -v[18:19], v[22:23], v[46:47]
	ds_read_b128 v[44:47], v66 offset:5792
	v_fma_f64 v[36:37], -v[18:19], v[20:21], v[36:37]
	s_waitcnt lgkmcnt(0)
	v_fma_f64 v[46:47], -v[16:17], v[46:47], v[22:23]
	ds_read_b128 v[20:23], v66 offset:5536
	ds_read_b128 v[56:59], v66 offset:8080
	;; [unrolled: 1-line block ×8, first 2 shown]
	v_fma_f64 v[36:37], -v[16:17], v[44:45], v[36:37]
	s_waitcnt lgkmcnt(5)
	v_mul_f64 v[62:63], v[2:3], v[62:63]
	s_waitcnt lgkmcnt(4)
	v_mul_f64 v[67:68], v[2:3], v[67:68]
	;; [unrolled: 2-line block ×3, first 2 shown]
	v_mul_f64 v[60:61], v[2:3], v[60:61]
	v_mul_f64 v[22:23], v[22:23], v[46:47]
	;; [unrolled: 1-line block ×4, first 2 shown]
	ds_read_b128 v[44:47], v66 offset:7680
	ds_read_b128 v[87:90], v66 offset:7808
	;; [unrolled: 1-line block ×7, first 2 shown]
	v_mul_f64 v[71:72], v[2:3], v[71:72]
	v_mul_f64 v[73:74], v[2:3], v[73:74]
	s_waitcnt lgkmcnt(8)
	v_mul_f64 v[81:82], v[2:3], v[81:82]
	v_mul_f64 v[79:80], v[2:3], v[79:80]
	v_fma_f64 v[20:21], -v[22:23], v[20:21], v[36:37]
	v_mul_f64 v[36:37], v[2:3], v[58:59]
	ds_read_b128 v[111:114], v66 offset:7536
	v_mul_f64 v[20:21], v[42:43], v[20:21]
	v_mul_f64 v[42:43], v[2:3], v[56:57]
	s_waitcnt vmcnt(5)
	v_fma_f64 v[115:116], s[0:1], v[26:27], -v[36:37]
	ds_read_b128 v[56:59], v66 offset:7520
	s_waitcnt vmcnt(4)
	v_fma_f64 v[62:63], s[0:1], v[40:41], -v[62:63]
	v_fma_f64 v[60:61], s[0:1], v[38:39], -v[60:61]
	;; [unrolled: 1-line block ×3, first 2 shown]
	ds_read_b128 v[24:27], v66 offset:7312
	ds_read_b128 v[40:43], v66 offset:7296
	;; [unrolled: 1-line block ×3, first 2 shown]
	s_waitcnt vmcnt(3)
	v_fma_f64 v[71:72], s[0:1], v[48:49], -v[71:72]
	v_fma_f64 v[73:74], s[0:1], v[50:51], -v[73:74]
	s_waitcnt vmcnt(2)
	v_fma_f64 v[67:68], s[0:1], v[28:29], -v[67:68]
	v_fma_f64 v[69:70], s[0:1], v[30:31], -v[69:70]
	ds_read_b128 v[28:31], v66 offset:7280
	ds_read_b128 v[48:51], v66 offset:7264
	s_waitcnt vmcnt(1)
	v_fma_f64 v[123:124], s[0:1], v[54:55], -v[81:82]
	v_fma_f64 v[125:126], s[0:1], v[52:53], -v[79:80]
	s_waitcnt lgkmcnt(10)
	v_fma_f64 v[95:96], -v[0:1], v[95:96], v[71:72]
	ds_read_b128 v[52:55], v66 offset:6800
	s_waitcnt vmcnt(0)
	v_fma_f64 v[121:122], s[0:1], v[32:33], -v[75:76]
	v_fma_f64 v[75:76], -v[0:1], v[85:86], v[115:116]
	v_fma_f64 v[119:120], s[0:1], v[34:35], -v[77:78]
	v_fma_f64 v[77:78], -v[0:1], v[83:84], v[117:118]
	v_fma_f64 v[83:84], -v[0:1], v[89:90], v[62:63]
	;; [unrolled: 1-line block ×5, first 2 shown]
	ds_read_b128 v[32:35], v66 offset:7056
	ds_read_b128 v[60:63], v66 offset:7040
	s_waitcnt lgkmcnt(11)
	v_fma_f64 v[91:92], -v[14:15], v[105:106], v[75:76]
	v_fma_f64 v[93:94], -v[14:15], v[103:104], v[77:78]
	s_waitcnt lgkmcnt(10)
	v_fma_f64 v[109:110], -v[14:15], v[109:110], v[83:84]
	v_fma_f64 v[97:98], -v[0:1], v[97:98], v[73:74]
	;; [unrolled: 1-line block ×3, first 2 shown]
	ds_read_b128 v[71:74], v66 offset:7744
	ds_read_b128 v[83:86], v66 offset:6784
	s_waitcnt lgkmcnt(11)
	v_fma_f64 v[113:114], -v[14:15], v[113:114], v[87:88]
	s_waitcnt lgkmcnt(9)
	v_fma_f64 v[91:92], -v[12:13], v[26:27], v[91:92]
	v_fma_f64 v[93:94], -v[12:13], v[24:25], v[93:94]
	s_waitcnt lgkmcnt(8)
	v_fma_f64 v[42:43], -v[12:13], v[42:43], v[109:110]
	v_fma_f64 v[111:112], -v[14:15], v[111:112], v[89:90]
	;; [unrolled: 1-line block ×4, first 2 shown]
	s_waitcnt lgkmcnt(1)
	v_fma_f64 v[103:104], -v[0:1], v[73:74], v[123:124]
	v_fma_f64 v[105:106], -v[0:1], v[71:72], v[125:126]
	;; [unrolled: 1-line block ×4, first 2 shown]
	ds_read_b128 v[71:74], v66 offset:6544
	ds_read_b128 v[24:27], v66 offset:6528
	v_fma_f64 v[107:108], -v[14:15], v[58:59], v[97:98]
	v_fma_f64 v[42:43], -v[6:7], v[62:63], v[42:43]
	;; [unrolled: 1-line block ×7, first 2 shown]
	ds_read_b128 v[75:78], v66 offset:7024
	ds_read_b128 v[79:82], v66 offset:7008
	;; [unrolled: 1-line block ×4, first 2 shown]
	s_waitcnt lgkmcnt(6)
	v_fma_f64 v[113:114], -v[4:5], v[85:86], v[42:43]
	s_waitcnt lgkmcnt(5)
	v_fma_f64 v[95:96], -v[10:11], v[73:74], v[95:96]
	v_fma_f64 v[97:98], -v[10:11], v[71:72], v[97:98]
	;; [unrolled: 1-line block ×3, first 2 shown]
	s_waitcnt lgkmcnt(3)
	v_fma_f64 v[77:78], -v[6:7], v[77:78], v[109:110]
	v_fma_f64 v[75:76], -v[6:7], v[75:76], v[111:112]
	ds_read_b128 v[87:90], v66 offset:6768
	ds_read_b128 v[56:59], v66 offset:6032
	ds_read_b128 v[52:55], v66 offset:6016
	s_waitcnt lgkmcnt(4)
	v_fma_f64 v[95:96], -v[8:9], v[34:35], v[95:96]
	v_fma_f64 v[109:110], -v[10:11], v[26:27], v[113:114]
	;; [unrolled: 1-line block ×4, first 2 shown]
	s_waitcnt lgkmcnt(2)
	v_fma_f64 v[113:114], -v[4:5], v[89:90], v[77:78]
	v_fma_f64 v[115:116], -v[4:5], v[87:88], v[75:76]
	ds_read_b128 v[67:70], v66 offset:5776
	ds_read_b128 v[60:63], v66 offset:5760
	s_waitcnt lgkmcnt(3)
	v_fma_f64 v[95:96], -v[18:19], v[58:59], v[95:96]
	ds_read_b128 v[28:31], v66 offset:6512
	ds_read_b128 v[83:86], v66 offset:6496
	v_fma_f64 v[93:94], -v[8:9], v[93:94], v[109:110]
	v_fma_f64 v[97:98], -v[18:19], v[56:57], v[97:98]
	;; [unrolled: 1-line block ×3, first 2 shown]
	s_waitcnt lgkmcnt(1)
	v_fma_f64 v[109:110], -v[10:11], v[30:31], v[113:114]
	v_fma_f64 v[111:112], -v[10:11], v[28:29], v[115:116]
	v_fma_f64 v[95:96], -v[16:17], v[69:70], v[95:96]
	ds_read_b128 v[71:74], v66 offset:6256
	ds_read_b128 v[75:78], v66 offset:6240
	;; [unrolled: 1-line block ×4, first 2 shown]
	v_fma_f64 v[93:94], -v[18:19], v[54:55], v[93:94]
	v_fma_f64 v[97:98], -v[16:17], v[67:68], v[97:98]
	ds_read_b128 v[56:59], v66 offset:5264
	s_waitcnt lgkmcnt(2)
	v_fma_f64 v[34:35], -v[22:23], v[34:35], v[95:96]
	v_fma_f64 v[95:96], -v[8:9], v[73:74], v[109:110]
	;; [unrolled: 1-line block ×3, first 2 shown]
	ds_read_b128 v[28:31], v66 offset:6000
	ds_read_b128 v[71:74], v66 offset:5984
	v_fma_f64 v[91:92], -v[18:19], v[52:53], v[91:92]
	v_fma_f64 v[62:63], -v[16:17], v[62:63], v[93:94]
	;; [unrolled: 1-line block ×3, first 2 shown]
	ds_read_b128 v[87:90], v66 offset:5248
	ds_read_b128 v[67:70], v66 offset:5008
	s_waitcnt lgkmcnt(3)
	v_fma_f64 v[95:96], -v[18:19], v[30:31], v[95:96]
	v_fma_f64 v[109:110], -v[18:19], v[28:29], v[109:110]
	ds_read_b128 v[28:31], v66 offset:5488
	v_fma_f64 v[97:98], -v[20:21], v[58:59], v[34:35]
	v_fma_f64 v[91:92], -v[16:17], v[60:61], v[91:92]
	;; [unrolled: 1-line block ×4, first 2 shown]
	ds_read_b128 v[40:43], v66 offset:5632
	ds_read_b128 v[32:35], v66 offset:5744
	;; [unrolled: 1-line block ×4, first 2 shown]
	s_waitcnt lgkmcnt(5)
	v_mul_f64 v[26:27], v[69:70], v[97:98]
	v_fma_f64 v[24:25], -v[22:23], v[24:25], v[91:92]
	v_fma_f64 v[62:63], -v[20:21], v[89:90], v[62:63]
	ds_read_b128 v[91:94], v66 offset:4976
	s_waitcnt lgkmcnt(3)
	v_fma_f64 v[111:112], -v[16:17], v[34:35], v[95:96]
	v_fma_f64 v[109:110], -v[16:17], v[32:33], v[109:110]
	ds_read_b128 v[32:35], v66 offset:4736
	v_fma_f64 v[101:102], -v[0:1], v[101:102], v[119:120]
	v_fma_f64 v[56:57], -v[26:27], v[67:68], v[56:57]
	ds_read_b128 v[67:70], v66 offset:4720
	ds_read2_b64 v[95:98], v127 offset0:16 offset1:82
	v_fma_f64 v[50:51], -v[12:13], v[50:51], v[107:108]
	v_fma_f64 v[107:108], -v[20:21], v[87:88], v[24:25]
	s_waitcnt lgkmcnt(5)
	v_fma_f64 v[62:63], -v[26:27], v[54:55], v[62:63]
	v_fma_f64 v[111:112], -v[22:23], v[30:31], v[111:112]
	ds_read_b128 v[87:90], v66 offset:5232
	v_fma_f64 v[99:100], -v[0:1], v[99:100], v[121:122]
	s_waitcnt lgkmcnt(1)
	v_mul_f64 v[24:25], v[97:98], v[56:57]
	v_fma_f64 v[56:57], -v[22:23], v[28:29], v[109:110]
	ds_read_b128 v[28:31], v66 offset:7504
	v_fma_f64 v[50:51], -v[6:7], v[81:82], v[50:51]
	v_fma_f64 v[81:82], -v[26:27], v[52:53], v[107:108]
	ds_read_b128 v[52:55], v66 offset:6752
	s_waitcnt lgkmcnt(1)
	v_fma_f64 v[107:108], -v[14:15], v[30:31], v[101:102]
	v_fma_f64 v[30:31], -v[24:25], v[34:35], v[62:63]
	;; [unrolled: 1-line block ×3, first 2 shown]
	ds_read_b128 v[97:100], v66 offset:3952
	v_fma_f64 v[81:82], -v[24:25], v[32:33], v[81:82]
	ds_read_b128 v[32:35], v66 offset:7488
	v_mul_f64 v[30:31], v[60:61], v[30:31]
	ds_read_b128 v[60:63], v66 offset:5216
	v_fma_f64 v[89:90], -v[20:21], v[89:90], v[111:112]
	s_waitcnt lgkmcnt(1)
	v_fma_f64 v[113:114], -v[14:15], v[34:35], v[103:104]
	v_fma_f64 v[115:116], -v[14:15], v[32:33], v[105:106]
	ds_read_b128 v[32:35], v66 offset:7248
	v_fma_f64 v[28:29], -v[4:5], v[54:55], v[50:51]
	v_fma_f64 v[50:51], -v[20:21], v[87:88], v[56:57]
	;; [unrolled: 1-line block ×3, first 2 shown]
	ds_read_b128 v[54:57], v66 offset:5472
	v_fma_f64 v[87:88], -v[26:27], v[93:94], v[89:90]
	v_fma_f64 v[89:90], -v[12:13], v[48:49], v[117:118]
	s_waitcnt lgkmcnt(1)
	v_fma_f64 v[32:33], -v[12:13], v[32:33], v[109:110]
	v_add_u32_e64 v117, s2, 0
	v_fma_f64 v[28:29], -v[10:11], v[85:86], v[28:29]
	v_fma_f64 v[91:92], -v[26:27], v[91:92], v[50:51]
	ds_read_b128 v[48:51], v66 offset:4608
	s_mov_b32 s2, -1
	v_fma_f64 v[93:94], -v[24:25], v[69:70], v[87:88]
	ds_read_b128 v[85:88], v66 offset:4464
	v_fma_f64 v[101:102], -v[6:7], v[79:80], v[89:90]
	ds_read_b128 v[79:82], v66 offset:4960
	v_fma_f64 v[77:78], -v[8:9], v[77:78], v[28:29]
	v_fma_f64 v[91:92], -v[24:25], v[67:68], v[91:92]
	ds_read_b128 v[67:70], v66 offset:4448
	v_mul_f64 v[28:29], v[95:96], v[58:59]
	s_waitcnt lgkmcnt(2)
	v_fma_f64 v[111:112], -v[30:31], v[87:88], v[93:94]
	ds_read_b128 v[87:90], v66 offset:4208
	v_fma_f64 v[52:53], -v[4:5], v[52:53], v[101:102]
	ds_read_b128 v[101:104], v66 offset:6736
	v_fma_f64 v[58:59], -v[18:19], v[73:74], v[77:78]
	v_fma_f64 v[73:74], -v[30:31], v[85:86], v[91:92]
	ds_read_b128 v[91:94], v66 offset:5728
	s_waitcnt lgkmcnt(2)
	v_fma_f64 v[77:78], -v[28:29], v[89:90], v[111:112]
	v_fma_f64 v[89:90], -v[12:13], v[34:35], v[107:108]
	v_fma_f64 v[52:53], -v[10:11], v[83:84], v[52:53]
	ds_read_b128 v[105:108], v66 offset:6992
	s_waitcnt lgkmcnt(1)
	v_fma_f64 v[58:59], -v[16:17], v[93:94], v[58:59]
	v_fma_f64 v[73:74], -v[28:29], v[87:88], v[73:74]
	ds_read_b128 v[93:96], v66 offset:7232
	ds_read_b128 v[85:88], v66 offset:4192
	v_mul_f64 v[34:35], v[99:100], v[77:78]
	s_waitcnt lgkmcnt(2)
	v_fma_f64 v[77:78], -v[6:7], v[107:108], v[89:90]
	v_fma_f64 v[32:33], -v[6:7], v[105:106], v[32:33]
	;; [unrolled: 1-line block ×4, first 2 shown]
	ds_read_b128 v[105:108], v66 offset:6976
	v_fma_f64 v[58:59], -v[34:35], v[97:98], v[73:74]
	ds_read2_b64 v[73:76], v117 offset0:140 offset1:206
	v_fma_f64 v[83:84], -v[4:5], v[103:104], v[77:78]
	v_fma_f64 v[89:90], -v[4:5], v[101:102], v[32:33]
	;; [unrolled: 1-line block ×4, first 2 shown]
	ds_read_b128 v[97:100], v66 offset:7728
	s_waitcnt lgkmcnt(1)
	v_mul_f64 v[32:33], v[75:76], v[58:59]
	ds_read_b128 v[56:59], v66 offset:6480
	v_fma_f64 v[71:72], -v[12:13], v[95:96], v[113:114]
	v_fma_f64 v[101:102], -v[12:13], v[93:94], v[115:116]
	global_load_dwordx4 v[75:78], v[64:65], off offset:48
	v_fma_f64 v[62:63], -v[26:27], v[81:82], v[62:63]
	s_waitcnt lgkmcnt(0)
	v_fma_f64 v[103:104], -v[10:11], v[58:59], v[83:84]
	v_fma_f64 v[109:110], -v[10:11], v[56:57], v[89:90]
	ds_read_b128 v[56:59], v66 offset:6224
	ds_read_b128 v[93:96], v66 offset:3936
	v_fma_f64 v[71:72], -v[6:7], v[107:108], v[71:72]
	v_fma_f64 v[101:102], -v[6:7], v[105:106], v[101:102]
	;; [unrolled: 1-line block ×3, first 2 shown]
	ds_read_b128 v[81:84], v66 offset:6720
	ds_read_b128 v[89:92], v66 offset:4704
	s_waitcnt lgkmcnt(3)
	v_fma_f64 v[103:104], -v[8:9], v[58:59], v[103:104]
	v_fma_f64 v[105:106], -v[8:9], v[56:57], v[109:110]
	ds_read_b128 v[56:59], v66 offset:5968
	s_waitcnt lgkmcnt(2)
	v_fma_f64 v[71:72], -v[4:5], v[83:84], v[71:72]
	s_waitcnt lgkmcnt(1)
	v_fma_f64 v[62:63], -v[24:25], v[91:92], v[62:63]
	v_fma_f64 v[91:92], -v[4:5], v[81:82], v[101:102]
	;; [unrolled: 1-line block ×3, first 2 shown]
	ds_read_b128 v[52:55], v66 offset:6464
	s_waitcnt lgkmcnt(1)
	v_fma_f64 v[103:104], -v[18:19], v[58:59], v[103:104]
	v_fma_f64 v[105:106], -v[18:19], v[56:57], v[105:106]
	ds_read_b128 v[81:84], v66 offset:5712
	ds_read_b128 v[56:59], v66 offset:6208
	s_waitcnt lgkmcnt(2)
	v_fma_f64 v[109:110], -v[10:11], v[54:55], v[71:72]
	v_fma_f64 v[91:92], -v[10:11], v[52:53], v[91:92]
	;; [unrolled: 1-line block ×3, first 2 shown]
	ds_read_b128 v[52:55], v66 offset:5952
	v_fma_f64 v[101:102], -v[20:21], v[60:61], v[101:102]
	ds_read_b128 v[60:63], v66 offset:6704
	s_waitcnt lgkmcnt(3)
	v_fma_f64 v[83:84], -v[16:17], v[83:84], v[103:104]
	v_fma_f64 v[103:104], -v[16:17], v[81:82], v[105:106]
	s_waitcnt lgkmcnt(2)
	v_fma_f64 v[105:106], -v[8:9], v[58:59], v[109:110]
	v_fma_f64 v[91:92], -v[8:9], v[56:57], v[91:92]
	ds_read_b128 v[69:72], v66 offset:5456
	v_fma_f64 v[87:88], -v[28:29], v[87:88], v[107:108]
	v_fma_f64 v[101:102], -v[26:27], v[79:80], v[101:102]
	ds_read_b128 v[79:82], v66 offset:5440
	ds_read_b128 v[56:59], v66 offset:4688
	s_waitcnt lgkmcnt(4)
	v_fma_f64 v[105:106], -v[18:19], v[54:55], v[105:106]
	v_fma_f64 v[91:92], -v[18:19], v[52:53], v[91:92]
	ds_read_b128 v[52:55], v66 offset:5696
	s_waitcnt lgkmcnt(3)
	v_fma_f64 v[83:84], -v[22:23], v[71:72], v[83:84]
	v_fma_f64 v[103:104], -v[22:23], v[69:70], v[103:104]
	ds_read_b128 v[69:72], v66 offset:5200
	v_fma_f64 v[95:96], -v[34:35], v[95:96], v[87:88]
	v_fma_f64 v[107:108], -v[24:25], v[89:90], v[101:102]
	s_waitcnt lgkmcnt(1)
	v_fma_f64 v[105:106], -v[16:17], v[54:55], v[105:106]
	v_fma_f64 v[91:92], -v[16:17], v[52:53], v[91:92]
	ds_read_b128 v[87:90], v66 offset:5184
	s_waitcnt lgkmcnt(1)
	v_fma_f64 v[83:84], -v[20:21], v[71:72], v[83:84]
	v_fma_f64 v[109:110], -v[20:21], v[69:70], v[103:104]
	ds_read_b128 v[69:72], v66 offset:4944
	ds_read_b128 v[52:55], v66 offset:4928
	v_fma_f64 v[107:108], -v[30:31], v[67:68], v[107:108]
	v_fma_f64 v[105:106], -v[22:23], v[81:82], v[105:106]
	;; [unrolled: 1-line block ×3, first 2 shown]
	global_load_dwordx4 v[79:82], v[64:65], off offset:32
	s_waitcnt lgkmcnt(1)
	v_fma_f64 v[71:72], -v[26:27], v[71:72], v[83:84]
	v_fma_f64 v[109:110], -v[26:27], v[69:70], v[109:110]
	ds_read_b128 v[67:70], v66 offset:3680
	ds_read_b128 v[101:104], v66 offset:5680
	v_fma_f64 v[107:108], -v[28:29], v[85:86], v[107:108]
	ds_read_b128 v[83:86], v66 offset:3664
	v_fma_f64 v[91:92], -v[20:21], v[87:88], v[91:92]
	s_waitcnt lgkmcnt(2)
	v_fma_f64 v[95:96], -v[32:33], v[69:70], v[95:96]
	v_fma_f64 v[111:112], -v[24:25], v[58:59], v[71:72]
	;; [unrolled: 1-line block ×3, first 2 shown]
	ds_read_b128 v[56:59], v66 offset:7984
	ds_read_b128 v[69:72], v66 offset:4432
	v_fma_f64 v[105:106], -v[20:21], v[89:90], v[105:106]
	v_fma_f64 v[107:108], -v[34:35], v[93:94], v[107:108]
	ds_read_b128 v[87:90], v66 offset:3424
	s_waitcnt lgkmcnt(2)
	v_mul_f64 v[58:59], v[2:3], v[58:59]
	v_mul_f64 v[56:57], v[2:3], v[56:57]
	v_fma_f64 v[52:53], -v[26:27], v[52:53], v[91:92]
	ds_read_b128 v[91:94], v66 offset:4176
	v_fma_f64 v[105:106], -v[26:27], v[54:55], v[105:106]
	v_fma_f64 v[67:68], -v[32:33], v[67:68], v[107:108]
	s_waitcnt vmcnt(1)
	v_fma_f64 v[113:114], s[0:1], v[77:78], -v[58:59]
	v_fma_f64 v[115:116], s[0:1], v[75:76], -v[56:57]
	ds_read_b128 v[75:78], v66 offset:4672
	s_waitcnt lgkmcnt(3)
	v_fma_f64 v[111:112], -v[30:31], v[71:72], v[111:112]
	v_fma_f64 v[109:110], -v[30:31], v[69:70], v[109:110]
	ds_read_b128 v[69:72], v66 offset:4416
	ds_read_b128 v[56:59], v66 offset:3584
	s_waitcnt lgkmcnt(4)
	v_mul_f64 v[54:55], v[89:90], v[95:96]
	v_fma_f64 v[99:100], -v[0:1], v[99:100], v[113:114]
	v_fma_f64 v[97:98], -v[0:1], v[97:98], v[115:116]
	s_waitcnt lgkmcnt(2)
	v_fma_f64 v[113:114], -v[24:25], v[75:76], v[52:53]
	v_fma_f64 v[107:108], -v[28:29], v[93:94], v[111:112]
	ds_read_b128 v[93:96], v66 offset:7472
	v_fma_f64 v[109:110], -v[28:29], v[91:92], v[109:110]
	ds_read_b128 v[89:92], v66 offset:3920
	v_fma_f64 v[67:68], -v[54:55], v[87:88], v[67:68]
	v_fma_f64 v[111:112], -v[24:25], v[77:78], v[105:106]
	s_waitcnt lgkmcnt(1)
	v_fma_f64 v[99:100], -v[14:15], v[95:96], v[99:100]
	v_fma_f64 v[115:116], -v[14:15], v[93:94], v[97:98]
	ds_read_b128 v[75:78], v66 offset:4160
	s_waitcnt lgkmcnt(1)
	v_fma_f64 v[87:88], -v[34:35], v[91:92], v[107:108]
	ds_read_b128 v[91:94], v66 offset:4656
	ds_read_b128 v[95:98], v66 offset:7216
	;; [unrolled: 1-line block ×3, first 2 shown]
	v_fma_f64 v[89:90], -v[34:35], v[89:90], v[109:110]
	v_mul_f64 v[52:53], v[73:74], v[67:68]
	v_fma_f64 v[109:110], -v[30:31], v[69:70], v[113:114]
	s_waitcnt lgkmcnt(1)
	v_fma_f64 v[97:98], -v[12:13], v[97:98], v[99:100]
	v_fma_f64 v[95:96], -v[12:13], v[95:96], v[115:116]
	;; [unrolled: 1-line block ×4, first 2 shown]
	ds_read_b128 v[71:74], v66 offset:6960
	ds_read_b128 v[85:88], v66 offset:3408
	v_fma_f64 v[83:84], -v[32:33], v[83:84], v[89:90]
	s_waitcnt lgkmcnt(1)
	v_fma_f64 v[89:90], -v[6:7], v[73:74], v[97:98]
	v_fma_f64 v[95:96], -v[6:7], v[71:72], v[95:96]
	;; [unrolled: 1-line block ×3, first 2 shown]
	ds_read_b128 v[71:74], v66 offset:3392
	s_waitcnt lgkmcnt(1)
	v_fma_f64 v[87:88], -v[54:55], v[87:88], v[67:68]
	ds_read_b128 v[67:70], v66 offset:3152
	v_fma_f64 v[99:100], -v[28:29], v[75:76], v[109:110]
	ds_read_b128 v[75:78], v66 offset:3136
	v_fma_f64 v[111:112], -v[4:5], v[62:63], v[89:90]
	v_fma_f64 v[95:96], -v[4:5], v[60:61], v[95:96]
	;; [unrolled: 1-line block ×3, first 2 shown]
	s_waitcnt lgkmcnt(1)
	v_fma_f64 v[109:110], -v[52:53], v[69:70], v[87:88]
	v_fma_f64 v[69:70], -v[54:55], v[85:86], v[83:84]
	ds_read_b128 v[60:63], v66 offset:6448
	ds_read_b128 v[83:86], v66 offset:3648
	;; [unrolled: 1-line block ×3, first 2 shown]
	v_fma_f64 v[99:100], -v[34:35], v[105:106], v[99:100]
	s_waitcnt lgkmcnt(2)
	v_fma_f64 v[107:108], -v[10:11], v[62:63], v[111:112]
	v_fma_f64 v[95:96], -v[10:11], v[60:61], v[95:96]
	s_waitcnt lgkmcnt(0)
	v_mul_f64 v[89:90], v[2:3], v[89:90]
	ds_read_b128 v[60:63], v66 offset:6192
	v_fma_f64 v[111:112], -v[32:33], v[85:86], v[97:98]
	v_mul_f64 v[97:98], v[2:3], v[87:88]
	v_fma_f64 v[105:106], -v[52:53], v[67:68], v[69:70]
	ds_read_b128 v[67:70], v66 offset:2896
	s_waitcnt lgkmcnt(1)
	v_fma_f64 v[107:108], -v[8:9], v[62:63], v[107:108]
	v_fma_f64 v[60:61], -v[8:9], v[60:61], v[95:96]
	s_waitcnt vmcnt(0)
	v_fma_f64 v[89:90], s[0:1], v[81:82], -v[89:90]
	v_fma_f64 v[99:100], -v[32:33], v[83:84], v[99:100]
	ds_read_b128 v[81:84], v66 offset:5936
	ds_read_b128 v[85:88], v66 offset:2880
	v_fma_f64 v[79:80], s[0:1], v[79:80], -v[97:98]
	ds_read_b128 v[95:98], v66 offset:7712
	s_waitcnt lgkmcnt(3)
	v_mul_f64 v[62:63], v[69:70], v[109:110]
	s_waitcnt lgkmcnt(2)
	v_fma_f64 v[83:84], -v[18:19], v[83:84], v[107:108]
	v_fma_f64 v[107:108], -v[54:55], v[73:74], v[111:112]
	;; [unrolled: 1-line block ×3, first 2 shown]
	s_waitcnt lgkmcnt(0)
	v_fma_f64 v[73:74], -v[0:1], v[97:98], v[89:90]
	v_fma_f64 v[89:90], -v[54:55], v[71:72], v[99:100]
	ds_read_b128 v[69:72], v66 offset:7456
	v_fma_f64 v[99:100], -v[0:1], v[95:96], v[79:80]
	global_load_dwordx4 v[79:82], v[64:65], off offset:16
	v_fma_f64 v[83:84], -v[16:17], v[103:104], v[83:84]
	v_fma_f64 v[105:106], -v[62:63], v[67:68], v[105:106]
	;; [unrolled: 1-line block ×3, first 2 shown]
	s_waitcnt lgkmcnt(0)
	v_fma_f64 v[101:102], -v[14:15], v[71:72], v[73:74]
	ds_read_b128 v[71:74], v66 offset:5424
	ds_read_b128 v[95:98], v66 offset:7200
	v_fma_f64 v[103:104], -v[52:53], v[77:78], v[107:108]
	v_fma_f64 v[99:100], -v[14:15], v[69:70], v[99:100]
	ds_read2_b64 v[67:70], v117 offset0:8 offset1:74
	s_waitcnt lgkmcnt(2)
	v_fma_f64 v[83:84], -v[22:23], v[73:74], v[83:84]
	v_fma_f64 v[107:108], -v[22:23], v[71:72], v[60:61]
	s_waitcnt lgkmcnt(1)
	v_fma_f64 v[97:98], -v[12:13], v[97:98], v[101:102]
	ds_read_b128 v[71:74], v66 offset:5168
	v_fma_f64 v[101:102], -v[52:53], v[75:76], v[89:90]
	ds_read_b128 v[75:78], v66 offset:6944
	v_fma_f64 v[89:90], -v[12:13], v[95:96], v[99:100]
	s_waitcnt lgkmcnt(2)
	v_mul_f64 v[60:61], v[69:70], v[105:106]
	v_fma_f64 v[103:104], -v[62:63], v[87:88], v[103:104]
	s_waitcnt lgkmcnt(0)
	v_fma_f64 v[77:78], -v[6:7], v[77:78], v[97:98]
	ds_read_b128 v[95:98], v66 offset:4912
	v_fma_f64 v[99:100], -v[20:21], v[71:72], v[107:108]
	global_load_dwordx4 v[69:72], v[64:65], off
	v_fma_f64 v[83:84], -v[20:21], v[73:74], v[83:84]
	v_fma_f64 v[105:106], -v[6:7], v[75:76], v[89:90]
	ds_read_b128 v[73:76], v66 offset:6688
	ds_read_b128 v[87:90], v66 offset:2624
	v_fma_f64 v[101:102], -v[62:63], v[85:86], v[101:102]
	s_waitcnt lgkmcnt(2)
	v_fma_f64 v[95:96], -v[26:27], v[95:96], v[99:100]
	s_waitcnt lgkmcnt(1)
	v_fma_f64 v[99:100], -v[4:5], v[75:76], v[77:78]
	v_fma_f64 v[97:98], -v[26:27], v[97:98], v[83:84]
	;; [unrolled: 1-line block ×3, first 2 shown]
	ds_read_b128 v[75:78], v66 offset:6432
	ds_read_b128 v[83:86], v66 offset:2368
	s_waitcnt lgkmcnt(2)
	v_fma_f64 v[103:104], -v[60:61], v[89:90], v[103:104]
	v_fma_f64 v[105:106], -v[24:25], v[91:92], v[95:96]
	s_waitcnt lgkmcnt(1)
	v_fma_f64 v[77:78], -v[10:11], v[77:78], v[99:100]
	v_fma_f64 v[97:98], -v[24:25], v[93:94], v[97:98]
	ds_read_b128 v[89:92], v66 offset:4400
	ds_read_b128 v[93:96], v66 offset:6176
	v_fma_f64 v[73:74], -v[10:11], v[75:76], v[73:74]
	v_fma_f64 v[99:100], -v[60:61], v[87:88], v[101:102]
	s_waitcnt lgkmcnt(2)
	v_mul_f64 v[75:76], v[85:86], v[103:104]
	s_waitcnt lgkmcnt(1)
	v_fma_f64 v[101:102], -v[30:31], v[89:90], v[105:106]
	s_waitcnt lgkmcnt(0)
	v_fma_f64 v[77:78], -v[8:9], v[95:96], v[77:78]
	v_fma_f64 v[97:98], -v[30:31], v[91:92], v[97:98]
	ds_read_b128 v[85:88], v66 offset:4144
	ds_read_b128 v[89:92], v66 offset:5920
	v_fma_f64 v[73:74], -v[8:9], v[93:94], v[73:74]
	ds_read_b128 v[93:96], v66 offset:3632
	v_fma_f64 v[105:106], -v[75:76], v[83:84], v[99:100]
	s_waitcnt lgkmcnt(2)
	v_fma_f64 v[109:110], -v[28:29], v[85:86], v[101:102]
	s_waitcnt lgkmcnt(1)
	v_fma_f64 v[77:78], -v[18:19], v[91:92], v[77:78]
	v_fma_f64 v[107:108], -v[28:29], v[87:88], v[97:98]
	ds_read_b128 v[83:86], v66 offset:3888
	ds_read_b128 v[97:100], v66 offset:2608
	v_fma_f64 v[91:92], -v[18:19], v[89:90], v[73:74]
	ds_read_b128 v[87:90], v66 offset:5664
	ds_read_b128 v[101:104], v66 offset:2560
	v_mul_f64 v[73:74], v[67:68], v[105:106]
	s_waitcnt lgkmcnt(3)
	v_fma_f64 v[109:110], -v[34:35], v[83:84], v[109:110]
	s_waitcnt lgkmcnt(1)
	v_fma_f64 v[67:68], -v[16:17], v[89:90], v[77:78]
	v_fma_f64 v[111:112], -v[34:35], v[85:86], v[107:108]
	ds_read_b128 v[83:86], v66 offset:7696
	v_fma_f64 v[77:78], -v[16:17], v[87:88], v[91:92]
	ds_read_b128 v[87:90], v66 offset:5408
	ds_read_b128 v[105:108], v66 offset:5152
	v_fma_f64 v[113:114], -v[32:33], v[93:94], v[109:110]
	ds_read_b128 v[91:94], v66 offset:7952
	v_fma_f64 v[95:96], -v[32:33], v[95:96], v[111:112]
	s_waitcnt lgkmcnt(2)
	v_fma_f64 v[67:68], -v[22:23], v[89:90], v[67:68]
	v_fma_f64 v[77:78], -v[22:23], v[87:88], v[77:78]
	ds_read_b128 v[109:112], v66 offset:3376
	s_waitcnt lgkmcnt(1)
	v_mul_f64 v[115:116], v[2:3], v[93:94]
	v_mul_f64 v[117:118], v[2:3], v[91:92]
	ds_read_b128 v[91:94], v66 offset:3120
	ds_read_b128 v[87:90], v66 offset:4896
	s_waitcnt lgkmcnt(2)
	v_fma_f64 v[95:96], -v[54:55], v[111:112], v[95:96]
	v_fma_f64 v[109:110], -v[54:55], v[109:110], v[113:114]
	;; [unrolled: 1-line block ×4, first 2 shown]
	s_waitcnt vmcnt(1)
	v_fma_f64 v[81:82], s[0:1], v[81:82], -v[115:116]
	v_fma_f64 v[113:114], s[0:1], v[79:80], -v[117:118]
	ds_read_b128 v[77:80], v66 offset:7936
	ds_read_b128 v[105:108], v66 offset:6672
	s_waitcnt lgkmcnt(3)
	v_fma_f64 v[93:94], -v[52:53], v[93:94], v[95:96]
	v_fma_f64 v[91:92], -v[52:53], v[91:92], v[109:110]
	s_waitcnt lgkmcnt(2)
	v_fma_f64 v[95:96], -v[26:27], v[89:90], v[67:68]
	v_fma_f64 v[109:110], -v[26:27], v[87:88], v[111:112]
	;; [unrolled: 1-line block ×4, first 2 shown]
	s_waitcnt lgkmcnt(1)
	v_mul_f64 v[113:114], v[2:3], v[79:80]
	ds_read_b128 v[79:82], v66 offset:7440
	ds_read_b128 v[87:90], v66 offset:2864
	;; [unrolled: 1-line block ×3, first 2 shown]
	v_mul_f64 v[115:116], v[2:3], v[77:78]
	s_waitcnt lgkmcnt(2)
	v_fma_f64 v[81:82], -v[14:15], v[81:82], v[67:68]
	v_fma_f64 v[111:112], -v[14:15], v[79:80], v[111:112]
	s_waitcnt lgkmcnt(1)
	v_fma_f64 v[93:94], -v[62:63], v[89:90], v[93:94]
	s_waitcnt vmcnt(0)
	v_fma_f64 v[71:72], s[0:1], v[71:72], -v[113:114]
	v_fma_f64 v[91:92], -v[62:63], v[87:88], v[91:92]
	ds_read_b128 v[77:80], v66 offset:7184
	ds_read_b128 v[87:90], v66 offset:4384
	v_fma_f64 v[113:114], s[0:1], v[69:70], -v[115:116]
	s_waitcnt lgkmcnt(2)
	v_fma_f64 v[95:96], -v[24:25], v[85:86], v[95:96]
	v_fma_f64 v[109:110], -v[24:25], v[83:84], v[109:110]
	s_waitcnt lgkmcnt(1)
	v_fma_f64 v[115:116], -v[12:13], v[79:80], v[81:82]
	ds_read_b128 v[79:82], v66 offset:6928
	ds_read_b128 v[83:86], v66 offset:7424
	v_fma_f64 v[71:72], -v[0:1], v[46:47], v[71:72]
	v_fma_f64 v[77:78], -v[12:13], v[77:78], v[111:112]
	;; [unrolled: 1-line block ×3, first 2 shown]
	ds_read_b128 v[67:70], v66 offset:4128
	ds_read_b128 v[44:47], v66 offset:3872
	s_waitcnt lgkmcnt(3)
	v_fma_f64 v[81:82], -v[6:7], v[81:82], v[115:116]
	v_fma_f64 v[99:100], -v[60:61], v[99:100], v[93:94]
	;; [unrolled: 1-line block ×3, first 2 shown]
	s_waitcnt lgkmcnt(2)
	v_fma_f64 v[71:72], -v[14:15], v[85:86], v[71:72]
	v_fma_f64 v[85:86], -v[6:7], v[79:80], v[77:78]
	ds_read_b128 v[77:80], v66 offset:7168
	ds_read_b128 v[91:94], v66 offset:5648
	v_fma_f64 v[97:98], -v[14:15], v[83:84], v[111:112]
	v_fma_f64 v[111:112], -v[30:31], v[89:90], v[95:96]
	;; [unrolled: 1-line block ×4, first 2 shown]
	ds_read_b128 v[87:90], v66 offset:2352
	s_waitcnt lgkmcnt(2)
	v_fma_f64 v[71:72], -v[12:13], v[79:80], v[71:72]
	ds_read_b128 v[79:82], v66 offset:6416
	v_fma_f64 v[105:106], -v[4:5], v[105:106], v[85:86]
	ds_read_b128 v[83:86], v66 offset:6912
	;; [unrolled: 2-line block ×3, first 2 shown]
	s_waitcnt lgkmcnt(2)
	v_fma_f64 v[81:82], -v[10:11], v[81:82], v[107:108]
	v_fma_f64 v[111:112], -v[28:29], v[69:70], v[111:112]
	s_waitcnt lgkmcnt(1)
	v_fma_f64 v[71:72], -v[6:7], v[85:86], v[71:72]
	v_fma_f64 v[109:110], -v[28:29], v[67:68], v[109:110]
	;; [unrolled: 1-line block ×3, first 2 shown]
	ds_read_b128 v[77:80], v66 offset:3360
	v_fma_f64 v[99:100], -v[75:76], v[89:90], v[99:100]
	v_fma_f64 v[89:90], -v[6:7], v[83:84], v[115:116]
	s_waitcnt lgkmcnt(1)
	v_fma_f64 v[105:106], -v[8:9], v[97:98], v[81:82]
	v_fma_f64 v[107:108], -v[75:76], v[87:88], v[113:114]
	;; [unrolled: 1-line block ×3, first 2 shown]
	ds_read_b128 v[81:84], v66 offset:5904
	v_fma_f64 v[113:114], -v[8:9], v[95:96], v[85:86]
	ds_read_b128 v[85:88], v66 offset:6400
	ds_read_b128 v[95:98], v66 offset:3104
	v_fma_f64 v[46:47], -v[34:35], v[46:47], v[111:112]
	v_fma_f64 v[89:90], -v[4:5], v[36:37], v[89:90]
	s_waitcnt lgkmcnt(2)
	v_fma_f64 v[105:106], -v[18:19], v[83:84], v[105:106]
	ds_read_b128 v[36:39], v66 offset:2848
	s_waitcnt lgkmcnt(2)
	v_fma_f64 v[87:88], -v[10:11], v[87:88], v[71:72]
	ds_read_b128 v[69:72], v66 offset:6144
	v_fma_f64 v[113:114], -v[18:19], v[81:82], v[113:114]
	ds_read_b128 v[81:84], v66 offset:2096
	v_fma_f64 v[67:68], -v[16:17], v[93:94], v[105:106]
	v_fma_f64 v[93:94], -v[10:11], v[85:86], v[89:90]
	s_waitcnt lgkmcnt(1)
	v_fma_f64 v[71:72], -v[8:9], v[71:72], v[87:88]
	ds_read_b128 v[85:88], v66 offset:5392
	v_fma_f64 v[105:106], -v[16:17], v[91:92], v[113:114]
	ds_read_b128 v[89:92], v66 offset:5888
	s_waitcnt lgkmcnt(2)
	v_fma_f64 v[99:100], -v[73:74], v[83:84], v[99:100]
	v_fma_f64 v[107:108], -v[73:74], v[81:82], v[107:108]
	s_waitcnt lgkmcnt(1)
	v_fma_f64 v[87:88], -v[22:23], v[87:88], v[67:68]
	v_fma_f64 v[93:94], -v[8:9], v[69:70], v[93:94]
	s_waitcnt lgkmcnt(0)
	v_fma_f64 v[71:72], -v[18:19], v[91:92], v[71:72]
	ds_read_b128 v[67:70], v66 offset:5136
	ds_read_b128 v[81:84], v66 offset:4624
	v_fma_f64 v[91:92], -v[22:23], v[85:86], v[105:106]
	v_fma_f64 v[105:106], -v[34:35], v[44:45], v[109:110]
	s_waitcnt lgkmcnt(1)
	v_fma_f64 v[109:110], -v[20:21], v[69:70], v[87:88]
	v_fma_f64 v[93:94], -v[18:19], v[89:90], v[93:94]
	;; [unrolled: 1-line block ×3, first 2 shown]
	ds_read_b128 v[42:45], v66 offset:4880
	ds_read_b128 v[69:72], v66 offset:3616
	;; [unrolled: 1-line block ×3, first 2 shown]
	v_fma_f64 v[113:114], -v[20:21], v[67:68], v[91:92]
	ds_read_b128 v[89:92], v66 offset:2336
	s_waitcnt lgkmcnt(2)
	v_fma_f64 v[71:72], -v[32:33], v[71:72], v[46:47]
	v_fma_f64 v[109:110], -v[26:27], v[44:45], v[109:110]
	;; [unrolled: 1-line block ×3, first 2 shown]
	s_waitcnt lgkmcnt(1)
	v_fma_f64 v[87:88], -v[22:23], v[87:88], v[111:112]
	v_fma_f64 v[93:94], -v[32:33], v[69:70], v[105:106]
	ds_read_b128 v[44:47], v66 offset:1840
	ds_read_b128 v[67:70], v66 offset:5120
	v_fma_f64 v[105:106], -v[26:27], v[42:43], v[113:114]
	v_fma_f64 v[83:84], -v[24:25], v[83:84], v[109:110]
	;; [unrolled: 1-line block ×3, first 2 shown]
	s_waitcnt lgkmcnt(0)
	v_fma_f64 v[87:88], -v[20:21], v[69:70], v[87:88]
	ds_read_b128 v[40:43], v66 offset:4368
	v_mul_f64 v[46:47], v[46:47], v[99:100]
	v_fma_f64 v[99:100], -v[54:55], v[79:80], v[71:72]
	ds_read_b128 v[69:72], v66 offset:4864
	v_fma_f64 v[105:106], -v[24:25], v[81:82], v[105:106]
	s_waitcnt lgkmcnt(1)
	v_fma_f64 v[109:110], -v[30:31], v[42:43], v[83:84]
	v_fma_f64 v[67:68], -v[20:21], v[67:68], v[85:86]
	ds_read_b128 v[79:82], v66 offset:4112
	s_waitcnt lgkmcnt(1)
	v_fma_f64 v[71:72], -v[26:27], v[71:72], v[87:88]
	ds_read_b128 v[83:86], v66 offset:2080
	v_fma_f64 v[111:112], -v[52:53], v[97:98], v[99:100]
	ds_read_b128 v[97:100], v66 offset:3856
	v_fma_f64 v[40:41], -v[30:31], v[40:41], v[105:106]
	s_waitcnt lgkmcnt(2)
	v_fma_f64 v[81:82], -v[28:29], v[81:82], v[109:110]
	v_fma_f64 v[87:88], -v[46:47], v[44:45], v[107:108]
	ds_read_b128 v[42:45], v66 offset:3600
	v_fma_f64 v[50:51], -v[24:25], v[50:51], v[71:72]
	v_fma_f64 v[71:72], -v[26:27], v[69:70], v[67:68]
	ds_read_b128 v[67:70], v66 offset:4352
	ds_read_b128 v[105:108], v66 offset:1824
	v_fma_f64 v[77:78], -v[54:55], v[77:78], v[93:94]
	v_fma_f64 v[79:80], -v[28:29], v[79:80], v[40:41]
	s_waitcnt lgkmcnt(3)
	v_fma_f64 v[81:82], -v[34:35], v[99:100], v[81:82]
	v_fma_f64 v[93:94], -v[62:63], v[38:39], v[111:112]
	ds_read_b128 v[38:41], v66 offset:4096
	s_waitcnt lgkmcnt(2)
	v_fma_f64 v[99:100], -v[30:31], v[69:70], v[50:51]
	v_fma_f64 v[109:110], -v[24:25], v[48:49], v[71:72]
	ds_read_b128 v[48:51], v66 offset:2592
	ds_read_b128 v[69:72], v66 offset:3344
	v_fma_f64 v[111:112], -v[52:53], v[95:96], v[77:78]
	v_fma_f64 v[44:45], -v[32:33], v[44:45], v[81:82]
	;; [unrolled: 1-line block ×3, first 2 shown]
	s_waitcnt lgkmcnt(1)
	v_fma_f64 v[50:51], -v[60:61], v[50:51], v[93:94]
	v_fma_f64 v[97:98], -v[28:29], v[40:41], v[99:100]
	;; [unrolled: 1-line block ×3, first 2 shown]
	ds_read_b128 v[77:80], v66 offset:3840
	ds_read_b128 v[93:96], v66 offset:2576
	s_waitcnt lgkmcnt(2)
	v_fma_f64 v[44:45], -v[54:55], v[71:72], v[44:45]
	v_fma_f64 v[71:72], -v[32:33], v[42:43], v[81:82]
	;; [unrolled: 1-line block ×3, first 2 shown]
	s_waitcnt lgkmcnt(1)
	v_fma_f64 v[97:98], -v[34:35], v[79:80], v[97:98]
	v_fma_f64 v[67:68], -v[28:29], v[38:39], v[67:68]
	;; [unrolled: 1-line block ×3, first 2 shown]
	ds_read_b128 v[40:43], v66 offset:3088
	ds_read_b128 v[36:39], v66 offset:2832
	ds_read_b128 v[79:82], v66 offset:3328
	v_fma_f64 v[71:72], -v[54:55], v[69:70], v[71:72]
	v_fma_f64 v[85:86], -v[73:74], v[85:86], v[50:51]
	s_waitcnt lgkmcnt(2)
	v_fma_f64 v[99:100], -v[52:53], v[42:43], v[44:45]
	v_fma_f64 v[58:59], -v[32:33], v[58:59], v[97:98]
	;; [unrolled: 1-line block ×4, first 2 shown]
	ds_read2_b64 v[42:45], v66 offset0:132 offset1:198
	ds_read_b128 v[67:70], v66 offset:3072
	v_fma_f64 v[71:72], -v[52:53], v[40:41], v[71:72]
	v_fma_f64 v[85:86], -v[46:47], v[107:108], v[85:86]
	s_waitcnt lgkmcnt(3)
	v_fma_f64 v[91:92], -v[62:63], v[38:39], v[99:100]
	s_waitcnt lgkmcnt(2)
	v_fma_f64 v[58:59], -v[54:55], v[81:82], v[58:59]
	v_fma_f64 v[56:57], -v[32:33], v[56:57], v[77:78]
	;; [unrolled: 1-line block ×3, first 2 shown]
	s_waitcnt lgkmcnt(1)
	v_mul_f64 v[44:45], v[44:45], v[87:88]
	ds_read_b128 v[38:41], v66 offset:2816
	ds_read_b128 v[48:51], v66 offset:2320
	v_fma_f64 v[36:37], -v[62:63], v[36:37], v[71:72]
	v_fma_f64 v[81:82], -v[60:61], v[95:96], v[91:92]
	s_waitcnt lgkmcnt(2)
	v_fma_f64 v[87:88], -v[52:53], v[69:70], v[58:59]
	v_fma_f64 v[79:80], -v[54:55], v[79:80], v[56:57]
	;; [unrolled: 1-line block ×3, first 2 shown]
	ds_read_b128 v[56:59], v66 offset:1568
	ds_read_b128 v[69:72], v66 offset:2064
	v_fma_f64 v[36:37], -v[60:61], v[93:94], v[36:37]
	s_waitcnt lgkmcnt(2)
	v_fma_f64 v[50:51], -v[75:76], v[50:51], v[81:82]
	v_fma_f64 v[40:41], -v[62:63], v[40:41], v[87:88]
	;; [unrolled: 1-line block ×3, first 2 shown]
	ds_read_b128 v[77:80], v66 offset:1312
	s_waitcnt lgkmcnt(2)
	v_fma_f64 v[58:59], -v[44:45], v[58:59], v[85:86]
	v_fma_f64 v[85:86], -v[46:47], v[105:106], v[83:84]
	ds_read_b128 v[81:84], v66 offset:1808
	v_fma_f64 v[87:88], -v[60:61], v[103:104], v[40:41]
	v_fma_f64 v[67:68], -v[62:63], v[38:39], v[67:68]
	s_waitcnt lgkmcnt(1)
	v_mul_f64 v[40:41], v[79:80], v[58:59]
	v_fma_f64 v[79:80], -v[44:45], v[56:57], v[85:86]
	ds_read_b128 v[56:59], v66 offset:2048
	v_fma_f64 v[50:51], -v[73:74], v[71:72], v[50:51]
	v_fma_f64 v[71:72], -v[75:76], v[48:49], v[36:37]
	ds_read_b128 v[36:39], v66 offset:2304
	v_fma_f64 v[85:86], -v[60:61], v[101:102], v[67:68]
	s_waitcnt lgkmcnt(0)
	v_fma_f64 v[38:39], -v[75:76], v[38:39], v[87:88]
	v_fma_f64 v[87:88], -v[40:41], v[77:78], v[79:80]
	;; [unrolled: 1-line block ×3, first 2 shown]
	ds_read_b128 v[77:80], v66 offset:1792
	v_fma_f64 v[83:84], -v[46:47], v[83:84], v[50:51]
	ds_read_b128 v[48:51], v66 offset:1552
	ds_read_b128 v[67:70], v66 offset:1296
	v_fma_f64 v[36:37], -v[75:76], v[36:37], v[85:86]
	v_fma_f64 v[58:59], -v[73:74], v[58:59], v[38:39]
	v_mul_f64 v[38:39], v[42:43], v[87:88]
	v_fma_f64 v[71:72], -v[46:47], v[81:82], v[71:72]
	s_waitcnt lgkmcnt(1)
	v_fma_f64 v[50:51], -v[44:45], v[50:51], v[83:84]
	v_fma_f64 v[36:37], -v[73:74], v[56:57], v[36:37]
	s_waitcnt lgkmcnt(0)
	v_fma_f64 v[42:43], -v[40:41], v[69:70], v[50:51]
	v_fma_f64 v[69:70], -v[44:45], v[48:49], v[71:72]
	;; [unrolled: 1-line block ×3, first 2 shown]
	ds_read_b128 v[48:51], v66 offset:1040
	ds_read_b128 v[56:59], v66 offset:1536
	v_fma_f64 v[36:37], -v[46:47], v[77:78], v[36:37]
	s_waitcnt lgkmcnt(1)
	v_fma_f64 v[42:43], -v[38:39], v[50:51], v[42:43]
	v_fma_f64 v[81:82], -v[40:41], v[67:68], v[69:70]
	s_waitcnt lgkmcnt(0)
	v_fma_f64 v[58:59], -v[44:45], v[58:59], v[71:72]
	ds_read_b128 v[67:70], v66 offset:784
	ds_read_b128 v[77:80], v66 offset:1280
	v_fma_f64 v[36:37], -v[44:45], v[56:57], v[36:37]
	s_waitcnt lgkmcnt(1)
	v_mul_f64 v[50:51], v[69:70], v[42:43]
	v_fma_f64 v[42:43], -v[38:39], v[48:49], v[81:82]
	s_waitcnt lgkmcnt(0)
	v_fma_f64 v[48:49], -v[40:41], v[79:80], v[58:59]
	ds_read_b128 v[56:59], v66 offset:1024
	v_fma_f64 v[36:37], -v[40:41], v[77:78], v[36:37]
	v_fma_f64 v[42:43], -v[50:51], v[67:68], v[42:43]
	s_waitcnt lgkmcnt(0)
	v_fma_f64 v[58:59], -v[38:39], v[58:59], v[48:49]
	ds_read2_b64 v[67:70], v66 offset1:66
	ds_read_b128 v[77:80], v66 offset:768
	v_fma_f64 v[36:37], -v[38:39], v[56:57], v[36:37]
	global_store_dwordx4 v[64:65], v[0:3], off offset:240
	s_waitcnt lgkmcnt(1)
	v_mul_f64 v[48:49], v[69:70], v[42:43]
	s_waitcnt lgkmcnt(0)
	v_fma_f64 v[42:43], -v[50:51], v[79:80], v[58:59]
	ds_read_b128 v[56:59], v66 offset:512
	ds_read_b128 v[69:72], v66 offset:256
	v_fma_f64 v[36:37], -v[50:51], v[77:78], v[36:37]
	global_store_dwordx4 v[64:65], v[12:15], off offset:224
	global_store_dwordx4 v[64:65], v[4:7], off offset:208
	;; [unrolled: 1-line block ×7, first 2 shown]
	s_waitcnt lgkmcnt(1)
	v_fma_f64 v[42:43], -v[48:49], v[58:59], v[42:43]
	v_fma_f64 v[36:37], -v[48:49], v[56:57], v[36:37]
	s_waitcnt lgkmcnt(0)
	v_mul_f64 v[58:59], v[71:72], v[42:43]
	v_fma_f64 v[0:1], -v[58:59], v[69:70], v[36:37]
	v_mul_f64 v[56:57], v[67:68], v[0:1]
	global_store_dwordx4 v[64:65], v[32:35], off offset:112
	global_store_dwordx4 v[64:65], v[52:55], off offset:96
	global_store_dwordx4 v[64:65], v[60:63], off offset:80
	global_store_dwordx4 v[64:65], v[73:76], off offset:64
	global_store_dwordx4 v[64:65], v[44:47], off offset:48
	global_store_dwordx4 v[64:65], v[38:41], off offset:32
	global_store_dwordx4 v[64:65], v[48:51], off offset:16
	global_store_dwordx4 v[64:65], v[56:59], off
.LBB103_28:
	s_cmp_gt_i32 s2, -1
	s_cbranch_scc0 .LBB103_51
; %bb.29:
	s_cmp_lt_u32 s2, 27
	s_cbranch_scc1 .LBB103_34
; %bb.30:
	s_mov_b32 s5, 0
	s_mov_b32 s3, s5
	s_lshl_b64 s[6:7], s[2:3], 3
	v_mov_b32_e32 v0, s7
	v_add_co_u32_e32 v20, vcc, s6, v64
	v_addc_co_u32_e32 v21, vcc, v65, v0, vcc
	global_load_dwordx4 v[0:3], v[20:21], off offset:-8
	global_load_dwordx4 v[4:7], v[20:21], off offset:-24
	;; [unrolled: 1-line block ×14, first 2 shown]
	s_cmp_le_i32 s14, s2
	s_waitcnt vmcnt(13)
	v_mul_f64 v[14:15], s[0:1], v[2:3]
	v_mul_f64 v[18:19], s[0:1], v[0:1]
	s_waitcnt vmcnt(12)
	v_mul_f64 v[56:57], s[0:1], v[6:7]
	v_mul_f64 v[54:55], s[0:1], v[4:5]
	;; [unrolled: 3-line block ×14, first 2 shown]
	s_cbranch_scc1 .LBB103_33
; %bb.31:
	s_lshl_b32 s3, s22, 8
	s_lshl_b32 s4, s2, 3
	s_add_i32 s3, s3, s4
	s_addk_i32 s3, 0xfe28
	s_mov_b32 s4, s14
.LBB103_32:                             ; =>This Inner Loop Header: Depth=1
	s_lshl_b64 s[6:7], s[4:5], 3
	v_mov_b32_e32 v59, s7
	v_add_co_u32_e32 v58, vcc, s6, v64
	v_addc_co_u32_e32 v59, vcc, v65, v59, vcc
	global_load_dwordx2 v[62:63], v[58:59], off
	v_mov_b32_e32 v114, s3
	ds_read2_b64 v[58:61], v114 offset0:26 offset1:27
	ds_read2_b64 v[66:69], v114 offset0:24 offset1:25
	;; [unrolled: 1-line block ×13, first 2 shown]
	ds_read2_b64 v[114:117], v114 offset1:1
	s_add_i32 s4, s4, -1
	s_addk_i32 s3, 0xff00
	s_cmp_gt_i32 s4, s2
	s_waitcnt vmcnt(0) lgkmcnt(13)
	v_fma_f64 v[14:15], -v[62:63], v[60:61], v[14:15]
	v_fma_f64 v[18:19], -v[62:63], v[58:59], v[18:19]
	s_waitcnt lgkmcnt(12)
	v_fma_f64 v[56:57], -v[62:63], v[68:69], v[56:57]
	v_fma_f64 v[54:55], -v[62:63], v[66:67], v[54:55]
	s_waitcnt lgkmcnt(11)
	;; [unrolled: 3-line block ×13, first 2 shown]
	v_fma_f64 v[12:13], -v[62:63], v[116:117], v[12:13]
	v_fma_f64 v[10:11], -v[62:63], v[114:115], v[10:11]
	s_cbranch_scc1 .LBB103_32
.LBB103_33:
	s_add_i32 s4, s2, -1
	s_lshl_b32 s3, s4, 3
	s_lshl_b32 s16, s2, 8
	s_add_i32 s5, s3, s16
	v_mov_b32_e32 v58, s5
	ds_read2_b64 v[58:61], v58 offset1:1
	s_lshl_b32 s17, s4, 8
	s_add_i32 s3, s3, s17
	v_mov_b32_e32 v62, s3
	ds_read_b64 v[62:63], v62
	s_waitcnt lgkmcnt(1)
	v_mul_f64 v[14:15], v[60:61], v[14:15]
	s_add_i32 s6, s2, -3
	s_lshl_b32 s3, s6, 3
	s_add_i32 s7, s3, s16
	s_mov_b32 s5, 0
	s_lshl_b64 s[8:9], s[4:5], 3
	s_add_i32 s4, s2, -2
	v_mov_b32_e32 v70, s9
	v_fma_f64 v[18:19], -v[14:15], v[58:59], v[18:19]
	v_mov_b32_e32 v58, s7
	ds_read2_b64 v[58:61], v58 offset1:1
	s_add_i32 s7, s3, s17
	v_mov_b32_e32 v66, s7
	ds_read2_b64 v[66:69], v66 offset1:1
	s_lshl_b32 s18, s4, 8
	s_waitcnt lgkmcnt(1)
	v_fma_f64 v[56:57], -v[14:15], v[60:61], v[56:57]
	v_mul_f64 v[18:19], v[62:63], v[18:19]
	v_add_co_u32_e32 v60, vcc, s8, v64
	v_addc_co_u32_e32 v61, vcc, v65, v70, vcc
	v_fma_f64 v[58:59], -v[14:15], v[58:59], v[54:55]
	global_store_dwordx2 v[20:21], v[14:15], off
	global_store_dwordx2 v[60:61], v[18:19], off
	s_waitcnt lgkmcnt(0)
	v_fma_f64 v[20:21], -v[18:19], v[68:69], v[56:57]
	s_add_i32 s7, s3, s18
	v_mov_b32_e32 v54, s7
	ds_read2_b64 v[54:57], v54 offset1:1
	s_lshl_b32 s21, s6, 8
	s_add_i32 s3, s3, s21
	v_mov_b32_e32 v60, s3
	ds_read_b64 v[68:69], v60
	s_waitcnt lgkmcnt(1)
	v_mul_f64 v[20:21], v[56:57], v[20:21]
	v_fma_f64 v[60:61], -v[18:19], v[66:67], v[58:59]
	s_add_i32 s8, s2, -5
	s_lshl_b32 s9, s8, 3
	s_add_i32 s3, s9, s16
	v_mov_b32_e32 v56, s3
	ds_read2_b64 v[56:59], v56 offset1:1
	s_add_i32 s3, s9, s17
	s_lshl_b64 s[10:11], s[4:5], 3
	v_fma_f64 v[54:55], -v[20:21], v[54:55], v[60:61]
	v_mov_b32_e32 v60, s3
	s_waitcnt lgkmcnt(0)
	v_fma_f64 v[58:59], -v[14:15], v[58:59], v[22:23]
	ds_read2_b64 v[60:63], v60 offset1:1
	v_mov_b32_e32 v66, s11
	v_add_co_u32_e32 v22, vcc, s10, v64
	v_addc_co_u32_e32 v23, vcc, v65, v66, vcc
	s_add_i32 s3, s9, s18
	global_store_dwordx2 v[22:23], v[20:21], off
	v_mul_f64 v[22:23], v[68:69], v[54:55]
	v_mov_b32_e32 v54, s3
	s_add_i32 s3, s9, s21
	v_fma_f64 v[56:57], -v[14:15], v[56:57], v[52:53]
	v_mov_b32_e32 v52, s3
	ds_read2_b64 v[66:69], v54 offset1:1
	ds_read2_b64 v[52:55], v52 offset1:1
	s_waitcnt lgkmcnt(2)
	v_fma_f64 v[58:59], -v[18:19], v[62:63], v[58:59]
	s_mov_b32 s7, s5
	s_lshl_b64 s[6:7], s[6:7], 3
	s_add_i32 s4, s2, -4
	v_fma_f64 v[60:61], -v[18:19], v[60:61], v[56:57]
	v_mov_b32_e32 v70, s7
	v_add_co_u32_e32 v62, vcc, s6, v64
	s_waitcnt lgkmcnt(1)
	v_fma_f64 v[58:59], -v[20:21], v[68:69], v[58:59]
	s_lshl_b32 s3, s4, 8
	v_addc_co_u32_e32 v63, vcc, v65, v70, vcc
	s_add_i32 s6, s9, s3
	global_store_dwordx2 v[62:63], v[22:23], off
	v_fma_f64 v[70:71], -v[20:21], v[66:67], v[60:61]
	s_lshl_b32 s15, s8, 8
	s_waitcnt lgkmcnt(0)
	v_fma_f64 v[62:63], -v[22:23], v[54:55], v[58:59]
	v_mov_b32_e32 v54, s6
	s_add_i32 s6, s2, -7
	s_lshl_b32 s7, s6, 3
	s_add_i32 s10, s7, s16
	v_mov_b32_e32 v58, s10
	ds_read2_b64 v[58:61], v58 offset1:1
	s_add_i32 s10, s7, s17
	v_mov_b32_e32 v66, s10
	ds_read2_b64 v[66:69], v66 offset1:1
	ds_read2_b64 v[54:57], v54 offset1:1
	s_waitcnt lgkmcnt(2)
	v_fma_f64 v[60:61], -v[14:15], v[60:61], v[24:25]
	s_add_i32 s9, s9, s15
	v_mov_b32_e32 v24, s9
	ds_read_b64 v[72:73], v24
	s_waitcnt lgkmcnt(1)
	v_mul_f64 v[24:25], v[56:57], v[62:63]
	v_fma_f64 v[52:53], -v[22:23], v[52:53], v[70:71]
	s_lshl_b64 s[10:11], s[4:5], 3
	s_add_i32 s4, s7, s18
	v_fma_f64 v[60:61], -v[18:19], v[68:69], v[60:61]
	v_mov_b32_e32 v56, s4
	v_fma_f64 v[26:27], -v[14:15], v[58:59], v[26:27]
	ds_read2_b64 v[56:59], v56 offset1:1
	s_add_i32 s4, s7, s21
	v_fma_f64 v[62:63], -v[24:25], v[54:55], v[52:53]
	v_mov_b32_e32 v52, s4
	ds_read2_b64 v[52:55], v52 offset1:1
	s_waitcnt lgkmcnt(1)
	v_fma_f64 v[58:59], -v[20:21], v[58:59], v[60:61]
	v_mov_b32_e32 v70, s11
	v_fma_f64 v[60:61], -v[18:19], v[66:67], v[26:27]
	v_add_co_u32_e32 v26, vcc, s10, v64
	v_addc_co_u32_e32 v27, vcc, v65, v70, vcc
	global_store_dwordx2 v[26:27], v[24:25], off
	v_mul_f64 v[26:27], v[72:73], v[62:63]
	s_waitcnt lgkmcnt(0)
	v_fma_f64 v[62:63], -v[22:23], v[54:55], v[58:59]
	s_add_i32 s4, s7, s3
	v_mov_b32_e32 v54, s4
	v_fma_f64 v[66:67], -v[20:21], v[56:57], v[60:61]
	ds_read2_b64 v[54:57], v54 offset1:1
	s_add_i32 s4, s7, s15
	v_mov_b32_e32 v58, s4
	ds_read2_b64 v[58:61], v58 offset1:1
	s_mov_b32 s9, s5
	s_waitcnt lgkmcnt(1)
	v_fma_f64 v[56:57], -v[24:25], v[56:57], v[62:63]
	s_add_i32 s4, s2, -6
	v_fma_f64 v[52:53], -v[22:23], v[52:53], v[66:67]
	s_lshl_b64 s[8:9], s[8:9], 3
	s_lshl_b32 s19, s4, 8
	v_add_co_u32_e32 v70, vcc, s8, v64
	s_add_i32 s8, s7, s19
	s_waitcnt lgkmcnt(0)
	v_fma_f64 v[56:57], -v[26:27], v[60:61], v[56:57]
	v_mov_b32_e32 v60, s8
	s_add_i32 s8, s2, -9
	v_mov_b32_e32 v62, s9
	s_lshl_b32 s9, s8, 3
	s_add_i32 s10, s9, s16
	v_fma_f64 v[72:73], -v[24:25], v[54:55], v[52:53]
	v_mov_b32_e32 v52, s10
	ds_read2_b64 v[52:55], v52 offset1:1
	s_add_i32 s10, s9, s17
	v_mov_b32_e32 v66, s10
	ds_read2_b64 v[66:69], v66 offset1:1
	v_addc_co_u32_e32 v71, vcc, v65, v62, vcc
	s_waitcnt lgkmcnt(1)
	v_fma_f64 v[54:55], -v[14:15], v[54:55], v[28:29]
	ds_read2_b64 v[60:63], v60 offset1:1
	s_lshl_b32 s20, s6, 8
	s_add_i32 s7, s7, s20
	v_mov_b32_e32 v28, s7
	ds_read_b64 v[74:75], v28
	s_waitcnt lgkmcnt(1)
	v_mul_f64 v[28:29], v[62:63], v[56:57]
	v_fma_f64 v[58:59], -v[26:27], v[58:59], v[72:73]
	v_fma_f64 v[62:63], -v[18:19], v[68:69], v[54:55]
	s_lshl_b64 s[10:11], s[4:5], 3
	s_add_i32 s4, s9, s18
	v_mov_b32_e32 v54, s4
	ds_read2_b64 v[54:57], v54 offset1:1
	v_fma_f64 v[52:53], -v[14:15], v[52:53], v[30:31]
	s_add_i32 s4, s9, s21
	v_fma_f64 v[68:69], -v[28:29], v[60:61], v[58:59]
	v_mov_b32_e32 v58, s4
	ds_read2_b64 v[58:61], v58 offset1:1
	s_waitcnt lgkmcnt(1)
	v_fma_f64 v[56:57], -v[20:21], v[56:57], v[62:63]
	s_add_i32 s4, s9, s3
	global_store_dwordx2 v[70:71], v[26:27], off
	v_fma_f64 v[52:53], -v[18:19], v[66:67], v[52:53]
	v_mov_b32_e32 v70, s11
	v_add_co_u32_e32 v30, vcc, s10, v64
	v_addc_co_u32_e32 v31, vcc, v65, v70, vcc
	s_waitcnt lgkmcnt(0)
	v_fma_f64 v[56:57], -v[22:23], v[60:61], v[56:57]
	v_mov_b32_e32 v60, s4
	ds_read2_b64 v[60:63], v60 offset1:1
	v_fma_f64 v[66:67], -v[20:21], v[54:55], v[52:53]
	s_add_i32 s4, s9, s15
	global_store_dwordx2 v[30:31], v[28:29], off
	v_mul_f64 v[30:31], v[74:75], v[68:69]
	v_mov_b32_e32 v68, s4
	ds_read2_b64 v[52:55], v68 offset1:1
	s_waitcnt lgkmcnt(1)
	v_fma_f64 v[56:57], -v[24:25], v[62:63], v[56:57]
	s_mov_b32 s7, s5
	v_fma_f64 v[58:59], -v[22:23], v[58:59], v[66:67]
	s_lshl_b64 s[6:7], s[6:7], 3
	v_mov_b32_e32 v62, s7
	v_add_co_u32_e32 v76, vcc, s6, v64
	v_addc_co_u32_e32 v77, vcc, v65, v62, vcc
	s_waitcnt lgkmcnt(0)
	v_fma_f64 v[62:63], -v[26:27], v[54:55], v[56:57]
	s_add_i32 s6, s9, s19
	v_mov_b32_e32 v54, s6
	ds_read2_b64 v[54:57], v54 offset1:1
	s_add_i32 s6, s9, s20
	v_mov_b32_e32 v66, s6
	v_fma_f64 v[70:71], -v[24:25], v[60:61], v[58:59]
	s_add_i32 s6, s2, -11
	s_lshl_b32 s7, s6, 3
	s_add_i32 s10, s7, s16
	ds_read2_b64 v[58:61], v66 offset1:1
	s_waitcnt lgkmcnt(1)
	v_fma_f64 v[56:57], -v[28:29], v[56:57], v[62:63]
	v_mov_b32_e32 v62, s10
	ds_read2_b64 v[66:69], v62 offset1:1
	v_fma_f64 v[52:53], -v[26:27], v[52:53], v[70:71]
	s_add_i32 s10, s7, s17
	v_mov_b32_e32 v62, s10
	s_add_i32 s4, s2, -8
	s_waitcnt lgkmcnt(0)
	v_fma_f64 v[32:33], -v[14:15], v[68:69], v[32:33]
	ds_read2_b64 v[70:73], v62 offset1:1
	s_lshl_b32 s23, s4, 8
	s_add_i32 s10, s9, s23
	v_fma_f64 v[56:57], -v[30:31], v[60:61], v[56:57]
	v_mov_b32_e32 v60, s10
	s_add_i32 s10, s7, s18
	v_fma_f64 v[68:69], -v[28:29], v[54:55], v[52:53]
	v_mov_b32_e32 v52, s10
	ds_read2_b64 v[52:55], v52 offset1:1
	s_waitcnt lgkmcnt(1)
	v_fma_f64 v[32:33], -v[18:19], v[72:73], v[32:33]
	s_add_i32 s10, s7, s21
	ds_read2_b64 v[60:63], v60 offset1:1
	v_mov_b32_e32 v72, s10
	ds_read2_b64 v[72:75], v72 offset1:1
	s_lshl_b32 s24, s8, 8
	s_add_i32 s9, s9, s24
	v_fma_f64 v[58:59], -v[30:31], v[58:59], v[68:69]
	s_waitcnt lgkmcnt(2)
	v_fma_f64 v[54:55], -v[20:21], v[54:55], v[32:33]
	v_mov_b32_e32 v32, s9
	ds_read_b64 v[78:79], v32
	s_waitcnt lgkmcnt(2)
	v_mul_f64 v[32:33], v[62:63], v[56:57]
	s_lshl_b64 s[10:11], s[4:5], 3
	s_add_i32 s4, s7, s3
	global_store_dwordx2 v[76:77], v[30:31], off
	v_mov_b32_e32 v76, s11
	s_waitcnt lgkmcnt(1)
	v_fma_f64 v[62:63], -v[22:23], v[74:75], v[54:55]
	v_mov_b32_e32 v54, s4
	ds_read2_b64 v[54:57], v54 offset1:1
	s_add_i32 s4, s7, s15
	v_fma_f64 v[68:69], -v[32:33], v[60:61], v[58:59]
	v_mov_b32_e32 v58, s4
	ds_read2_b64 v[58:61], v58 offset1:1
	s_add_i32 s4, s7, s19
	s_waitcnt lgkmcnt(1)
	v_fma_f64 v[56:57], -v[24:25], v[56:57], v[62:63]
	v_fma_f64 v[62:63], -v[14:15], v[66:67], v[34:35]
	v_add_co_u32_e32 v34, vcc, s10, v64
	s_add_i32 s10, s2, -13
	v_addc_co_u32_e32 v35, vcc, v65, v76, vcc
	s_lshl_b32 s11, s10, 3
	s_waitcnt lgkmcnt(0)
	v_fma_f64 v[56:57], -v[26:27], v[60:61], v[56:57]
	v_fma_f64 v[66:67], -v[18:19], v[70:71], v[62:63]
	v_mov_b32_e32 v60, s4
	ds_read2_b64 v[60:63], v60 offset1:1
	s_add_i32 s4, s7, s20
	global_store_dwordx2 v[34:35], v[32:33], off
	v_mul_f64 v[34:35], v[78:79], v[68:69]
	v_mov_b32_e32 v68, s4
	s_add_i32 s4, s11, s16
	v_fma_f64 v[52:53], -v[20:21], v[52:53], v[66:67]
	ds_read2_b64 v[66:69], v68 offset1:1
	s_waitcnt lgkmcnt(1)
	v_fma_f64 v[56:57], -v[28:29], v[62:63], v[56:57]
	v_mov_b32_e32 v62, s4
	ds_read2_b64 v[74:77], v62 offset1:1
	s_add_i32 s4, s11, s17
	v_mov_b32_e32 v62, s4
	s_mov_b32 s9, s5
	v_fma_f64 v[52:53], -v[22:23], v[72:73], v[52:53]
	s_waitcnt lgkmcnt(0)
	v_fma_f64 v[38:39], -v[14:15], v[76:77], v[38:39]
	ds_read2_b64 v[70:73], v62 offset1:1
	s_lshl_b64 s[8:9], s[8:9], 3
	v_mov_b32_e32 v78, s9
	v_add_co_u32_e32 v62, vcc, s8, v64
	v_addc_co_u32_e32 v63, vcc, v65, v78, vcc
	global_store_dwordx2 v[62:63], v[34:35], off
	v_fma_f64 v[62:63], -v[24:25], v[54:55], v[52:53]
	s_waitcnt lgkmcnt(0)
	v_fma_f64 v[38:39], -v[18:19], v[72:73], v[38:39]
	s_add_i32 s9, s11, s18
	v_mov_b32_e32 v52, s9
	ds_read2_b64 v[52:55], v52 offset1:1
	s_add_i32 s9, s11, s21
	v_fma_f64 v[68:69], -v[30:31], v[68:69], v[56:57]
	v_mov_b32_e32 v56, s9
	v_fma_f64 v[62:63], -v[26:27], v[58:59], v[62:63]
	ds_read2_b64 v[56:59], v56 offset1:1
	s_waitcnt lgkmcnt(1)
	v_fma_f64 v[38:39], -v[20:21], v[54:55], v[38:39]
	s_add_i32 s8, s7, s23
	v_mov_b32_e32 v54, s8
	ds_read2_b64 v[76:79], v54 offset1:1
	s_add_i32 s8, s7, s24
	v_fma_f64 v[36:37], -v[14:15], v[74:75], v[36:37]
	v_fma_f64 v[54:55], -v[28:29], v[60:61], v[62:63]
	v_mov_b32_e32 v60, s8
	s_waitcnt lgkmcnt(1)
	v_fma_f64 v[38:39], -v[22:23], v[58:59], v[38:39]
	s_add_i32 s8, s11, s3
	v_mov_b32_e32 v58, s8
	ds_read2_b64 v[60:63], v60 offset1:1
	s_waitcnt lgkmcnt(1)
	v_fma_f64 v[72:73], -v[32:33], v[78:79], v[68:69]
	ds_read2_b64 v[78:81], v58 offset1:1
	s_add_i32 s8, s11, s15
	v_mov_b32_e32 v58, s8
	v_fma_f64 v[54:55], -v[30:31], v[66:67], v[54:55]
	ds_read2_b64 v[66:69], v58 offset1:1
	s_waitcnt lgkmcnt(1)
	v_fma_f64 v[38:39], -v[24:25], v[80:81], v[38:39]
	s_add_i32 s4, s2, -10
	s_lshl_b32 s25, s4, 8
	s_lshl_b32 s26, s6, 8
	s_add_i32 s8, s7, s25
	s_add_i32 s7, s7, s26
	v_fma_f64 v[58:59], -v[34:35], v[62:63], v[72:73]
	v_mov_b32_e32 v62, s8
	s_waitcnt lgkmcnt(0)
	v_fma_f64 v[38:39], -v[26:27], v[68:69], v[38:39]
	s_add_i32 s8, s11, s19
	v_mov_b32_e32 v68, s7
	ds_read2_b64 v[80:83], v62 offset1:1
	ds_read_b64 v[68:69], v68
	v_mov_b32_e32 v62, s8
	ds_read2_b64 v[72:75], v62 offset1:1
	s_add_i32 s8, s11, s20
	v_mov_b32_e32 v62, s8
	ds_read2_b64 v[84:87], v62 offset1:1
	v_fma_f64 v[62:63], -v[18:19], v[70:71], v[36:37]
	v_fma_f64 v[54:55], -v[32:33], v[76:77], v[54:55]
	s_waitcnt lgkmcnt(1)
	v_fma_f64 v[38:39], -v[28:29], v[74:75], v[38:39]
	v_mul_f64 v[36:37], v[82:83], v[58:59]
	s_lshl_b64 s[8:9], s[4:5], 3
	s_add_i32 s4, s11, s23
	s_mov_b32 s7, s5
	v_mov_b32_e32 v74, s9
	v_fma_f64 v[62:63], -v[20:21], v[52:53], v[62:63]
	v_fma_f64 v[58:59], -v[34:35], v[60:61], v[54:55]
	s_waitcnt lgkmcnt(0)
	v_fma_f64 v[38:39], -v[30:31], v[86:87], v[38:39]
	v_mov_b32_e32 v52, s4
	ds_read2_b64 v[52:55], v52 offset1:1
	s_add_i32 s4, s11, s24
	s_lshl_b64 s[6:7], s[6:7], 3
	v_mov_b32_e32 v82, s7
	v_fma_f64 v[56:57], -v[22:23], v[56:57], v[62:63]
	v_fma_f64 v[70:71], -v[36:37], v[80:81], v[58:59]
	v_mov_b32_e32 v58, s4
	ds_read2_b64 v[58:61], v58 offset1:1
	s_waitcnt lgkmcnt(1)
	v_fma_f64 v[54:55], -v[32:33], v[54:55], v[38:39]
	v_add_co_u32_e32 v38, vcc, s8, v64
	s_add_i32 s8, s2, -15
	v_fma_f64 v[62:63], -v[24:25], v[78:79], v[56:57]
	s_lshl_b32 s9, s8, 3
	s_add_i32 s7, s9, s16
	v_addc_co_u32_e32 v39, vcc, v65, v74, vcc
	s_waitcnt lgkmcnt(0)
	v_fma_f64 v[74:75], -v[34:35], v[60:61], v[54:55]
	v_mov_b32_e32 v54, s7
	ds_read2_b64 v[54:57], v54 offset1:1
	s_add_i32 s7, s9, s17
	global_store_dwordx2 v[38:39], v[36:37], off
	v_mul_f64 v[38:39], v[68:69], v[70:71]
	v_fma_f64 v[70:71], -v[26:27], v[66:67], v[62:63]
	v_mov_b32_e32 v60, s7
	ds_read2_b64 v[60:63], v60 offset1:1
	s_waitcnt lgkmcnt(1)
	v_fma_f64 v[50:51], -v[14:15], v[56:57], v[50:51]
	s_add_i32 s4, s11, s25
	v_mov_b32_e32 v56, s4
	ds_read2_b64 v[66:69], v56 offset1:1
	s_add_i32 s4, s11, s26
	v_fma_f64 v[56:57], -v[28:29], v[72:73], v[70:71]
	v_mov_b32_e32 v70, s4
	s_add_i32 s4, s9, s18
	s_waitcnt lgkmcnt(1)
	v_fma_f64 v[50:51], -v[18:19], v[62:63], v[50:51]
	v_mov_b32_e32 v62, s4
	ds_read2_b64 v[70:73], v70 offset1:1
	s_waitcnt lgkmcnt(1)
	v_fma_f64 v[68:69], -v[36:37], v[68:69], v[74:75]
	ds_read2_b64 v[74:77], v62 offset1:1
	v_fma_f64 v[56:57], -v[30:31], v[84:85], v[56:57]
	s_add_i32 s4, s9, s21
	v_mov_b32_e32 v62, s4
	ds_read2_b64 v[78:81], v62 offset1:1
	s_waitcnt lgkmcnt(1)
	v_fma_f64 v[50:51], -v[20:21], v[76:77], v[50:51]
	v_add_co_u32_e32 v62, vcc, s6, v64
	v_addc_co_u32_e32 v63, vcc, v65, v82, vcc
	v_fma_f64 v[56:57], -v[32:33], v[52:53], v[56:57]
	global_store_dwordx2 v[62:63], v[38:39], off
	v_fma_f64 v[62:63], -v[38:39], v[72:73], v[68:69]
	s_waitcnt lgkmcnt(0)
	v_fma_f64 v[68:69], -v[22:23], v[80:81], v[50:51]
	s_add_i32 s6, s9, s3
	v_mov_b32_e32 v50, s6
	ds_read2_b64 v[50:53], v50 offset1:1
	s_add_i32 s6, s9, s15
	v_fma_f64 v[72:73], -v[34:35], v[58:59], v[56:57]
	v_mov_b32_e32 v56, s6
	ds_read2_b64 v[56:59], v56 offset1:1
	s_waitcnt lgkmcnt(1)
	v_fma_f64 v[52:53], -v[24:25], v[52:53], v[68:69]
	s_add_i32 s4, s2, -12
	s_lshl_b32 s27, s4, 8
	v_fma_f64 v[40:41], -v[14:15], v[54:55], v[40:41]
	s_add_i32 s6, s11, s27
	v_mov_b32_e32 v68, s6
	ds_read2_b64 v[80:83], v68 offset1:1
	s_add_i32 s7, s9, s19
	s_waitcnt lgkmcnt(1)
	v_fma_f64 v[68:69], -v[26:27], v[58:59], v[52:53]
	v_mov_b32_e32 v52, s7
	ds_read2_b64 v[52:55], v52 offset1:1
	v_fma_f64 v[66:67], -v[36:37], v[66:67], v[72:73]
	s_lshl_b32 s28, s10, 8
	v_fma_f64 v[72:73], -v[18:19], v[60:61], v[40:41]
	s_add_i32 s6, s11, s28
	v_mov_b32_e32 v40, s6
	ds_read_b64 v[76:77], v40
	s_waitcnt lgkmcnt(1)
	v_fma_f64 v[54:55], -v[28:29], v[54:55], v[68:69]
	s_add_i32 s7, s9, s20
	v_mov_b32_e32 v58, s7
	ds_read2_b64 v[58:61], v58 offset1:1
	v_fma_f64 v[68:69], -v[20:21], v[74:75], v[72:73]
	s_lshl_b64 s[6:7], s[4:5], 3
	s_add_i32 s4, s9, s23
	v_mul_f64 v[40:41], v[82:83], v[62:63]
	s_waitcnt lgkmcnt(0)
	v_fma_f64 v[54:55], -v[30:31], v[60:61], v[54:55]
	v_mov_b32_e32 v60, s4
	ds_read2_b64 v[60:63], v60 offset1:1
	s_add_i32 s4, s9, s24
	v_fma_f64 v[72:73], -v[22:23], v[78:79], v[68:69]
	v_fma_f64 v[70:71], -v[38:39], v[70:71], v[66:67]
	v_mov_b32_e32 v66, s4
	ds_read2_b64 v[66:69], v66 offset1:1
	s_waitcnt lgkmcnt(1)
	v_fma_f64 v[54:55], -v[32:33], v[62:63], v[54:55]
	v_mov_b32_e32 v82, s7
	v_add_co_u32_e32 v62, vcc, s6, v64
	v_fma_f64 v[50:51], -v[24:25], v[50:51], v[72:73]
	s_add_i32 s4, s9, s25
	v_addc_co_u32_e32 v63, vcc, v65, v82, vcc
	s_waitcnt lgkmcnt(0)
	v_fma_f64 v[72:73], -v[34:35], v[68:69], v[54:55]
	v_mov_b32_e32 v54, s4
	global_store_dwordx2 v[62:63], v[40:41], off
	v_fma_f64 v[62:63], -v[40:41], v[80:81], v[70:71]
	ds_read2_b64 v[68:71], v54 offset1:1
	v_fma_f64 v[50:51], -v[26:27], v[56:57], v[50:51]
	s_sub_i32 s6, s2, 17
	s_add_i32 s4, s9, s26
	s_lshl_b32 s7, s6, 3
	v_mov_b32_e32 v54, s4
	s_add_i32 s4, s7, s16
	s_waitcnt lgkmcnt(0)
	v_fma_f64 v[74:75], -v[36:37], v[70:71], v[72:73]
	v_mov_b32_e32 v70, s4
	ds_read2_b64 v[70:73], v70 offset1:1
	v_fma_f64 v[78:79], -v[28:29], v[52:53], v[50:51]
	s_add_i32 s4, s7, s17
	v_mov_b32_e32 v50, s4
	ds_read2_b64 v[54:57], v54 offset1:1
	ds_read2_b64 v[50:53], v50 offset1:1
	s_waitcnt lgkmcnt(2)
	v_fma_f64 v[72:73], -v[14:15], v[72:73], v[44:45]
	v_mul_f64 v[44:45], v[76:77], v[62:63]
	s_mov_b32 s11, s5
	v_fma_f64 v[62:63], -v[30:31], v[58:59], v[78:79]
	s_lshl_b64 s[10:11], s[10:11], 3
	v_mov_b32_e32 v84, s11
	s_add_i32 s11, s7, s18
	s_waitcnt lgkmcnt(1)
	v_fma_f64 v[80:81], -v[38:39], v[56:57], v[74:75]
	s_waitcnt lgkmcnt(0)
	v_fma_f64 v[52:53], -v[18:19], v[52:53], v[72:73]
	v_mov_b32_e32 v56, s11
	ds_read2_b64 v[56:59], v56 offset1:1
	s_add_i32 s11, s7, s21
	v_fma_f64 v[76:77], -v[32:33], v[60:61], v[62:63]
	v_mov_b32_e32 v60, s11
	ds_read2_b64 v[60:63], v60 offset1:1
	s_add_i32 s4, s9, s27
	s_waitcnt lgkmcnt(1)
	v_fma_f64 v[52:53], -v[20:21], v[58:59], v[52:53]
	v_mov_b32_e32 v58, s4
	ds_read2_b64 v[72:75], v58 offset1:1
	s_add_i32 s4, s9, s28
	v_fma_f64 v[58:59], -v[34:35], v[66:67], v[76:77]
	v_mov_b32_e32 v66, s4
	s_add_i32 s4, s7, s3
	ds_read2_b64 v[76:79], v66 offset1:1
	s_waitcnt lgkmcnt(2)
	v_fma_f64 v[52:53], -v[22:23], v[62:63], v[52:53]
	v_mov_b32_e32 v62, s4
	s_waitcnt lgkmcnt(1)
	v_fma_f64 v[74:75], -v[40:41], v[74:75], v[80:81]
	ds_read2_b64 v[80:83], v62 offset1:1
	s_add_i32 s4, s7, s15
	v_mov_b32_e32 v62, s4
	v_fma_f64 v[58:59], -v[36:37], v[68:69], v[58:59]
	ds_read2_b64 v[66:69], v62 offset1:1
	s_waitcnt lgkmcnt(1)
	v_fma_f64 v[52:53], -v[24:25], v[82:83], v[52:53]
	v_add_co_u32_e32 v62, vcc, s10, v64
	s_add_i32 s10, s7, s19
	v_fma_f64 v[48:49], -v[14:15], v[70:71], v[48:49]
	v_addc_co_u32_e32 v63, vcc, v65, v84, vcc
	v_fma_f64 v[58:59], -v[38:39], v[54:55], v[58:59]
	s_waitcnt lgkmcnt(0)
	v_fma_f64 v[68:69], -v[26:27], v[68:69], v[52:53]
	v_mov_b32_e32 v52, s10
	ds_read2_b64 v[52:55], v52 offset1:1
	s_add_i32 s10, s7, s20
	global_store_dwordx2 v[62:63], v[44:45], off
	v_fma_f64 v[62:63], -v[44:45], v[78:79], v[74:75]
	v_mov_b32_e32 v74, s10
	ds_read2_b64 v[82:85], v74 offset1:1
	s_waitcnt lgkmcnt(1)
	v_fma_f64 v[54:55], -v[28:29], v[54:55], v[68:69]
	v_fma_f64 v[48:49], -v[18:19], v[50:51], v[48:49]
	s_add_i32 s4, s2, -14
	s_lshl_b32 s29, s4, 8
	s_add_i32 s10, s9, s29
	v_mov_b32_e32 v68, s10
	s_add_i32 s10, s7, s23
	v_fma_f64 v[58:59], -v[40:41], v[72:73], v[58:59]
	s_waitcnt lgkmcnt(0)
	v_fma_f64 v[50:51], -v[30:31], v[84:85], v[54:55]
	v_mov_b32_e32 v54, s10
	ds_read2_b64 v[72:75], v54 offset1:1
	s_add_i32 s10, s7, s24
	v_mov_b32_e32 v54, s10
	ds_read2_b64 v[84:87], v54 offset1:1
	v_fma_f64 v[54:55], -v[20:21], v[56:57], v[48:49]
	ds_read2_b64 v[68:71], v68 offset1:1
	s_waitcnt lgkmcnt(2)
	v_fma_f64 v[50:51], -v[32:33], v[74:75], v[50:51]
	s_lshl_b32 s30, s8, 8
	s_add_i32 s9, s9, s30
	v_mov_b32_e32 v48, s9
	ds_read_b64 v[88:89], v48
	s_waitcnt lgkmcnt(1)
	v_mul_f64 v[48:49], v[70:71], v[62:63]
	v_fma_f64 v[70:71], -v[22:23], v[60:61], v[54:55]
	s_lshl_b64 s[10:11], s[4:5], 3
	v_fma_f64 v[50:51], -v[34:35], v[86:87], v[50:51]
	s_add_i32 s4, s7, s25
	v_mov_b32_e32 v54, s4
	ds_read2_b64 v[54:57], v54 offset1:1
	s_add_i32 s4, s7, s26
	v_fma_f64 v[62:63], -v[44:45], v[76:77], v[58:59]
	v_fma_f64 v[70:71], -v[24:25], v[80:81], v[70:71]
	v_mov_b32_e32 v58, s4
	ds_read2_b64 v[58:61], v58 offset1:1
	s_waitcnt lgkmcnt(1)
	v_fma_f64 v[50:51], -v[36:37], v[56:57], v[50:51]
	v_add_co_u32_e32 v56, vcc, s10, v64
	s_sub_i32 s10, s2, 19
	v_mov_b32_e32 v74, s11
	v_fma_f64 v[66:67], -v[26:27], v[66:67], v[70:71]
	s_lshl_b32 s11, s10, 3
	s_add_i32 s9, s11, s16
	v_addc_co_u32_e32 v57, vcc, v65, v74, vcc
	s_waitcnt lgkmcnt(0)
	v_fma_f64 v[70:71], -v[38:39], v[60:61], v[50:51]
	v_mov_b32_e32 v50, s9
	global_store_dwordx2 v[56:57], v[48:49], off
	v_fma_f64 v[56:57], -v[48:49], v[68:69], v[62:63]
	ds_read2_b64 v[60:63], v50 offset1:1
	v_fma_f64 v[74:75], -v[28:29], v[52:53], v[66:67]
	s_add_i32 s9, s11, s17
	v_mov_b32_e32 v50, s9
	ds_read2_b64 v[50:53], v50 offset1:1
	s_waitcnt lgkmcnt(1)
	v_fma_f64 v[46:47], -v[14:15], v[62:63], v[46:47]
	s_add_i32 s4, s7, s27
	v_mov_b32_e32 v62, s4
	ds_read2_b64 v[66:69], v62 offset1:1
	v_fma_f64 v[62:63], -v[30:31], v[82:83], v[74:75]
	s_add_i32 s4, s7, s28
	v_mov_b32_e32 v74, s4
	s_add_i32 s4, s11, s18
	s_waitcnt lgkmcnt(1)
	v_fma_f64 v[46:47], -v[18:19], v[52:53], v[46:47]
	v_mov_b32_e32 v52, s4
	ds_read2_b64 v[74:77], v74 offset1:1
	s_waitcnt lgkmcnt(1)
	v_fma_f64 v[82:83], -v[40:41], v[68:69], v[70:71]
	ds_read2_b64 v[68:71], v52 offset1:1
	s_add_i32 s4, s11, s21
	v_fma_f64 v[52:53], -v[32:33], v[72:73], v[62:63]
	v_mov_b32_e32 v62, s4
	ds_read2_b64 v[78:81], v62 offset1:1
	s_waitcnt lgkmcnt(1)
	v_fma_f64 v[62:63], -v[20:21], v[70:71], v[46:47]
	s_mov_b32 s9, s5
	v_mul_f64 v[46:47], v[88:89], v[56:57]
	s_lshl_b64 s[8:9], s[8:9], 3
	v_mov_b32_e32 v90, s9
	s_add_i32 s9, s11, s3
	v_fma_f64 v[52:53], -v[34:35], v[84:85], v[52:53]
	v_fma_f64 v[76:77], -v[44:45], v[76:77], v[82:83]
	s_waitcnt lgkmcnt(0)
	v_fma_f64 v[56:57], -v[22:23], v[80:81], v[62:63]
	v_mov_b32_e32 v62, s9
	ds_read2_b64 v[70:73], v62 offset1:1
	s_add_i32 s9, s11, s15
	s_add_i32 s4, s7, s29
	v_fma_f64 v[42:43], -v[14:15], v[60:61], v[42:43]
	v_fma_f64 v[62:63], -v[36:37], v[54:55], v[52:53]
	v_mov_b32_e32 v52, s9
	s_waitcnt lgkmcnt(0)
	v_fma_f64 v[72:73], -v[24:25], v[72:73], v[56:57]
	ds_read2_b64 v[52:55], v52 offset1:1
	v_mov_b32_e32 v56, s4
	ds_read2_b64 v[80:83], v56 offset1:1
	s_add_i32 s4, s7, s30
	v_mov_b32_e32 v56, s4
	s_add_i32 s4, s11, s19
	v_fma_f64 v[62:63], -v[38:39], v[58:59], v[62:63]
	s_waitcnt lgkmcnt(1)
	v_fma_f64 v[54:55], -v[26:27], v[54:55], v[72:73]
	v_mov_b32_e32 v72, s4
	s_waitcnt lgkmcnt(0)
	v_fma_f64 v[76:77], -v[48:49], v[82:83], v[76:77]
	ds_read2_b64 v[82:85], v72 offset1:1
	s_add_i32 s4, s11, s20
	ds_read2_b64 v[56:59], v56 offset1:1
	v_fma_f64 v[42:43], -v[18:19], v[50:51], v[42:43]
	v_fma_f64 v[62:63], -v[40:41], v[66:67], v[62:63]
	s_waitcnt lgkmcnt(1)
	v_fma_f64 v[54:55], -v[28:29], v[84:85], v[54:55]
	v_mov_b32_e32 v66, s4
	ds_read2_b64 v[86:89], v66 offset1:1
	v_add_co_u32_e32 v66, vcc, s8, v64
	s_add_i32 s8, s11, s23
	s_waitcnt lgkmcnt(1)
	v_fma_f64 v[84:85], -v[46:47], v[58:59], v[76:77]
	v_mov_b32_e32 v58, s8
	s_waitcnt lgkmcnt(0)
	v_fma_f64 v[54:55], -v[30:31], v[88:89], v[54:55]
	ds_read2_b64 v[58:61], v58 offset1:1
	v_addc_co_u32_e32 v67, vcc, v65, v90, vcc
	s_add_i32 s8, s11, s24
	v_fma_f64 v[42:43], -v[20:21], v[68:69], v[42:43]
	global_store_dwordx2 v[66:67], v[46:47], off
	v_fma_f64 v[66:67], -v[44:45], v[74:75], v[62:63]
	v_mov_b32_e32 v62, s8
	ds_read2_b64 v[72:75], v62 offset1:1
	s_waitcnt lgkmcnt(1)
	v_fma_f64 v[50:51], -v[32:33], v[60:61], v[54:55]
	s_add_i32 s4, s2, -16
	s_lshl_b32 s31, s4, 8
	s_lshl_b32 s33, s6, 8
	s_add_i32 s8, s7, s31
	s_add_i32 s7, s7, s33
	v_mov_b32_e32 v54, s8
	v_fma_f64 v[78:79], -v[22:23], v[78:79], v[42:43]
	v_mov_b32_e32 v42, s7
	ds_read2_b64 v[60:63], v54 offset1:1
	ds_read_b64 v[92:93], v42
	v_fma_f64 v[54:55], -v[48:49], v[80:81], v[66:67]
	s_waitcnt lgkmcnt(2)
	v_fma_f64 v[50:51], -v[34:35], v[74:75], v[50:51]
	s_add_i32 s8, s11, s25
	v_mov_b32_e32 v66, s8
	ds_read2_b64 v[66:69], v66 offset1:1
	s_waitcnt lgkmcnt(2)
	v_mul_f64 v[42:43], v[62:63], v[84:85]
	s_lshl_b64 s[12:13], s[4:5], 3
	v_fma_f64 v[62:63], -v[24:25], v[70:71], v[78:79]
	s_add_i32 s4, s11, s27
	v_fma_f64 v[84:85], -v[46:47], v[56:57], v[54:55]
	v_mov_b32_e32 v54, s4
	ds_read2_b64 v[54:57], v54 offset1:1
	s_waitcnt lgkmcnt(1)
	v_fma_f64 v[50:51], -v[36:37], v[68:69], v[50:51]
	s_add_i32 s8, s11, s26
	v_mov_b32_e32 v74, s8
	ds_read2_b64 v[74:77], v74 offset1:1
	v_fma_f64 v[52:53], -v[26:27], v[52:53], v[62:63]
	s_sub_i32 s8, s2, 21
	s_add_i32 s4, s11, s28
	s_lshl_b32 s9, s8, 3
	s_waitcnt lgkmcnt(0)
	v_fma_f64 v[50:51], -v[38:39], v[76:77], v[50:51]
	v_mov_b32_e32 v68, s4
	s_add_i32 s4, s9, s16
	ds_read2_b64 v[68:71], v68 offset1:1
	v_fma_f64 v[52:53], -v[28:29], v[82:83], v[52:53]
	v_mov_b32_e32 v88, s13
	s_add_i32 s7, s9, s18
	s_lshl_b32 s35, s10, 8
	v_fma_f64 v[50:51], -v[40:41], v[56:57], v[50:51]
	v_mov_b32_e32 v56, s4
	ds_read2_b64 v[76:79], v56 offset1:1
	s_add_i32 s4, s9, s17
	v_fma_f64 v[52:53], -v[30:31], v[86:87], v[52:53]
	v_mov_b32_e32 v56, s4
	ds_read2_b64 v[80:83], v56 offset1:1
	s_waitcnt lgkmcnt(1)
	v_fma_f64 v[8:9], -v[14:15], v[78:79], v[8:9]
	v_add_co_u32_e32 v56, vcc, s12, v64
	v_addc_co_u32_e32 v57, vcc, v65, v88, vcc
	v_fma_f64 v[52:53], -v[32:33], v[58:59], v[52:53]
	global_store_dwordx2 v[56:57], v[42:43], off
	v_mov_b32_e32 v56, s7
	s_waitcnt lgkmcnt(0)
	v_fma_f64 v[8:9], -v[18:19], v[82:83], v[8:9]
	v_fma_f64 v[78:79], -v[42:43], v[60:61], v[84:85]
	ds_read2_b64 v[60:63], v56 offset1:1
	v_fma_f64 v[50:51], -v[44:45], v[70:71], v[50:51]
	s_add_i32 s4, s11, s29
	v_fma_f64 v[52:53], -v[34:35], v[72:73], v[52:53]
	s_add_i32 s7, s9, s21
	v_mov_b32_e32 v56, s7
	s_waitcnt lgkmcnt(0)
	v_fma_f64 v[8:9], -v[20:21], v[62:63], v[8:9]
	v_mov_b32_e32 v62, s4
	ds_read2_b64 v[82:85], v62 offset1:1
	ds_read2_b64 v[56:59], v56 offset1:1
	s_add_i32 s4, s11, s30
	v_mov_b32_e32 v62, s4
	s_add_i32 s4, s9, s3
	ds_read2_b64 v[70:73], v62 offset1:1
	s_waitcnt lgkmcnt(2)
	v_fma_f64 v[62:63], -v[48:49], v[84:85], v[50:51]
	v_mov_b32_e32 v50, s4
	ds_read2_b64 v[84:87], v50 offset1:1
	s_waitcnt lgkmcnt(2)
	v_fma_f64 v[8:9], -v[22:23], v[58:59], v[8:9]
	v_fma_f64 v[52:53], -v[36:37], v[66:67], v[52:53]
	s_add_i32 s4, s9, s15
	v_mov_b32_e32 v50, s4
	ds_read2_b64 v[88:91], v50 offset1:1
	s_mov_b32 s7, s5
	s_lshl_b64 s[6:7], s[6:7], 3
	v_mul_f64 v[50:51], v[92:93], v[78:79]
	s_waitcnt lgkmcnt(1)
	v_fma_f64 v[8:9], -v[24:25], v[86:87], v[8:9]
	v_fma_f64 v[52:53], -v[38:39], v[74:75], v[52:53]
	v_mov_b32_e32 v78, s7
	s_add_i32 s7, s9, s19
	v_fma_f64 v[58:59], -v[46:47], v[72:73], v[62:63]
	v_mov_b32_e32 v62, s7
	ds_read2_b64 v[72:75], v62 offset1:1
	s_add_i32 s7, s9, s20
	s_waitcnt lgkmcnt(1)
	v_fma_f64 v[8:9], -v[26:27], v[90:91], v[8:9]
	v_fma_f64 v[62:63], -v[40:41], v[54:55], v[52:53]
	s_add_i32 s4, s11, s31
	v_mov_b32_e32 v52, s7
	ds_read2_b64 v[90:93], v52 offset1:1
	v_mov_b32_e32 v52, s4
	ds_read2_b64 v[52:55], v52 offset1:1
	s_add_i32 s4, s11, s33
	s_waitcnt lgkmcnt(2)
	v_fma_f64 v[8:9], -v[28:29], v[74:75], v[8:9]
	v_fma_f64 v[62:63], -v[44:45], v[68:69], v[62:63]
	v_mov_b32_e32 v66, s4
	s_add_i32 s4, s9, s23
	ds_read2_b64 v[66:69], v66 offset1:1
	s_waitcnt lgkmcnt(1)
	v_fma_f64 v[54:55], -v[42:43], v[54:55], v[58:59]
	v_mov_b32_e32 v58, s4
	v_fma_f64 v[6:7], -v[14:15], v[76:77], v[6:7]
	v_fma_f64 v[8:9], -v[30:31], v[92:93], v[8:9]
	ds_read2_b64 v[92:95], v58 offset1:1
	v_fma_f64 v[58:59], -v[48:49], v[82:83], v[62:63]
	s_add_i32 s4, s9, s24
	v_mov_b32_e32 v62, s4
	ds_read2_b64 v[96:99], v62 offset1:1
	v_add_co_u32_e32 v62, vcc, s6, v64
	v_addc_co_u32_e32 v63, vcc, v65, v78, vcc
	s_waitcnt lgkmcnt(1)
	v_fma_f64 v[8:9], -v[32:33], v[94:95], v[8:9]
	global_store_dwordx2 v[62:63], v[50:51], off
	v_fma_f64 v[62:63], -v[50:51], v[68:69], v[54:55]
	v_fma_f64 v[54:55], -v[46:47], v[70:71], v[58:59]
	;; [unrolled: 1-line block ×3, first 2 shown]
	s_add_i32 s6, s9, s25
	v_mov_b32_e32 v6, s6
	s_add_i32 s7, s9, s27
	s_waitcnt lgkmcnt(0)
	v_fma_f64 v[74:75], -v[34:35], v[98:99], v[8:9]
	ds_read2_b64 v[6:9], v6 offset1:1
	s_add_i32 s6, s9, s26
	v_fma_f64 v[78:79], -v[42:43], v[52:53], v[54:55]
	v_fma_f64 v[76:77], -v[20:21], v[60:61], v[58:59]
	v_mov_b32_e32 v54, s7
	v_mov_b32_e32 v68, s6
	ds_read2_b64 v[68:71], v68 offset1:1
	s_add_i32 s7, s9, s28
	s_sub_i32 s4, s2, 18
	s_lshl_b32 s34, s4, 8
	s_add_i32 s6, s11, s34
	v_fma_f64 v[52:53], -v[22:23], v[56:57], v[76:77]
	ds_read2_b64 v[54:57], v54 offset1:1
	s_waitcnt lgkmcnt(2)
	v_fma_f64 v[8:9], -v[36:37], v[8:9], v[74:75]
	v_mov_b32_e32 v58, s6
	ds_read2_b64 v[58:61], v58 offset1:1
	s_add_i32 s6, s11, s35
	s_lshl_b64 s[12:13], s[4:5], 3
	s_add_i32 s4, s9, s29
	v_mov_b32_e32 v94, s13
	s_lshl_b32 s36, s8, 8
	s_waitcnt lgkmcnt(2)
	v_fma_f64 v[8:9], -v[38:39], v[70:71], v[8:9]
	v_mov_b32_e32 v70, s7
	ds_read2_b64 v[74:77], v70 offset1:1
	v_fma_f64 v[70:71], -v[24:25], v[84:85], v[52:53]
	v_mov_b32_e32 v52, s6
	s_sub_i32 s6, s2, 23
	s_lshl_b32 s7, s6, 3
	s_add_i32 s11, s7, s16
	s_waitcnt lgkmcnt(2)
	v_fma_f64 v[8:9], -v[40:41], v[56:57], v[8:9]
	v_fma_f64 v[56:57], -v[50:51], v[66:67], v[78:79]
	ds_read_b64 v[100:101], v52
	v_fma_f64 v[66:67], -v[26:27], v[88:89], v[70:71]
	s_waitcnt lgkmcnt(2)
	v_mul_f64 v[52:53], v[60:61], v[62:63]
	v_mov_b32_e32 v60, s11
	ds_read2_b64 v[60:63], v60 offset1:1
	s_add_i32 s11, s7, s17
	v_mov_b32_e32 v70, s11
	s_waitcnt lgkmcnt(2)
	v_fma_f64 v[8:9], -v[44:45], v[76:77], v[8:9]
	s_add_i32 s11, s7, s3
	v_fma_f64 v[66:67], -v[28:29], v[72:73], v[66:67]
	ds_read2_b64 v[70:73], v70 offset1:1
	s_waitcnt lgkmcnt(1)
	v_fma_f64 v[2:3], -v[14:15], v[62:63], v[2:3]
	v_mov_b32_e32 v62, s4
	ds_read2_b64 v[76:79], v62 offset1:1
	s_add_i32 s4, s9, s30
	v_fma_f64 v[0:1], -v[14:15], v[60:61], v[0:1]
	s_lshl_b32 s38, s6, 8
	v_fma_f64 v[62:63], -v[30:31], v[90:91], v[66:67]
	v_mov_b32_e32 v66, s4
	s_waitcnt lgkmcnt(1)
	v_fma_f64 v[2:3], -v[18:19], v[72:73], v[2:3]
	s_add_i32 s4, s7, s18
	ds_read2_b64 v[80:83], v66 offset1:1
	v_mov_b32_e32 v66, s4
	ds_read2_b64 v[84:87], v66 offset1:1
	s_add_i32 s4, s7, s21
	v_fma_f64 v[62:63], -v[32:33], v[92:93], v[62:63]
	s_waitcnt lgkmcnt(2)
	v_fma_f64 v[8:9], -v[48:49], v[78:79], v[8:9]
	v_mov_b32_e32 v66, s4
	s_waitcnt lgkmcnt(0)
	v_fma_f64 v[2:3], -v[20:21], v[86:87], v[2:3]
	ds_read2_b64 v[88:91], v66 offset1:1
	v_add_co_u32_e32 v66, vcc, s12, v64
	s_add_i32 s4, s9, s31
	v_fma_f64 v[62:63], -v[34:35], v[96:97], v[62:63]
	v_fma_f64 v[78:79], -v[46:47], v[82:83], v[8:9]
	v_mov_b32_e32 v8, s11
	s_waitcnt lgkmcnt(0)
	v_fma_f64 v[2:3], -v[22:23], v[90:91], v[2:3]
	ds_read2_b64 v[90:93], v8 offset1:1
	v_addc_co_u32_e32 v67, vcc, v65, v94, vcc
	v_fma_f64 v[72:73], -v[52:53], v[58:59], v[56:57]
	v_fma_f64 v[62:63], -v[36:37], v[6:7], v[62:63]
	v_mov_b32_e32 v56, s4
	s_add_i32 s4, s9, s33
	global_store_dwordx2 v[66:67], v[52:53], off
	v_mov_b32_e32 v66, s4
	s_add_i32 s11, s7, s15
	v_mov_b32_e32 v6, s11
	ds_read2_b64 v[56:59], v56 offset1:1
	v_fma_f64 v[62:63], -v[38:39], v[68:69], v[62:63]
	ds_read2_b64 v[66:69], v66 offset1:1
	s_waitcnt lgkmcnt(2)
	v_fma_f64 v[2:3], -v[24:25], v[92:93], v[2:3]
	ds_read2_b64 v[6:9], v6 offset1:1
	s_add_i32 s4, s7, s19
	s_mov_b32 s11, s5
	s_lshl_b64 s[10:11], s[10:11], 3
	s_waitcnt lgkmcnt(2)
	v_fma_f64 v[58:59], -v[42:43], v[58:59], v[78:79]
	v_fma_f64 v[0:1], -v[18:19], v[70:71], v[0:1]
	s_waitcnt lgkmcnt(0)
	v_fma_f64 v[2:3], -v[26:27], v[8:9], v[2:3]
	v_mov_b32_e32 v8, s4
	ds_read2_b64 v[92:95], v8 offset1:1
	v_fma_f64 v[8:9], -v[40:41], v[54:55], v[62:63]
	s_add_i32 s4, s7, s20
	v_mov_b32_e32 v54, s4
	ds_read2_b64 v[96:99], v54 offset1:1
	v_mov_b32_e32 v62, s11
	s_waitcnt lgkmcnt(1)
	v_fma_f64 v[2:3], -v[28:29], v[94:95], v[2:3]
	s_add_i32 s11, s7, s23
	v_mov_b32_e32 v63, s11
	v_fma_f64 v[8:9], -v[44:45], v[74:75], v[8:9]
	v_mul_f64 v[54:55], v[100:101], v[72:73]
	ds_read2_b64 v[72:75], v63 offset1:1
	s_add_i32 s11, s7, s24
	v_mov_b32_e32 v63, s11
	s_waitcnt lgkmcnt(1)
	v_fma_f64 v[2:3], -v[30:31], v[98:99], v[2:3]
	v_fma_f64 v[58:59], -v[50:51], v[68:69], v[58:59]
	s_add_i32 s4, s9, s34
	v_fma_f64 v[8:9], -v[48:49], v[76:77], v[8:9]
	ds_read2_b64 v[76:79], v63 offset1:1
	v_mov_b32_e32 v63, s4
	ds_read2_b64 v[98:101], v63 offset1:1
	s_add_i32 s4, s9, s35
	s_waitcnt lgkmcnt(2)
	v_fma_f64 v[2:3], -v[32:33], v[74:75], v[2:3]
	v_mov_b32_e32 v63, s4
	s_add_i32 s4, s7, s25
	v_fma_f64 v[8:9], -v[46:47], v[80:81], v[8:9]
	ds_read2_b64 v[80:83], v63 offset1:1
	v_mov_b32_e32 v63, s4
	s_waitcnt lgkmcnt(1)
	v_fma_f64 v[58:59], -v[52:53], v[100:101], v[58:59]
	ds_read2_b64 v[100:103], v63 offset1:1
	v_fma_f64 v[2:3], -v[34:35], v[78:79], v[2:3]
	s_add_i32 s4, s7, s26
	v_fma_f64 v[0:1], -v[20:21], v[84:85], v[0:1]
	v_fma_f64 v[8:9], -v[42:43], v[56:57], v[8:9]
	v_mov_b32_e32 v56, s4
	ds_read2_b64 v[104:107], v56 offset1:1
	v_add_co_u32_e32 v56, vcc, s10, v64
	s_waitcnt lgkmcnt(1)
	v_fma_f64 v[2:3], -v[36:37], v[102:103], v[2:3]
	v_addc_co_u32_e32 v57, vcc, v65, v62, vcc
	s_add_i32 s10, s7, s27
	global_store_dwordx2 v[56:57], v[54:55], off
	v_fma_f64 v[56:57], -v[54:55], v[82:83], v[58:59]
	v_mov_b32_e32 v58, s10
	v_fma_f64 v[8:9], -v[50:51], v[66:67], v[8:9]
	s_waitcnt lgkmcnt(0)
	v_fma_f64 v[2:3], -v[38:39], v[106:107], v[2:3]
	ds_read2_b64 v[66:69], v58 offset1:1
	s_add_i32 s10, s7, s28
	v_mov_b32_e32 v58, s10
	ds_read2_b64 v[60:63], v58 offset1:1
	s_sub_i32 s4, s2, 20
	s_lshl_b32 s11, s4, 8
	s_add_i32 s10, s9, s11
	s_waitcnt lgkmcnt(1)
	v_fma_f64 v[2:3], -v[40:41], v[68:69], v[2:3]
	v_fma_f64 v[0:1], -v[22:23], v[88:89], v[0:1]
	v_mov_b32_e32 v58, s10
	s_add_i32 s10, s7, s29
	ds_read2_b64 v[106:109], v58 offset1:1
	v_mov_b32_e32 v58, s10
	ds_read2_b64 v[68:71], v58 offset1:1
	v_fma_f64 v[8:9], -v[52:53], v[98:99], v[8:9]
	s_waitcnt lgkmcnt(2)
	v_fma_f64 v[2:3], -v[44:45], v[62:63], v[2:3]
	s_add_i32 s10, s7, s30
	v_mov_b32_e32 v58, s10
	ds_read2_b64 v[82:85], v58 offset1:1
	s_add_i32 s9, s9, s36
	s_lshl_b64 s[12:13], s[4:5], 3
	s_add_i32 s4, s7, s31
	s_sub_i32 s10, s2, 25
	s_waitcnt lgkmcnt(1)
	v_fma_f64 v[2:3], -v[48:49], v[70:71], v[2:3]
	v_fma_f64 v[70:71], -v[24:25], v[90:91], v[0:1]
	v_mov_b32_e32 v58, s9
	s_lshl_b32 s37, s10, 3
	ds_read_b64 v[58:59], v58
	v_fma_f64 v[8:9], -v[54:55], v[80:81], v[8:9]
	v_mul_f64 v[56:57], v[108:109], v[56:57]
	v_mov_b32_e32 v74, s13
	s_waitcnt lgkmcnt(1)
	v_fma_f64 v[62:63], -v[46:47], v[84:85], v[2:3]
	v_mov_b32_e32 v2, s4
	s_add_i32 s4, s7, s33
	v_fma_f64 v[6:7], -v[26:27], v[6:7], v[70:71]
	ds_read2_b64 v[78:81], v2 offset1:1
	v_mov_b32_e32 v2, s4
	s_add_i32 s4, s37, s16
	v_mov_b32_e32 v75, s4
	ds_read2_b64 v[84:87], v75 offset1:1
	s_add_i32 s4, s37, s17
	v_mov_b32_e32 v70, s4
	s_waitcnt lgkmcnt(1)
	v_fma_f64 v[62:63], -v[42:43], v[80:81], v[62:63]
	ds_read2_b64 v[88:91], v70 offset1:1
	s_waitcnt lgkmcnt(1)
	v_fma_f64 v[4:5], -v[14:15], v[86:87], v[4:5]
	v_fma_f64 v[6:7], -v[28:29], v[92:93], v[6:7]
	ds_read2_b64 v[0:3], v2 offset1:1
	v_add_co_u32_e32 v70, vcc, s12, v64
	v_addc_co_u32_e32 v71, vcc, v65, v74, vcc
	s_add_i32 s4, s7, s34
	global_store_dwordx2 v[70:71], v[56:57], off
	v_fma_f64 v[70:71], -v[56:57], v[106:107], v[8:9]
	v_mov_b32_e32 v8, s4
	v_fma_f64 v[74:75], -v[30:31], v[96:97], v[6:7]
	ds_read2_b64 v[6:9], v8 offset1:1
	s_waitcnt lgkmcnt(1)
	v_fma_f64 v[62:63], -v[50:51], v[2:3], v[62:63]
	v_fma_f64 v[2:3], -v[18:19], v[90:91], v[4:5]
	s_add_i32 s4, s37, s18
	v_mov_b32_e32 v4, s4
	ds_read2_b64 v[90:93], v4 offset1:1
	s_add_i32 s4, s37, s21
	v_mov_b32_e32 v4, s4
	ds_read2_b64 v[94:97], v4 offset1:1
	s_add_i32 s4, s7, s35
	s_waitcnt lgkmcnt(1)
	v_fma_f64 v[80:81], -v[20:21], v[92:93], v[2:3]
	v_fma_f64 v[8:9], -v[52:53], v[8:9], v[62:63]
	;; [unrolled: 1-line block ×3, first 2 shown]
	v_mov_b32_e32 v2, s4
	s_add_i32 s4, s37, s3
	v_mul_f64 v[58:59], v[58:59], v[70:71]
	v_mov_b32_e32 v70, s4
	ds_read2_b64 v[2:5], v2 offset1:1
	ds_read2_b64 v[70:73], v70 offset1:1
	s_waitcnt lgkmcnt(2)
	v_fma_f64 v[74:75], -v[22:23], v[96:97], v[80:81]
	v_fma_f64 v[16:17], -v[14:15], v[84:85], v[16:17]
	s_add_i32 s4, s37, s15
	v_mov_b32_e32 v80, s4
	ds_read2_b64 v[84:87], v80 offset1:1
	s_waitcnt lgkmcnt(2)
	v_fma_f64 v[4:5], -v[54:55], v[4:5], v[8:9]
	v_fma_f64 v[8:9], -v[34:35], v[76:77], v[62:63]
	s_add_i32 s4, s7, s11
	s_waitcnt lgkmcnt(1)
	v_fma_f64 v[72:73], -v[24:25], v[72:73], v[74:75]
	v_fma_f64 v[16:17], -v[18:19], v[88:89], v[16:17]
	v_mov_b32_e32 v76, s4
	s_add_i32 s4, s37, s19
	s_mov_b32 s9, s5
	s_lshl_b64 s[8:9], s[8:9], 3
	v_fma_f64 v[8:9], -v[36:37], v[100:101], v[8:9]
	v_mov_b32_e32 v80, s9
	s_waitcnt lgkmcnt(0)
	v_fma_f64 v[62:63], -v[26:27], v[86:87], v[72:73]
	v_mov_b32_e32 v72, s4
	ds_read2_b64 v[72:75], v72 offset1:1
	v_fma_f64 v[16:17], -v[20:21], v[90:91], v[16:17]
	s_add_i32 s4, s37, s20
	v_mov_b32_e32 v77, s4
	ds_read2_b64 v[86:89], v77 offset1:1
	v_fma_f64 v[8:9], -v[38:39], v[104:105], v[8:9]
	s_waitcnt lgkmcnt(1)
	v_fma_f64 v[62:63], -v[28:29], v[74:75], v[62:63]
	ds_read2_b64 v[74:77], v76 offset1:1
	s_add_i32 s4, s7, s36
	v_fma_f64 v[16:17], -v[22:23], v[94:95], v[16:17]
	v_mov_b32_e32 v81, s4
	s_add_i32 s4, s37, s23
	s_waitcnt lgkmcnt(0)
	v_fma_f64 v[4:5], -v[56:57], v[76:77], v[4:5]
	v_mov_b32_e32 v76, s4
	v_fma_f64 v[62:63], -v[30:31], v[88:89], v[62:63]
	ds_read2_b64 v[94:97], v76 offset1:1
	s_add_i32 s4, s37, s24
	v_fma_f64 v[16:17], -v[24:25], v[70:71], v[16:17]
	v_fma_f64 v[8:9], -v[40:41], v[66:67], v[8:9]
	v_mov_b32_e32 v66, s4
	ds_read2_b64 v[98:101], v66 offset1:1
	v_add_co_u32_e32 v66, vcc, s8, v64
	s_waitcnt lgkmcnt(1)
	v_fma_f64 v[62:63], -v[32:33], v[96:97], v[62:63]
	v_addc_co_u32_e32 v67, vcc, v65, v80, vcc
	v_fma_f64 v[16:17], -v[26:27], v[84:85], v[16:17]
	global_store_dwordx2 v[66:67], v[58:59], off
	s_add_i32 s8, s37, s25
	v_fma_f64 v[8:9], -v[44:45], v[60:61], v[8:9]
	v_mov_b32_e32 v60, s8
	s_waitcnt lgkmcnt(0)
	v_fma_f64 v[66:67], -v[34:35], v[100:101], v[62:63]
	ds_read2_b64 v[60:63], v60 offset1:1
	s_add_i32 s8, s37, s26
	v_fma_f64 v[16:17], -v[28:29], v[72:73], v[16:17]
	v_mov_b32_e32 v70, s8
	ds_read2_b64 v[70:73], v70 offset1:1
	ds_read2_b64 v[90:93], v81 offset1:1
	s_sub_i32 s4, s2, 22
	s_waitcnt lgkmcnt(2)
	v_fma_f64 v[62:63], -v[36:37], v[62:63], v[66:67]
	s_lshl_b32 s9, s4, 8
	s_add_i32 s8, s7, s9
	v_fma_f64 v[16:17], -v[30:31], v[86:87], v[16:17]
	v_mov_b32_e32 v66, s8
	s_add_i32 s8, s37, s27
	ds_read2_b64 v[100:103], v66 offset1:1
	v_mov_b32_e32 v66, s8
	s_waitcnt lgkmcnt(2)
	v_fma_f64 v[62:63], -v[38:39], v[72:73], v[62:63]
	s_waitcnt lgkmcnt(1)
	v_fma_f64 v[4:5], -v[58:59], v[92:93], v[4:5]
	v_fma_f64 v[8:9], -v[48:49], v[68:69], v[8:9]
	ds_read2_b64 v[66:69], v66 offset1:1
	v_fma_f64 v[16:17], -v[32:33], v[94:95], v[16:17]
	s_add_i32 s8, s37, s28
	v_mov_b32_e32 v72, s8
	ds_read2_b64 v[84:87], v72 offset1:1
	s_waitcnt lgkmcnt(1)
	v_fma_f64 v[62:63], -v[40:41], v[68:69], v[62:63]
	v_mul_f64 v[102:103], v[102:103], v[4:5]
	s_add_i32 s7, s7, s38
	s_lshl_b64 s[12:13], s[4:5], 3
	v_fma_f64 v[4:5], -v[34:35], v[98:99], v[16:17]
	s_add_i32 s4, s37, s29
	s_sub_i32 s8, s2, 27
	v_mov_b32_e32 v68, s7
	s_waitcnt lgkmcnt(0)
	v_fma_f64 v[16:17], -v[44:45], v[86:87], v[62:63]
	v_mov_b32_e32 v62, s4
	s_add_i32 s4, s37, s30
	s_lshl_b32 s39, s8, 3
	ds_read_b64 v[96:97], v68
	v_fma_f64 v[8:9], -v[46:47], v[82:83], v[8:9]
	ds_read2_b64 v[80:83], v62 offset1:1
	v_mov_b32_e32 v62, s4
	s_add_i32 s4, s39, s16
	v_fma_f64 v[4:5], -v[36:37], v[60:61], v[4:5]
	v_mov_b32_e32 v68, s4
	ds_read2_b64 v[60:63], v62 offset1:1
	ds_read2_b64 v[86:89], v68 offset1:1
	s_waitcnt lgkmcnt(2)
	v_fma_f64 v[16:17], -v[48:49], v[82:83], v[16:17]
	s_add_i32 s4, s39, s17
	v_mov_b32_e32 v68, s4
	s_add_i32 s4, s37, s31
	s_waitcnt lgkmcnt(0)
	v_fma_f64 v[12:13], -v[14:15], v[88:89], v[12:13]
	v_fma_f64 v[4:5], -v[38:39], v[70:71], v[4:5]
	ds_read2_b64 v[68:71], v68 offset1:1
	v_fma_f64 v[8:9], -v[42:43], v[78:79], v[8:9]
	v_fma_f64 v[16:17], -v[46:47], v[62:63], v[16:17]
	v_mov_b32_e32 v62, s4
	ds_read2_b64 v[76:79], v62 offset1:1
	s_add_i32 s4, s39, s18
	s_waitcnt lgkmcnt(1)
	v_fma_f64 v[12:13], -v[18:19], v[70:71], v[12:13]
	v_fma_f64 v[4:5], -v[40:41], v[66:67], v[4:5]
	v_mov_b32_e32 v62, s4
	v_fma_f64 v[14:15], -v[14:15], v[86:87], v[10:11]
	ds_read2_b64 v[70:73], v62 offset1:1
	s_add_i32 s4, s39, s21
	v_mov_b32_e32 v62, s4
	ds_read2_b64 v[92:95], v62 offset1:1
	s_add_i32 s4, s37, s33
	s_waitcnt lgkmcnt(1)
	v_fma_f64 v[12:13], -v[20:21], v[72:73], v[12:13]
	v_fma_f64 v[66:67], -v[44:45], v[84:85], v[4:5]
	v_fma_f64 v[4:5], -v[18:19], v[68:69], v[14:15]
	s_add_i32 s3, s39, s3
	v_fma_f64 v[0:1], -v[50:51], v[0:1], v[8:9]
	v_mov_b32_e32 v8, s4
	ds_read2_b64 v[8:11], v8 offset1:1
	v_fma_f64 v[62:63], -v[42:43], v[78:79], v[16:17]
	s_waitcnt lgkmcnt(1)
	v_fma_f64 v[68:69], -v[22:23], v[94:95], v[12:13]
	v_mov_b32_e32 v12, s3
	v_fma_f64 v[20:21], -v[20:21], v[70:71], v[4:5]
	ds_read2_b64 v[12:15], v12 offset1:1
	s_add_i32 s3, s39, s15
	v_mov_b32_e32 v16, s3
	ds_read2_b64 v[16:19], v16 offset1:1
	s_add_i32 s3, s37, s34
	s_waitcnt lgkmcnt(1)
	v_fma_f64 v[14:15], -v[24:25], v[14:15], v[68:69]
	v_mov_b32_e32 v4, s3
	v_fma_f64 v[22:23], -v[22:23], v[92:93], v[20:21]
	s_add_i32 s3, s39, s19
	v_fma_f64 v[0:1], -v[52:53], v[6:7], v[0:1]
	v_fma_f64 v[10:11], -v[50:51], v[10:11], v[62:63]
	;; [unrolled: 1-line block ×3, first 2 shown]
	ds_read2_b64 v[4:7], v4 offset1:1
	s_waitcnt lgkmcnt(1)
	v_fma_f64 v[14:15], -v[26:27], v[18:19], v[14:15]
	v_mov_b32_e32 v18, s3
	v_fma_f64 v[12:13], -v[24:25], v[12:13], v[22:23]
	ds_read2_b64 v[18:21], v18 offset1:1
	s_add_i32 s3, s39, s20
	v_mov_b32_e32 v66, s3
	ds_read2_b64 v[66:69], v66 offset1:1
	s_add_i32 s3, s37, s35
	s_waitcnt lgkmcnt(1)
	v_fma_f64 v[14:15], -v[28:29], v[20:21], v[14:15]
	v_fma_f64 v[20:21], -v[54:55], v[2:3], v[0:1]
	;; [unrolled: 1-line block ×3, first 2 shown]
	v_mov_b32_e32 v0, s3
	ds_read2_b64 v[0:3], v0 offset1:1
	v_fma_f64 v[6:7], -v[52:53], v[6:7], v[10:11]
	s_add_i32 s3, s39, s23
	v_mov_b32_e32 v10, s3
	s_waitcnt lgkmcnt(1)
	v_fma_f64 v[26:27], -v[30:31], v[68:69], v[14:15]
	ds_read2_b64 v[10:13], v10 offset1:1
	v_fma_f64 v[24:25], -v[28:29], v[18:19], v[24:25]
	s_add_i32 s3, s39, s24
	v_mov_b32_e32 v14, s3
	s_add_i32 s3, s37, s11
	s_waitcnt lgkmcnt(1)
	v_fma_f64 v[2:3], -v[54:55], v[2:3], v[6:7]
	v_mov_b32_e32 v6, s3
	v_fma_f64 v[22:23], -v[46:47], v[60:61], v[62:63]
	v_fma_f64 v[60:61], -v[56:57], v[74:75], v[20:21]
	ds_read2_b64 v[18:21], v6 offset1:1
	s_waitcnt lgkmcnt(1)
	v_fma_f64 v[12:13], -v[32:33], v[12:13], v[26:27]
	v_fma_f64 v[30:31], -v[30:31], v[66:67], v[24:25]
	ds_read2_b64 v[14:17], v14 offset1:1
	s_add_i32 s3, s39, s25
	s_waitcnt lgkmcnt(1)
	v_fma_f64 v[2:3], -v[56:57], v[20:21], v[2:3]
	v_fma_f64 v[6:7], -v[42:43], v[76:77], v[22:23]
	v_mov_b32_e32 v82, s13
	s_add_i32 s13, s39, s36
	s_waitcnt lgkmcnt(0)
	v_fma_f64 v[12:13], -v[34:35], v[16:17], v[12:13]
	v_mov_b32_e32 v16, s3
	s_add_i32 s3, s39, s26
	ds_read2_b64 v[22:25], v16 offset1:1
	v_mov_b32_e32 v16, s3
	ds_read2_b64 v[26:29], v16 offset1:1
	v_fma_f64 v[16:17], -v[32:33], v[10:11], v[30:31]
	s_add_i32 s3, s37, s36
	s_waitcnt lgkmcnt(1)
	v_fma_f64 v[24:25], -v[36:37], v[24:25], v[12:13]
	v_mov_b32_e32 v10, s3
	s_add_i32 s3, s39, s27
	ds_read2_b64 v[10:13], v10 offset1:1
	v_fma_f64 v[32:33], -v[50:51], v[8:9], v[6:7]
	v_mov_b32_e32 v6, s3
	v_fma_f64 v[20:21], -v[34:35], v[14:15], v[16:17]
	ds_read2_b64 v[6:9], v6 offset1:1
	s_waitcnt lgkmcnt(2)
	v_fma_f64 v[24:25], -v[38:39], v[28:29], v[24:25]
	s_add_i32 s3, s39, s28
	v_mov_b32_e32 v14, s3
	s_add_i32 s3, s37, s9
	s_waitcnt lgkmcnt(1)
	v_fma_f64 v[12:13], -v[58:59], v[12:13], v[2:3]
	v_mov_b32_e32 v2, s3
	v_fma_f64 v[28:29], -v[36:37], v[22:23], v[20:21]
	ds_read2_b64 v[20:23], v2 offset1:1
	s_waitcnt lgkmcnt(1)
	v_fma_f64 v[8:9], -v[40:41], v[8:9], v[24:25]
	ds_read2_b64 v[14:17], v14 offset1:1
	s_add_i32 s3, s39, s29
	v_mov_b32_e32 v2, s3
	v_fma_f64 v[32:33], -v[52:53], v[4:5], v[32:33]
	ds_read2_b64 v[2:5], v2 offset1:1
	v_fma_f64 v[28:29], -v[38:39], v[26:27], v[28:29]
	s_add_i32 s3, s39, s30
	s_waitcnt lgkmcnt(1)
	v_fma_f64 v[8:9], -v[44:45], v[16:17], v[8:9]
	v_mov_b32_e32 v16, s3
	ds_read2_b64 v[24:27], v16 offset1:1
	v_fma_f64 v[30:31], -v[58:59], v[90:91], v[60:61]
	s_add_i32 s3, s37, s38
	v_fma_f64 v[22:23], -v[102:103], v[22:23], v[12:13]
	v_fma_f64 v[16:17], -v[40:41], v[6:7], v[28:29]
	;; [unrolled: 1-line block ×3, first 2 shown]
	s_waitcnt lgkmcnt(1)
	v_fma_f64 v[8:9], -v[48:49], v[4:5], v[8:9]
	v_mov_b32_e32 v4, s3
	s_add_i32 s3, s39, s31
	v_fma_f64 v[30:31], -v[102:103], v[100:101], v[30:31]
	v_mov_b32_e32 v12, s3
	s_add_i32 s3, s39, s33
	v_fma_f64 v[16:17], -v[44:45], v[14:15], v[16:17]
	ds_read2_b64 v[12:15], v12 offset1:1
	s_waitcnt lgkmcnt(1)
	v_fma_f64 v[8:9], -v[46:47], v[26:27], v[8:9]
	v_mov_b32_e32 v26, s3
	ds_read2_b64 v[26:29], v26 offset1:1
	v_mul_f64 v[30:31], v[96:97], v[30:31]
	ds_read2_b64 v[4:7], v4 offset1:1
	s_add_i32 s3, s39, s34
	v_fma_f64 v[2:3], -v[48:49], v[2:3], v[16:17]
	v_fma_f64 v[16:17], -v[56:57], v[18:19], v[0:1]
	s_waitcnt lgkmcnt(2)
	v_fma_f64 v[8:9], -v[42:43], v[14:15], v[8:9]
	v_add_co_u32_e32 v14, vcc, s12, v64
	v_addc_co_u32_e32 v15, vcc, v65, v82, vcc
	global_store_dwordx2 v[14:15], v[102:103], off
	v_fma_f64 v[14:15], -v[46:47], v[24:25], v[2:3]
	v_mov_b32_e32 v0, s3
	ds_read2_b64 v[0:3], v0 offset1:1
	s_waitcnt lgkmcnt(1)
	v_fma_f64 v[18:19], -v[30:31], v[6:7], v[22:23]
	v_fma_f64 v[22:23], -v[50:51], v[28:29], v[8:9]
	s_add_i32 s3, s39, s35
	v_mov_b32_e32 v6, s3
	ds_read2_b64 v[6:9], v6 offset1:1
	v_fma_f64 v[12:13], -v[42:43], v[12:13], v[14:15]
	v_fma_f64 v[14:15], -v[58:59], v[10:11], v[16:17]
	s_sub_i32 s4, s2, 24
	s_lshl_b32 s3, s4, 8
	s_waitcnt lgkmcnt(1)
	v_fma_f64 v[2:3], -v[52:53], v[2:3], v[22:23]
	s_add_i32 s12, s37, s3
	s_add_i32 s11, s39, s11
	v_mov_b32_e32 v10, s12
	v_fma_f64 v[16:17], -v[50:51], v[26:27], v[12:13]
	v_fma_f64 v[20:21], -v[102:103], v[20:21], v[14:15]
	v_mov_b32_e32 v14, s13
	ds_read2_b64 v[10:13], v10 offset1:1
	s_mov_b32 s7, s5
	s_lshl_b64 s[6:7], s[6:7], 3
	s_mul_i32 s12, s2, 0x108
	s_add_i32 s3, s39, s3
	v_fma_f64 v[22:23], -v[52:53], v[0:1], v[16:17]
	ds_read2_b64 v[14:17], v14 offset1:1
	s_waitcnt lgkmcnt(2)
	v_fma_f64 v[8:9], -v[54:55], v[8:9], v[2:3]
	v_mov_b32_e32 v2, s11
	ds_read2_b64 v[0:3], v2 offset1:1
	s_waitcnt lgkmcnt(2)
	v_mul_f64 v[12:13], v[12:13], v[18:19]
	v_fma_f64 v[4:5], -v[30:31], v[4:5], v[20:21]
	v_mov_b32_e32 v20, s7
	v_fma_f64 v[6:7], -v[54:55], v[6:7], v[22:23]
	s_add_i32 s7, s39, s9
	s_waitcnt lgkmcnt(0)
	v_fma_f64 v[2:3], -v[56:57], v[2:3], v[8:9]
	s_add_i32 s11, s12, 0xffffe638
	v_mov_b32_e32 v8, s11
	ds_read_b64 v[8:9], v8
	v_fma_f64 v[10:11], -v[12:13], v[10:11], v[4:5]
	s_mov_b32 s11, s5
	v_fma_f64 v[18:19], -v[56:57], v[0:1], v[6:7]
	v_mov_b32_e32 v0, s7
	v_fma_f64 v[16:17], -v[58:59], v[16:17], v[2:3]
	ds_read2_b64 v[0:3], v0 offset1:1
	s_add_i32 s7, s39, s38
	v_mov_b32_e32 v4, s7
	ds_read2_b64 v[4:7], v4 offset1:1
	s_waitcnt lgkmcnt(2)
	v_mul_f64 v[10:11], v[8:9], v[10:11]
	v_fma_f64 v[14:15], -v[58:59], v[14:15], v[18:19]
	s_mov_b32 s9, s5
	s_waitcnt lgkmcnt(1)
	v_fma_f64 v[2:3], -v[102:103], v[2:3], v[16:17]
	v_add_co_u32_e32 v16, vcc, s6, v64
	v_addc_co_u32_e32 v17, vcc, v65, v20, vcc
	global_store_dwordx2 v[16:17], v[30:31], off
	v_fma_f64 v[14:15], -v[102:103], v[0:1], v[14:15]
	v_mov_b32_e32 v0, s3
	s_waitcnt lgkmcnt(0)
	v_fma_f64 v[16:17], -v[30:31], v[6:7], v[2:3]
	ds_read2_b64 v[0:3], v0 offset1:1
	s_lshl_b32 s3, s10, 8
	s_add_i32 s3, s39, s3
	v_mov_b32_e32 v6, s3
	ds_read2_b64 v[6:9], v6 offset1:1
	v_fma_f64 v[4:5], -v[30:31], v[4:5], v[14:15]
	s_lshl_b64 s[6:7], s[4:5], 3
	s_waitcnt lgkmcnt(1)
	v_fma_f64 v[2:3], -v[12:13], v[2:3], v[16:17]
	s_sub_i32 s4, s2, 26
	s_lshl_b32 s3, s4, 8
	s_add_i32 s3, s39, s3
	v_mov_b32_e32 v18, s7
	v_add_co_u32_e32 v14, vcc, s6, v64
	v_fma_f64 v[4:5], -v[12:13], v[0:1], v[4:5]
	s_waitcnt lgkmcnt(0)
	v_fma_f64 v[8:9], -v[10:11], v[8:9], v[2:3]
	v_mov_b32_e32 v0, s3
	ds_read2_b64 v[0:3], v0 offset1:1
	v_addc_co_u32_e32 v15, vcc, v65, v18, vcc
	s_add_i32 s3, s12, 0xffffe428
	global_store_dwordx2 v[14:15], v[12:13], off
	v_mov_b32_e32 v12, s3
	ds_read_b64 v[12:13], v12
	s_waitcnt lgkmcnt(1)
	v_mul_f64 v[2:3], v[2:3], v[8:9]
	v_fma_f64 v[4:5], -v[10:11], v[6:7], v[4:5]
	s_lshl_b64 s[6:7], s[10:11], 3
	v_mov_b32_e32 v7, s7
	v_add_co_u32_e32 v6, vcc, s6, v64
	v_addc_co_u32_e32 v7, vcc, v65, v7, vcc
	s_lshl_b64 s[6:7], s[4:5], 3
	v_fma_f64 v[0:1], -v[2:3], v[0:1], v[4:5]
	v_mov_b32_e32 v5, s7
	v_add_co_u32_e32 v4, vcc, s6, v64
	v_addc_co_u32_e32 v5, vcc, v65, v5, vcc
	s_lshl_b64 s[4:5], s[8:9], 3
	global_store_dwordx2 v[4:5], v[2:3], off
	s_waitcnt lgkmcnt(0)
	v_mul_f64 v[0:1], v[12:13], v[0:1]
	v_mov_b32_e32 v3, s5
	v_add_co_u32_e32 v2, vcc, s4, v64
	v_addc_co_u32_e32 v3, vcc, v65, v3, vcc
	s_sub_i32 s2, s2, 28
	global_store_dwordx2 v[6:7], v[10:11], off
	global_store_dwordx2 v[2:3], v[0:1], off
.LBB103_34:
	s_cmp_lt_i32 s2, 0
	s_cbranch_scc1 .LBB103_51
; %bb.35:
	s_and_b32 s3, s2, 3
	s_cmp_eq_u32 s3, 3
	s_mov_b32 s4, s2
	s_cbranch_scc1 .LBB103_40
; %bb.36:
	s_lshl_b32 s4, s22, 8
	s_lshl_b32 s5, s2, 3
	s_add_i32 s3, s2, 1
	s_add_i32 s4, s4, s5
	s_and_b32 s3, s3, 3
	s_add_i32 s8, s4, 0xffffff00
	s_mov_b32 s7, 0
	s_mov_b32 s4, s2
	;; [unrolled: 1-line block ×3, first 2 shown]
	s_branch .LBB103_38
.LBB103_37:                             ;   in Loop: Header=BB103_38 Depth=1
	s_mul_i32 s5, s4, 0x108
	v_mov_b32_e32 v4, s5
	ds_read_b64 v[4:5], v4
	s_add_i32 s4, s4, -1
	s_add_i32 s9, s9, 1
	s_add_i32 s8, s8, -8
	s_cmp_lg_u32 s9, s3
	s_waitcnt lgkmcnt(0)
	v_mul_f64 v[2:3], v[4:5], v[2:3]
	global_store_dwordx2 v[0:1], v[2:3], off
	s_cbranch_scc0 .LBB103_40
.LBB103_38:                             ; =>This Loop Header: Depth=1
                                        ;     Child Loop BB103_39 Depth 2
	s_mov_b32 s5, s7
	s_lshl_b64 s[10:11], s[4:5], 3
	v_mov_b32_e32 v1, s11
	v_add_co_u32_e32 v0, vcc, s10, v64
	v_addc_co_u32_e32 v1, vcc, v65, v1, vcc
	global_load_dwordx2 v[2:3], v[0:1], off
	s_cmp_le_i32 s14, s4
	s_mov_b32 s5, s8
	s_mov_b32 s6, s14
	s_waitcnt vmcnt(0)
	v_mul_f64 v[2:3], s[0:1], v[2:3]
	s_cbranch_scc1 .LBB103_37
.LBB103_39:                             ;   Parent Loop BB103_38 Depth=1
                                        ; =>  This Inner Loop Header: Depth=2
	s_lshl_b64 s[10:11], s[6:7], 3
	v_mov_b32_e32 v5, s11
	v_add_co_u32_e32 v4, vcc, s10, v64
	v_addc_co_u32_e32 v5, vcc, v65, v5, vcc
	global_load_dwordx2 v[4:5], v[4:5], off
	v_mov_b32_e32 v6, s5
	ds_read_b64 v[6:7], v6
	s_add_i32 s6, s6, -1
	s_addk_i32 s5, 0xff00
	s_cmp_gt_i32 s6, s4
	s_waitcnt vmcnt(0) lgkmcnt(0)
	v_fma_f64 v[2:3], -v[4:5], v[6:7], v[2:3]
	s_cbranch_scc1 .LBB103_39
	s_branch .LBB103_37
.LBB103_40:
	s_cmp_lt_u32 s2, 3
	s_cbranch_scc1 .LBB103_51
; %bb.41:
	s_lshl_b32 s2, s22, 8
	s_lshl_b32 s3, s4, 3
	s_add_i32 s2, s2, s3
	s_add_i32 s8, s2, 0xffffff00
	;; [unrolled: 1-line block ×5, first 2 shown]
	s_mov_b32 s3, 0
	s_branch .LBB103_43
.LBB103_42:                             ;   in Loop: Header=BB103_43 Depth=1
	s_add_i32 s2, s5, 0xfffffef8
	v_mov_b32_e32 v2, s2
	ds_read_b64 v[2:3], v2
	s_add_i32 s2, s4, -4
	s_sub_i32 s8, s8, 32
	s_sub_i32 s9, s9, 32
	;; [unrolled: 1-line block ×3, first 2 shown]
	s_waitcnt lgkmcnt(0)
	v_mul_f64 v[2:3], v[2:3], v[4:5]
	s_sub_i32 s11, s11, 32
	s_cmp_lt_i32 s4, 4
	s_mov_b32 s4, s2
	global_store_dwordx2 v[0:1], v[2:3], off
	s_cbranch_scc1 .LBB103_51
.LBB103_43:                             ; =>This Loop Header: Depth=1
                                        ;     Child Loop BB103_44 Depth 2
                                        ;     Child Loop BB103_46 Depth 2
	;; [unrolled: 1-line block ×4, first 2 shown]
	s_mov_b32 s5, s3
	s_lshl_b64 s[6:7], s[4:5], 3
	v_mov_b32_e32 v0, s7
	v_add_co_u32_e32 v2, vcc, s6, v64
	v_addc_co_u32_e32 v3, vcc, v65, v0, vcc
	global_load_dwordx2 v[0:1], v[2:3], off
	s_cmp_le_i32 s14, s4
	s_mov_b32 s5, s8
	s_mov_b32 s2, s14
	s_waitcnt vmcnt(0)
	v_mul_f64 v[4:5], s[0:1], v[0:1]
	s_cbranch_scc1 .LBB103_45
.LBB103_44:                             ;   Parent Loop BB103_43 Depth=1
                                        ; =>  This Inner Loop Header: Depth=2
	s_lshl_b64 s[6:7], s[2:3], 3
	v_mov_b32_e32 v1, s7
	v_add_co_u32_e32 v0, vcc, s6, v64
	v_addc_co_u32_e32 v1, vcc, v65, v1, vcc
	global_load_dwordx2 v[0:1], v[0:1], off
	v_mov_b32_e32 v6, s5
	ds_read_b64 v[6:7], v6
	s_add_i32 s2, s2, -1
	s_addk_i32 s5, 0xff00
	s_cmp_gt_i32 s2, s4
	s_waitcnt vmcnt(0) lgkmcnt(0)
	v_fma_f64 v[4:5], -v[0:1], v[6:7], v[4:5]
	s_cbranch_scc1 .LBB103_44
.LBB103_45:                             ;   in Loop: Header=BB103_43 Depth=1
	s_add_i32 s2, s4, -1
	s_lshl_b64 s[6:7], s[2:3], 3
	v_mov_b32_e32 v1, s7
	v_add_co_u32_e32 v0, vcc, s6, v64
	v_addc_co_u32_e32 v1, vcc, v65, v1, vcc
	global_load_dwordx2 v[6:7], v[0:1], off
	s_mul_i32 s5, s4, 0x108
	v_mov_b32_e32 v8, s5
	ds_read_b64 v[8:9], v8
	s_cmp_le_i32 s22, s4
	s_mov_b32 s6, s9
	s_mov_b32 s2, s22
	s_waitcnt lgkmcnt(0)
	v_mul_f64 v[8:9], v[8:9], v[4:5]
	global_store_dwordx2 v[2:3], v[8:9], off
	s_waitcnt vmcnt(1)
	v_mul_f64 v[4:5], s[0:1], v[6:7]
	s_cbranch_scc1 .LBB103_47
.LBB103_46:                             ;   Parent Loop BB103_43 Depth=1
                                        ; =>  This Inner Loop Header: Depth=2
	s_add_i32 s2, s2, -1
	s_lshl_b64 s[12:13], s[2:3], 3
	v_mov_b32_e32 v3, s13
	v_add_co_u32_e32 v2, vcc, s12, v64
	v_addc_co_u32_e32 v3, vcc, v65, v3, vcc
	global_load_dwordx2 v[2:3], v[2:3], off
	v_mov_b32_e32 v6, s6
	ds_read_b64 v[6:7], v6
	s_addk_i32 s6, 0xff00
	s_cmp_gt_i32 s2, s4
	s_waitcnt vmcnt(0) lgkmcnt(0)
	v_fma_f64 v[4:5], -v[2:3], v[6:7], v[4:5]
	s_cbranch_scc1 .LBB103_46
.LBB103_47:                             ;   in Loop: Header=BB103_43 Depth=1
	s_add_i32 s6, s4, -2
	s_mov_b32 s7, s3
	s_lshl_b64 s[12:13], s[6:7], 3
	v_mov_b32_e32 v3, s13
	v_add_co_u32_e32 v2, vcc, s12, v64
	v_addc_co_u32_e32 v3, vcc, v65, v3, vcc
	global_load_dwordx2 v[6:7], v[2:3], off
	s_addk_i32 s5, 0xfef8
	v_mov_b32_e32 v8, s5
	ds_read_b64 v[8:9], v8
	s_cmp_le_i32 s14, s6
	s_mov_b32 s7, s10
	s_mov_b32 s2, s14
	s_waitcnt lgkmcnt(0)
	v_mul_f64 v[8:9], v[8:9], v[4:5]
	global_store_dwordx2 v[0:1], v[8:9], off
	s_waitcnt vmcnt(1)
	v_mul_f64 v[4:5], s[0:1], v[6:7]
	s_cbranch_scc1 .LBB103_49
.LBB103_48:                             ;   Parent Loop BB103_43 Depth=1
                                        ; =>  This Inner Loop Header: Depth=2
	s_lshl_b64 s[12:13], s[2:3], 3
	v_mov_b32_e32 v1, s13
	v_add_co_u32_e32 v0, vcc, s12, v64
	v_addc_co_u32_e32 v1, vcc, v65, v1, vcc
	global_load_dwordx2 v[0:1], v[0:1], off
	v_mov_b32_e32 v6, s7
	ds_read_b64 v[6:7], v6
	s_add_i32 s2, s2, -1
	s_addk_i32 s7, 0xff00
	s_cmp_gt_i32 s2, s6
	s_waitcnt vmcnt(0) lgkmcnt(0)
	v_fma_f64 v[4:5], -v[0:1], v[6:7], v[4:5]
	s_cbranch_scc1 .LBB103_48
.LBB103_49:                             ;   in Loop: Header=BB103_43 Depth=1
	s_add_i32 s6, s4, -3
	s_mov_b32 s7, s3
	s_lshl_b64 s[12:13], s[6:7], 3
	v_mov_b32_e32 v1, s13
	v_add_co_u32_e32 v0, vcc, s12, v64
	v_addc_co_u32_e32 v1, vcc, v65, v1, vcc
	global_load_dwordx2 v[6:7], v[0:1], off
	s_addk_i32 s5, 0xfef8
	v_mov_b32_e32 v8, s5
	ds_read_b64 v[8:9], v8
	s_cmp_le_i32 s14, s6
	s_mov_b32 s7, s11
	s_mov_b32 s2, s14
	s_waitcnt lgkmcnt(0)
	v_mul_f64 v[8:9], v[8:9], v[4:5]
	global_store_dwordx2 v[2:3], v[8:9], off
	s_waitcnt vmcnt(1)
	v_mul_f64 v[4:5], s[0:1], v[6:7]
	s_cbranch_scc1 .LBB103_42
.LBB103_50:                             ;   Parent Loop BB103_43 Depth=1
                                        ; =>  This Inner Loop Header: Depth=2
	s_lshl_b64 s[12:13], s[2:3], 3
	v_mov_b32_e32 v3, s13
	v_add_co_u32_e32 v2, vcc, s12, v64
	v_addc_co_u32_e32 v3, vcc, v65, v3, vcc
	global_load_dwordx2 v[2:3], v[2:3], off
	v_mov_b32_e32 v6, s7
	ds_read_b64 v[6:7], v6
	s_add_i32 s2, s2, -1
	s_addk_i32 s7, 0xff00
	s_cmp_gt_i32 s2, s6
	s_waitcnt vmcnt(0) lgkmcnt(0)
	v_fma_f64 v[4:5], -v[2:3], v[6:7], v[4:5]
	s_cbranch_scc1 .LBB103_50
	s_branch .LBB103_42
.LBB103_51:
	s_endpgm
	.section	.rodata,"a",@progbits
	.p2align	6, 0x0
	.amdhsa_kernel _ZL30rocblas_trsm_small_left_deviceILi32ELi32ELb0EddPKdPdEv13rocblas_fill_18rocblas_operation_17rocblas_diagonal_iiT3_T4_lilT5_lili
		.amdhsa_group_segment_fixed_size 8192
		.amdhsa_private_segment_fixed_size 0
		.amdhsa_kernarg_size 360
		.amdhsa_user_sgpr_count 6
		.amdhsa_user_sgpr_private_segment_buffer 1
		.amdhsa_user_sgpr_dispatch_ptr 0
		.amdhsa_user_sgpr_queue_ptr 0
		.amdhsa_user_sgpr_kernarg_segment_ptr 1
		.amdhsa_user_sgpr_dispatch_id 0
		.amdhsa_user_sgpr_flat_scratch_init 0
		.amdhsa_user_sgpr_private_segment_size 0
		.amdhsa_uses_dynamic_stack 0
		.amdhsa_system_sgpr_private_segment_wavefront_offset 0
		.amdhsa_system_sgpr_workgroup_id_x 1
		.amdhsa_system_sgpr_workgroup_id_y 0
		.amdhsa_system_sgpr_workgroup_id_z 1
		.amdhsa_system_sgpr_workgroup_info 0
		.amdhsa_system_vgpr_workitem_id 0
		.amdhsa_next_free_vgpr 128
		.amdhsa_next_free_sgpr 98
		.amdhsa_reserve_vcc 1
		.amdhsa_reserve_flat_scratch 0
		.amdhsa_float_round_mode_32 0
		.amdhsa_float_round_mode_16_64 0
		.amdhsa_float_denorm_mode_32 3
		.amdhsa_float_denorm_mode_16_64 3
		.amdhsa_dx10_clamp 1
		.amdhsa_ieee_mode 1
		.amdhsa_fp16_overflow 0
		.amdhsa_exception_fp_ieee_invalid_op 0
		.amdhsa_exception_fp_denorm_src 0
		.amdhsa_exception_fp_ieee_div_zero 0
		.amdhsa_exception_fp_ieee_overflow 0
		.amdhsa_exception_fp_ieee_underflow 0
		.amdhsa_exception_fp_ieee_inexact 0
		.amdhsa_exception_int_div_zero 0
	.end_amdhsa_kernel
	.section	.text._ZL30rocblas_trsm_small_left_deviceILi32ELi32ELb0EddPKdPdEv13rocblas_fill_18rocblas_operation_17rocblas_diagonal_iiT3_T4_lilT5_lili,"axG",@progbits,_ZL30rocblas_trsm_small_left_deviceILi32ELi32ELb0EddPKdPdEv13rocblas_fill_18rocblas_operation_17rocblas_diagonal_iiT3_T4_lilT5_lili,comdat
.Lfunc_end103:
	.size	_ZL30rocblas_trsm_small_left_deviceILi32ELi32ELb0EddPKdPdEv13rocblas_fill_18rocblas_operation_17rocblas_diagonal_iiT3_T4_lilT5_lili, .Lfunc_end103-_ZL30rocblas_trsm_small_left_deviceILi32ELi32ELb0EddPKdPdEv13rocblas_fill_18rocblas_operation_17rocblas_diagonal_iiT3_T4_lilT5_lili
                                        ; -- End function
	.set _ZL30rocblas_trsm_small_left_deviceILi32ELi32ELb0EddPKdPdEv13rocblas_fill_18rocblas_operation_17rocblas_diagonal_iiT3_T4_lilT5_lili.num_vgpr, 128
	.set _ZL30rocblas_trsm_small_left_deviceILi32ELi32ELb0EddPKdPdEv13rocblas_fill_18rocblas_operation_17rocblas_diagonal_iiT3_T4_lilT5_lili.num_agpr, 0
	.set _ZL30rocblas_trsm_small_left_deviceILi32ELi32ELb0EddPKdPdEv13rocblas_fill_18rocblas_operation_17rocblas_diagonal_iiT3_T4_lilT5_lili.numbered_sgpr, 40
	.set _ZL30rocblas_trsm_small_left_deviceILi32ELi32ELb0EddPKdPdEv13rocblas_fill_18rocblas_operation_17rocblas_diagonal_iiT3_T4_lilT5_lili.num_named_barrier, 0
	.set _ZL30rocblas_trsm_small_left_deviceILi32ELi32ELb0EddPKdPdEv13rocblas_fill_18rocblas_operation_17rocblas_diagonal_iiT3_T4_lilT5_lili.private_seg_size, 0
	.set _ZL30rocblas_trsm_small_left_deviceILi32ELi32ELb0EddPKdPdEv13rocblas_fill_18rocblas_operation_17rocblas_diagonal_iiT3_T4_lilT5_lili.uses_vcc, 1
	.set _ZL30rocblas_trsm_small_left_deviceILi32ELi32ELb0EddPKdPdEv13rocblas_fill_18rocblas_operation_17rocblas_diagonal_iiT3_T4_lilT5_lili.uses_flat_scratch, 0
	.set _ZL30rocblas_trsm_small_left_deviceILi32ELi32ELb0EddPKdPdEv13rocblas_fill_18rocblas_operation_17rocblas_diagonal_iiT3_T4_lilT5_lili.has_dyn_sized_stack, 0
	.set _ZL30rocblas_trsm_small_left_deviceILi32ELi32ELb0EddPKdPdEv13rocblas_fill_18rocblas_operation_17rocblas_diagonal_iiT3_T4_lilT5_lili.has_recursion, 0
	.set _ZL30rocblas_trsm_small_left_deviceILi32ELi32ELb0EddPKdPdEv13rocblas_fill_18rocblas_operation_17rocblas_diagonal_iiT3_T4_lilT5_lili.has_indirect_call, 0
	.section	.AMDGPU.csdata,"",@progbits
; Kernel info:
; codeLenInByte = 32444
; TotalNumSgprs: 44
; NumVgprs: 128
; ScratchSize: 0
; MemoryBound: 1
; FloatMode: 240
; IeeeMode: 1
; LDSByteSize: 8192 bytes/workgroup (compile time only)
; SGPRBlocks: 12
; VGPRBlocks: 31
; NumSGPRsForWavesPerEU: 102
; NumVGPRsForWavesPerEU: 128
; Occupancy: 2
; WaveLimiterHint : 1
; COMPUTE_PGM_RSRC2:SCRATCH_EN: 0
; COMPUTE_PGM_RSRC2:USER_SGPR: 6
; COMPUTE_PGM_RSRC2:TRAP_HANDLER: 0
; COMPUTE_PGM_RSRC2:TGID_X_EN: 1
; COMPUTE_PGM_RSRC2:TGID_Y_EN: 0
; COMPUTE_PGM_RSRC2:TGID_Z_EN: 1
; COMPUTE_PGM_RSRC2:TIDIG_COMP_CNT: 0
	.section	.text._ZL38rocblas_trsm_small_left_device_sharedBILi32ELi32ELb1EddPKdPdEv13rocblas_fill_18rocblas_operation_17rocblas_diagonal_iiT3_T4_lilT5_lili,"axG",@progbits,_ZL38rocblas_trsm_small_left_device_sharedBILi32ELi32ELb1EddPKdPdEv13rocblas_fill_18rocblas_operation_17rocblas_diagonal_iiT3_T4_lilT5_lili,comdat
	.globl	_ZL38rocblas_trsm_small_left_device_sharedBILi32ELi32ELb1EddPKdPdEv13rocblas_fill_18rocblas_operation_17rocblas_diagonal_iiT3_T4_lilT5_lili ; -- Begin function _ZL38rocblas_trsm_small_left_device_sharedBILi32ELi32ELb1EddPKdPdEv13rocblas_fill_18rocblas_operation_17rocblas_diagonal_iiT3_T4_lilT5_lili
	.p2align	8
	.type	_ZL38rocblas_trsm_small_left_device_sharedBILi32ELi32ELb1EddPKdPdEv13rocblas_fill_18rocblas_operation_17rocblas_diagonal_iiT3_T4_lilT5_lili,@function
_ZL38rocblas_trsm_small_left_device_sharedBILi32ELi32ELb1EddPKdPdEv13rocblas_fill_18rocblas_operation_17rocblas_diagonal_iiT3_T4_lilT5_lili: ; @_ZL38rocblas_trsm_small_left_device_sharedBILi32ELi32ELb1EddPKdPdEv13rocblas_fill_18rocblas_operation_17rocblas_diagonal_iiT3_T4_lilT5_lili
; %bb.0:
	s_load_dwordx4 s[8:11], s[4:5], 0x4
	s_load_dwordx4 s[12:15], s[4:5], 0x18
	s_load_dwordx2 s[20:21], s[4:5], 0x28
	s_load_dwordx4 s[0:3], s[4:5], 0x38
	s_load_dwordx2 s[16:17], s[4:5], 0x48
	s_waitcnt lgkmcnt(0)
	s_min_i32 s22, s10, 32
	v_cmp_gt_i32_e32 vcc, s22, v0
	s_and_saveexec_b64 s[18:19], vcc
	s_cbranch_execz .LBB104_6
; %bb.1:
	s_load_dword s24, s[4:5], 0x30
	s_mul_i32 s1, s1, s7
	s_mul_hi_u32 s23, s0, s7
	s_mul_i32 s0, s0, s7
	s_add_i32 s1, s23, s1
	s_waitcnt lgkmcnt(0)
	s_ashr_i32 s25, s24, 31
	s_lshl_b64 s[0:1], s[0:1], 3
	s_add_u32 s14, s14, s0
	s_addc_u32 s15, s15, s1
	s_lshl_b64 s[0:1], s[20:21], 3
	s_add_u32 s0, s14, s0
	s_addc_u32 s1, s15, s1
	v_lshlrev_b32_e32 v3, 3, v0
	v_mov_b32_e32 v2, s1
	v_add_co_u32_e32 v1, vcc, s0, v3
	s_lshl_b64 s[0:1], s[24:25], 3
	v_addc_co_u32_e32 v2, vcc, 0, v2, vcc
	v_mov_b32_e32 v4, s1
	v_mov_b32_e32 v5, v3
	s_mov_b32 s1, s22
.LBB104_2:                              ; =>This Inner Loop Header: Depth=1
	global_load_dwordx2 v[6:7], v[1:2], off
	v_add_co_u32_e32 v1, vcc, s0, v1
	s_add_i32 s1, s1, -1
	v_addc_co_u32_e32 v2, vcc, v2, v4, vcc
	s_cmp_eq_u32 s1, 0
	s_waitcnt vmcnt(0)
	ds_write_b64 v5, v[6:7]
	v_add_u32_e32 v5, 0x100, v5
	s_cbranch_scc0 .LBB104_2
; %bb.3:
	v_lshlrev_b32_e32 v4, 8, v0
	v_mov_b32_e32 v1, 0
	s_cmpk_lg_i32 s9, 0x84
	v_mov_b32_e32 v2, 0x3ff00000
	v_add_u32_e32 v3, v3, v4
	s_cbranch_scc0 .LBB104_5
; %bb.4:
	ds_read_b64 v[1:2], v3
	s_waitcnt lgkmcnt(0)
	v_div_scale_f64 v[4:5], s[0:1], v[1:2], v[1:2], 1.0
	v_div_scale_f64 v[10:11], vcc, 1.0, v[1:2], 1.0
	v_rcp_f64_e32 v[6:7], v[4:5]
	v_fma_f64 v[8:9], -v[4:5], v[6:7], 1.0
	v_fma_f64 v[6:7], v[6:7], v[8:9], v[6:7]
	v_fma_f64 v[8:9], -v[4:5], v[6:7], 1.0
	v_fma_f64 v[6:7], v[6:7], v[8:9], v[6:7]
	v_mul_f64 v[8:9], v[10:11], v[6:7]
	v_fma_f64 v[4:5], -v[4:5], v[8:9], v[10:11]
	v_div_fmas_f64 v[4:5], v[4:5], v[6:7], v[8:9]
	v_div_fixup_f64 v[1:2], v[4:5], v[1:2], 1.0
.LBB104_5:
	ds_write_b64 v3, v[1:2]
.LBB104_6:
	s_or_b64 exec, exec, s[18:19]
	s_load_dword s0, s[4:5], 0x68
	s_load_dwordx2 s[14:15], s[4:5], 0x58
	s_load_dword s9, s[4:5], 0x50
	s_waitcnt lgkmcnt(0)
	s_mul_i32 s1, s15, s7
	s_mul_hi_u32 s5, s14, s7
	s_mul_i32 s4, s14, s7
	s_add_i32 s5, s5, s1
	s_lshl_b64 s[4:5], s[4:5], 3
	s_add_u32 s1, s2, s4
	s_addc_u32 s4, s3, s5
	s_lshl_b64 s[2:3], s[16:17], 3
	s_add_u32 s2, s1, s2
	s_addc_u32 s3, s4, s3
	s_lshl_b32 s4, s6, 5
	s_add_i32 s0, s0, -1
	s_sub_i32 s1, s11, s4
	s_cmp_ge_u32 s6, s0
	s_cselect_b32 s5, s1, 32
	s_mul_hi_i32 s1, s9, s4
	s_mul_i32 s0, s9, s4
	s_lshl_b64 s[0:1], s[0:1], 3
	s_add_u32 s6, s2, s0
	s_addc_u32 s7, s3, s1
	s_cmp_gt_i32 s10, 0
	v_cmp_gt_i32_e64 s[0:1], s5, v0
	s_cselect_b64 s[2:3], -1, 0
	s_and_b64 s[14:15], s[0:1], s[2:3]
	s_and_saveexec_b64 s[4:5], s[14:15]
	s_cbranch_execz .LBB104_9
; %bb.7:
	v_mad_i64_i32 v[1:2], s[14:15], s9, v0, 0
	v_mov_b32_e32 v3, s7
	s_mov_b32 s11, s22
	v_lshlrev_b64 v[1:2], 3, v[1:2]
	v_add_co_u32_e32 v1, vcc, s6, v1
	v_addc_co_u32_e32 v2, vcc, v3, v2, vcc
	v_mov_b32_e32 v3, 0x2000
	v_lshl_or_b32 v3, v0, 3, v3
.LBB104_8:                              ; =>This Inner Loop Header: Depth=1
	global_load_dwordx2 v[4:5], v[1:2], off
	s_add_i32 s11, s11, -1
	v_add_co_u32_e32 v1, vcc, 8, v1
	v_addc_co_u32_e32 v2, vcc, 0, v2, vcc
	s_cmp_lg_u32 s11, 0
	s_waitcnt vmcnt(0)
	v_mul_f64 v[4:5], s[12:13], v[4:5]
	ds_write_b64 v3, v[4:5]
	v_add_u32_e32 v3, 0x100, v3
	s_cbranch_scc1 .LBB104_8
.LBB104_9:
	s_or_b64 exec, exec, s[4:5]
	v_mov_b32_e32 v1, 0x2000
	s_cmpk_eq_i32 s8, 0x6f
	v_lshl_or_b32 v79, v0, 3, v1
	s_mov_b64 s[4:5], -1
	s_waitcnt lgkmcnt(0)
	; wave barrier
	s_cbranch_scc1 .LBB104_36
; %bb.10:
	s_add_i32 s4, s22, -1
	s_cmp_gt_i32 s10, 31
	s_mov_b32 s5, s4
	s_cbranch_scc0 .LBB104_12
; %bb.11:
	v_add_u32_e32 v53, 0x1800, v79
	s_movk_i32 s5, 0x1f8
	ds_read2_b64 v[2:5], v53 offset0:192 offset1:224
	v_add_u32_e64 v1, s5, 0
	ds_read2st64_b64 v[7:10], v1 offset0:14 offset1:15
	ds_read2st64_b64 v[11:14], v1 offset0:12 offset1:13
	v_mov_b32_e32 v55, 0
	ds_read_b128 v[15:18], v55 offset:7920
	ds_read_b128 v[19:22], v55 offset:7408
	s_waitcnt lgkmcnt(3)
	v_mul_f64 v[5:6], v[9:10], v[4:5]
	ds_read2_b64 v[23:26], v53 offset0:128 offset1:160
	v_mov_b32_e32 v4, 0x1de8
	v_mov_b32_e32 v27, 0x1be8
	v_add_u32_e32 v54, 0x1000, v79
	v_mov_b32_e32 v41, 0x1bd8
	v_mov_b32_e32 v45, 0x19e8
	;; [unrolled: 1-line block ×3, first 2 shown]
	s_waitcnt lgkmcnt(2)
	v_fma_f64 v[2:3], -v[5:6], v[17:18], v[2:3]
	s_waitcnt lgkmcnt(0)
	v_fma_f64 v[9:10], -v[5:6], v[7:8], v[25:26]
	v_mov_b32_e32 v72, 0x19d8
	v_mov_b32_e32 v73, 0x19c8
	;; [unrolled: 1-line block ×4, first 2 shown]
	ds_read2_b64 v[25:28], v27 offset1:1
	v_mov_b32_e32 v78, 0x15d8
	v_mul_f64 v[7:8], v[15:16], v[2:3]
	ds_read2_b64 v[15:18], v4 offset1:1
	v_fma_f64 v[2:3], -v[5:6], v[21:22], v[23:24]
	ds_read2_b64 v[21:24], v53 offset0:64 offset1:96
	v_mov_b32_e32 v76, 0x17c8
	v_mov_b32_e32 v4, 0x17b8
	;; [unrolled: 1-line block ×4, first 2 shown]
	s_waitcnt lgkmcnt(1)
	v_fma_f64 v[9:10], -v[7:8], v[17:18], v[9:10]
	s_waitcnt lgkmcnt(0)
	v_fma_f64 v[23:24], -v[5:6], v[13:14], v[23:24]
	v_fma_f64 v[2:3], -v[7:8], v[19:20], v[2:3]
	v_mov_b32_e32 v81, 0x15b8
	v_mov_b32_e32 v83, 0x13d8
	s_mov_b32 s5, -1
	v_mul_f64 v[9:10], v[15:16], v[9:10]
	ds_read_b128 v[13:16], v55 offset:7392
	ds_read_b128 v[17:20], v55 offset:6896
	v_fma_f64 v[27:28], -v[7:8], v[27:28], v[23:24]
	ds_read2_b64 v[29:32], v53 offset1:32
	ds_read2_b64 v[33:36], v54 offset0:192 offset1:224
	ds_read2_b64 v[37:40], v54 offset0:128 offset1:160
	s_waitcnt lgkmcnt(3)
	v_fma_f64 v[19:20], -v[5:6], v[19:20], v[21:22]
	s_waitcnt lgkmcnt(2)
	v_fma_f64 v[31:32], -v[5:6], v[11:12], v[31:32]
	v_fma_f64 v[2:3], -v[9:10], v[15:16], v[2:3]
	ds_read2_b64 v[21:24], v54 offset0:64 offset1:96
	ds_read2_b64 v[41:44], v41 offset1:1
	ds_read2_b64 v[45:48], v45 offset1:1
	ds_read_b128 v[49:52], v55 offset:6384
	v_fma_f64 v[64:65], -v[9:10], v[25:26], v[27:28]
	v_fma_f64 v[19:20], -v[7:8], v[17:18], v[19:20]
	ds_read_b128 v[15:18], v55 offset:6864
	ds_read_b128 v[25:28], v55 offset:6880
	;; [unrolled: 1-line block ×3, first 2 shown]
	ds_read2st64_b64 v[60:63], v1 offset0:10 offset1:11
	v_mul_f64 v[11:12], v[13:14], v[2:3]
	s_waitcnt lgkmcnt(4)
	v_fma_f64 v[2:3], -v[5:6], v[51:52], v[29:30]
	v_fma_f64 v[13:14], -v[7:8], v[47:48], v[31:32]
	s_waitcnt lgkmcnt(0)
	v_fma_f64 v[35:36], -v[5:6], v[62:63], v[35:36]
	v_fma_f64 v[60:61], -v[5:6], v[60:61], v[39:40]
	;; [unrolled: 1-line block ×6, first 2 shown]
	ds_read2_b64 v[27:30], v66 offset1:1
	ds_read_b128 v[64:67], v55 offset:5872
	ds_read2st64_b64 v[68:71], v1 offset0:8 offset1:9
	v_fma_f64 v[19:20], -v[11:12], v[25:26], v[19:20]
	s_waitcnt lgkmcnt(1)
	v_fma_f64 v[25:26], -v[5:6], v[66:67], v[33:34]
	v_mul_f64 v[13:14], v[41:42], v[31:32]
	ds_read2_b64 v[41:44], v72 offset1:1
	ds_read2_b64 v[45:48], v73 offset1:1
	;; [unrolled: 1-line block ×3, first 2 shown]
	ds_read_b128 v[72:75], v55 offset:5856
	v_fma_f64 v[33:34], -v[7:8], v[29:30], v[35:36]
	v_fma_f64 v[2:3], -v[9:10], v[58:59], v[2:3]
	s_waitcnt lgkmcnt(3)
	v_fma_f64 v[35:36], -v[11:12], v[43:44], v[62:63]
	v_fma_f64 v[62:63], -v[7:8], v[64:65], v[25:26]
	v_fma_f64 v[43:44], -v[13:14], v[17:18], v[19:20]
	ds_read_b128 v[17:20], v55 offset:6352
	ds_read_b128 v[29:32], v55 offset:6336
	v_fma_f64 v[64:65], -v[9:10], v[27:28], v[33:34]
	v_fma_f64 v[2:3], -v[11:12], v[56:57], v[2:3]
	;; [unrolled: 1-line block ×3, first 2 shown]
	ds_read2_b64 v[25:28], v77 offset1:1
	ds_read2_b64 v[33:36], v78 offset1:1
	ds_read_b128 v[39:42], v55 offset:5808
	ds_read_b128 v[56:59], v55 offset:5360
	s_waitcnt lgkmcnt(3)
	v_fma_f64 v[27:28], -v[7:8], v[27:28], v[60:61]
	v_mul_f64 v[15:16], v[15:16], v[43:44]
	v_fma_f64 v[43:44], -v[9:10], v[74:75], v[62:63]
	v_fma_f64 v[51:52], -v[11:12], v[51:52], v[64:65]
	;; [unrolled: 1-line block ×3, first 2 shown]
	s_waitcnt lgkmcnt(0)
	v_fma_f64 v[37:38], -v[5:6], v[58:59], v[37:38]
	v_fma_f64 v[19:20], -v[15:16], v[47:48], v[66:67]
	;; [unrolled: 1-line block ×6, first 2 shown]
	ds_read_b128 v[60:63], v55 offset:5824
	ds_read_b128 v[64:67], v55 offset:5840
	v_mul_f64 v[17:18], v[45:46], v[19:20]
	v_fma_f64 v[19:20], -v[9:10], v[25:26], v[27:28]
	ds_read2_b64 v[25:28], v76 offset1:1
	ds_read2_b64 v[43:46], v4 offset1:1
	ds_read_b128 v[47:50], v55 offset:5344
	s_waitcnt lgkmcnt(3)
	v_fma_f64 v[66:67], -v[13:14], v[66:67], v[58:59]
	v_mov_b32_e32 v4, 0x13c8
	s_waitcnt lgkmcnt(2)
	v_fma_f64 v[27:28], -v[15:16], v[27:28], v[51:52]
	v_fma_f64 v[51:52], -v[5:6], v[70:71], v[23:24]
	;; [unrolled: 1-line block ×4, first 2 shown]
	s_waitcnt lgkmcnt(0)
	v_fma_f64 v[49:50], -v[9:10], v[49:50], v[72:73]
	ds_read_b128 v[35:38], v55 offset:5328
	ds_read2_b64 v[56:59], v82 offset1:1
	v_fma_f64 v[64:65], -v[15:16], v[64:65], v[66:67]
	v_fma_f64 v[66:67], -v[17:18], v[25:26], v[27:28]
	v_mul_f64 v[19:20], v[29:30], v[2:3]
	v_fma_f64 v[2:3], -v[13:14], v[33:34], v[31:32]
	v_fma_f64 v[49:50], -v[11:12], v[47:48], v[49:50]
	ds_read2_b64 v[23:26], v80 offset1:1
	ds_read2_b64 v[27:30], v81 offset1:1
	ds_read_b128 v[31:34], v55 offset:4848
	s_waitcnt lgkmcnt(3)
	v_fma_f64 v[51:52], -v[7:8], v[58:59], v[51:52]
	v_fma_f64 v[58:59], -v[17:18], v[62:63], v[64:65]
	;; [unrolled: 1-line block ×3, first 2 shown]
	s_waitcnt lgkmcnt(2)
	v_fma_f64 v[2:3], -v[15:16], v[25:26], v[2:3]
	ds_read2_b64 v[45:48], v83 offset1:1
	v_fma_f64 v[25:26], -v[13:14], v[37:38], v[49:50]
	s_waitcnt lgkmcnt(1)
	v_fma_f64 v[33:34], -v[5:6], v[33:34], v[21:22]
	v_fma_f64 v[37:38], -v[9:10], v[56:57], v[51:52]
	;; [unrolled: 1-line block ×3, first 2 shown]
	ds_read_b128 v[49:52], v55 offset:5312
	ds_read2_b64 v[56:59], v4 offset1:1
	v_mul_f64 v[21:22], v[43:44], v[62:63]
	v_fma_f64 v[2:3], -v[17:18], v[23:24], v[2:3]
	v_mov_b32_e32 v4, 0x15a8
	v_fma_f64 v[23:24], -v[15:16], v[35:36], v[25:26]
	v_fma_f64 v[25:26], -v[7:8], v[31:32], v[33:34]
	s_waitcnt lgkmcnt(2)
	v_fma_f64 v[47:48], -v[11:12], v[47:48], v[37:38]
	ds_read_b128 v[31:34], v55 offset:4832
	v_fma_f64 v[60:61], -v[21:22], v[41:42], v[60:61]
	v_fma_f64 v[2:3], -v[19:20], v[29:30], v[2:3]
	ds_read_b128 v[35:38], v55 offset:5296
	ds_read_b128 v[41:44], v55 offset:4816
	s_waitcnt lgkmcnt(4)
	v_fma_f64 v[29:30], -v[17:18], v[51:52], v[23:24]
	s_waitcnt lgkmcnt(2)
	v_fma_f64 v[33:34], -v[9:10], v[33:34], v[25:26]
	v_fma_f64 v[51:52], -v[13:14], v[45:46], v[47:48]
	ds_read2_b64 v[45:48], v54 offset1:32
	v_mul_f64 v[23:24], v[39:40], v[60:61]
	v_fma_f64 v[2:3], -v[21:22], v[27:28], v[2:3]
	ds_read2_b64 v[25:28], v4 offset1:1
	s_waitcnt lgkmcnt(1)
	v_fma_f64 v[47:48], -v[5:6], v[68:69], v[47:48]
	v_fma_f64 v[33:34], -v[11:12], v[31:32], v[33:34]
	v_mov_b32_e32 v4, 0x11e8
	v_fma_f64 v[39:40], -v[19:20], v[49:50], v[29:30]
	v_fma_f64 v[49:50], -v[15:16], v[58:59], v[51:52]
	ds_read2_b64 v[29:32], v4 offset1:1
	s_waitcnt lgkmcnt(1)
	v_fma_f64 v[2:3], -v[23:24], v[27:28], v[2:3]
	v_mov_b32_e32 v4, 0x13b8
	v_mov_b32_e32 v69, 0x11a8
	v_fma_f64 v[27:28], -v[13:14], v[43:44], v[33:34]
	s_waitcnt lgkmcnt(0)
	v_fma_f64 v[47:48], -v[7:8], v[31:32], v[47:48]
	ds_read2_b64 v[31:34], v4 offset1:1
	v_fma_f64 v[49:50], -v[17:18], v[56:57], v[49:50]
	v_mov_b32_e32 v4, 0x13a8
	v_mul_f64 v[25:26], v[25:26], v[2:3]
	v_fma_f64 v[51:52], -v[21:22], v[37:38], v[39:40]
	v_fma_f64 v[2:3], -v[15:16], v[41:42], v[27:28]
	;; [unrolled: 1-line block ×3, first 2 shown]
	ds_read2_b64 v[37:40], v4 offset1:1
	ds_read_b128 v[41:44], v55 offset:4800
	v_mov_b32_e32 v4, 0x11d8
	s_waitcnt lgkmcnt(2)
	v_fma_f64 v[56:57], -v[19:20], v[33:34], v[49:50]
	ds_read2_b64 v[27:30], v4 offset1:1
	v_mov_b32_e32 v4, 0x11c8
	v_fma_f64 v[51:52], -v[23:24], v[35:36], v[51:52]
	s_waitcnt lgkmcnt(1)
	v_fma_f64 v[2:3], -v[17:18], v[43:44], v[2:3]
	ds_read2_b64 v[33:36], v4 offset1:1
	s_waitcnt lgkmcnt(1)
	v_fma_f64 v[43:44], -v[11:12], v[29:30], v[47:48]
	ds_read_b128 v[47:50], v55 offset:4336
	v_fma_f64 v[65:66], -v[21:22], v[31:32], v[56:57]
	ds_read_b128 v[29:32], v55 offset:5280
	ds_read_b128 v[57:60], v55 offset:4784
	;; [unrolled: 1-line block ×3, first 2 shown]
	v_mov_b32_e32 v4, 0x1398
	v_add_u32_e32 v56, 0x800, v79
	s_waitcnt lgkmcnt(3)
	v_fma_f64 v[45:46], -v[5:6], v[49:50], v[45:46]
	v_fma_f64 v[2:3], -v[19:20], v[41:42], v[2:3]
	;; [unrolled: 1-line block ×3, first 2 shown]
	s_waitcnt lgkmcnt(2)
	v_fma_f64 v[31:32], -v[25:26], v[31:32], v[51:52]
	v_fma_f64 v[49:50], -v[23:24], v[39:40], v[65:66]
	ds_read2_b64 v[39:42], v4 offset1:1
	v_fma_f64 v[51:52], -v[7:8], v[47:48], v[45:46]
	s_waitcnt lgkmcnt(2)
	v_fma_f64 v[2:3], -v[21:22], v[59:60], v[2:3]
	v_fma_f64 v[59:60], -v[15:16], v[35:36], v[27:28]
	ds_read2_b64 v[43:46], v56 offset0:192 offset1:224
	v_fma_f64 v[77:78], -v[25:26], v[37:38], v[49:50]
	ds_read_b128 v[35:38], v55 offset:4768
	ds_read2st64_b64 v[47:50], v1 offset0:6 offset1:7
	v_mul_f64 v[27:28], v[29:30], v[31:32]
	v_mov_b32_e32 v29, 0xfe8
	s_waitcnt lgkmcnt(4)
	v_fma_f64 v[51:52], -v[9:10], v[63:64], v[51:52]
	ds_read2_b64 v[29:32], v29 offset1:1
	v_fma_f64 v[73:74], -v[17:18], v[33:34], v[59:60]
	s_waitcnt lgkmcnt(1)
	v_fma_f64 v[33:34], -v[5:6], v[49:50], v[45:46]
	v_fma_f64 v[80:81], -v[23:24], v[57:58], v[2:3]
	v_mov_b32_e32 v63, 0x11b8
	v_mov_b32_e32 v57, 0xfd8
	ds_read2st64_b64 v[1:4], v1 offset0:4 offset1:5
	v_fma_f64 v[45:46], -v[11:12], v[61:62], v[51:52]
	ds_read_b128 v[49:52], v55 offset:4304
	ds_read2_b64 v[57:60], v57 offset1:1
	s_waitcnt lgkmcnt(3)
	v_fma_f64 v[75:76], -v[7:8], v[31:32], v[33:34]
	ds_read2_b64 v[31:34], v63 offset1:1
	ds_read_b128 v[61:64], v55 offset:4288
	ds_read_b128 v[65:68], v55 offset:3824
	ds_read2_b64 v[69:72], v69 offset1:1
	v_fma_f64 v[41:42], -v[27:28], v[41:42], v[77:78]
	s_waitcnt lgkmcnt(5)
	v_fma_f64 v[45:46], -v[13:14], v[51:52], v[45:46]
	s_waitcnt lgkmcnt(3)
	;; [unrolled: 2-line block ×3, first 2 shown]
	v_fma_f64 v[43:44], -v[5:6], v[67:68], v[43:44]
	v_fma_f64 v[29:30], -v[9:10], v[29:30], v[75:76]
	;; [unrolled: 1-line block ×3, first 2 shown]
	ds_read_b128 v[73:76], v55 offset:3808
	v_fma_f64 v[45:46], -v[15:16], v[49:50], v[45:46]
	v_fma_f64 v[49:50], -v[21:22], v[31:32], v[33:34]
	;; [unrolled: 1-line block ×4, first 2 shown]
	v_mul_f64 v[29:30], v[39:40], v[41:42]
	v_fma_f64 v[39:40], -v[27:28], v[35:36], v[37:38]
	ds_read_b128 v[31:34], v55 offset:4752
	v_mov_b32_e32 v35, 0xfc8
	v_fma_f64 v[41:42], -v[17:18], v[63:64], v[45:46]
	ds_read2_b64 v[35:38], v35 offset1:1
	s_waitcnt lgkmcnt(3)
	v_fma_f64 v[49:50], -v[23:24], v[71:72], v[49:50]
	v_fma_f64 v[45:46], -v[13:14], v[57:58], v[51:52]
	s_waitcnt lgkmcnt(2)
	v_fma_f64 v[51:52], -v[9:10], v[75:76], v[43:44]
	s_waitcnt lgkmcnt(1)
	v_fma_f64 v[65:66], -v[29:30], v[33:34], v[39:40]
	v_mov_b32_e32 v39, 0xfb8
	v_mov_b32_e32 v57, 0x1198
	v_fma_f64 v[33:34], -v[19:20], v[61:62], v[41:42]
	ds_read2_b64 v[39:42], v39 offset1:1
	v_fma_f64 v[67:68], -v[25:26], v[69:70], v[49:50]
	s_waitcnt lgkmcnt(1)
	v_fma_f64 v[37:38], -v[15:16], v[37:38], v[45:46]
	v_fma_f64 v[61:62], -v[11:12], v[73:74], v[51:52]
	ds_read_b128 v[43:46], v55 offset:4272
	ds_read_b128 v[49:52], v55 offset:3792
	ds_read2_b64 v[57:60], v57 offset1:1
	v_mul_f64 v[31:32], v[31:32], v[65:66]
	s_waitcnt lgkmcnt(2)
	v_fma_f64 v[45:46], -v[21:22], v[45:46], v[33:34]
	v_fma_f64 v[37:38], -v[17:18], v[35:36], v[37:38]
	s_waitcnt lgkmcnt(1)
	v_fma_f64 v[51:52], -v[13:14], v[51:52], v[61:62]
	s_waitcnt lgkmcnt(0)
	v_fma_f64 v[59:60], -v[27:28], v[59:60], v[67:68]
	ds_read_b128 v[33:36], v55 offset:3776
	v_mov_b32_e32 v61, 0x1188
	ds_read2_b64 v[61:64], v61 offset1:1
	v_fma_f64 v[45:46], -v[23:24], v[43:44], v[45:46]
	v_fma_f64 v[37:38], -v[19:20], v[41:42], v[37:38]
	;; [unrolled: 1-line block ×3, first 2 shown]
	ds_read2_b64 v[49:52], v56 offset0:128 offset1:160
	ds_read_b128 v[41:44], v55 offset:4256
	v_fma_f64 v[73:74], -v[29:30], v[57:58], v[59:60]
	ds_read_b128 v[57:60], v55 offset:4240
	v_fma_f64 v[75:76], -v[21:22], v[39:40], v[37:38]
	s_waitcnt lgkmcnt(2)
	v_fma_f64 v[39:40], -v[5:6], v[47:48], v[51:52]
	v_fma_f64 v[47:48], -v[17:18], v[35:36], v[67:68]
	v_mov_b32_e32 v35, 0xde8
	ds_read2_b64 v[35:38], v35 offset1:1
	s_waitcnt lgkmcnt(2)
	v_fma_f64 v[69:70], -v[25:26], v[43:44], v[45:46]
	v_mov_b32_e32 v43, 0xfa8
	v_mov_b32_e32 v51, 0xdd8
	ds_read2_b64 v[43:46], v43 offset1:1
	ds_read2_b64 v[65:68], v51 offset1:1
	s_waitcnt lgkmcnt(2)
	v_fma_f64 v[51:52], -v[7:8], v[37:38], v[39:40]
	v_fma_f64 v[33:34], -v[19:20], v[33:34], v[47:48]
	v_mov_b32_e32 v47, 0xf98
	v_fma_f64 v[41:42], -v[27:28], v[41:42], v[69:70]
	ds_read_b128 v[37:40], v55 offset:3760
	ds_read2_b64 v[69:72], v47 offset1:1
	s_waitcnt lgkmcnt(3)
	v_fma_f64 v[75:76], -v[23:24], v[45:46], v[75:76]
	ds_read_b128 v[45:48], v55 offset:3744
	v_fma_f64 v[35:36], -v[9:10], v[35:36], v[51:52]
	s_waitcnt lgkmcnt(2)
	v_fma_f64 v[33:34], -v[21:22], v[39:40], v[33:34]
	v_fma_f64 v[51:52], -v[31:32], v[63:64], v[73:74]
	;; [unrolled: 1-line block ×3, first 2 shown]
	ds_read_b128 v[39:42], v55 offset:3312
	v_fma_f64 v[43:44], -v[25:26], v[43:44], v[75:76]
	v_fma_f64 v[63:64], -v[11:12], v[67:68], v[35:36]
	;; [unrolled: 1-line block ×3, first 2 shown]
	s_waitcnt lgkmcnt(0)
	v_fma_f64 v[49:50], -v[5:6], v[41:42], v[49:50]
	v_mov_b32_e32 v41, 0xdc8
	ds_read_b128 v[35:38], v55 offset:4224
	ds_read2_b64 v[73:76], v56 offset0:64 offset1:96
	v_mul_f64 v[33:34], v[61:62], v[51:52]
	v_fma_f64 v[61:62], -v[27:28], v[71:72], v[43:44]
	ds_read2_b64 v[41:44], v41 offset1:1
	v_fma_f64 v[63:64], -v[13:14], v[65:66], v[63:64]
	v_fma_f64 v[65:66], -v[25:26], v[47:48], v[67:68]
	;; [unrolled: 1-line block ×3, first 2 shown]
	v_mov_b32_e32 v39, 0xdb8
	v_fma_f64 v[51:52], -v[31:32], v[57:58], v[59:60]
	ds_read2_b64 v[47:50], v39 offset1:1
	ds_read_b128 v[57:60], v55 offset:3296
	s_waitcnt lgkmcnt(3)
	v_fma_f64 v[3:4], -v[5:6], v[3:4], v[75:76]
	s_waitcnt lgkmcnt(2)
	v_fma_f64 v[63:64], -v[15:16], v[43:44], v[63:64]
	v_mov_b32_e32 v43, 0xf88
	s_waitcnt lgkmcnt(0)
	v_fma_f64 v[67:68], -v[9:10], v[59:60], v[67:68]
	v_fma_f64 v[71:72], -v[33:34], v[37:38], v[51:52]
	v_fma_f64 v[51:52], -v[29:30], v[69:70], v[61:62]
	ds_read_b128 v[37:40], v55 offset:3280
	v_fma_f64 v[69:70], -v[27:28], v[45:46], v[65:66]
	v_fma_f64 v[41:42], -v[17:18], v[41:42], v[63:64]
	ds_read2_b64 v[43:46], v43 offset1:1
	v_fma_f64 v[57:58], -v[11:12], v[57:58], v[67:68]
	v_mov_b32_e32 v63, 0xf78
	ds_read2_b64 v[63:66], v63 offset1:1
	ds_read_b128 v[59:62], v55 offset:3728
	v_mul_f64 v[35:36], v[35:36], v[71:72]
	v_fma_f64 v[41:42], -v[19:20], v[49:50], v[41:42]
	v_mov_b32_e32 v49, 0xbe8
	s_waitcnt lgkmcnt(3)
	v_fma_f64 v[57:58], -v[13:14], v[39:40], v[57:58]
	v_mov_b32_e32 v39, 0xda8
	v_fma_f64 v[47:48], -v[21:22], v[47:48], v[41:42]
	ds_read2_b64 v[39:42], v39 offset1:1
	s_waitcnt lgkmcnt(3)
	v_fma_f64 v[45:46], -v[31:32], v[45:46], v[51:52]
	ds_read2_b64 v[49:52], v49 offset1:1
	s_waitcnt lgkmcnt(2)
	v_fma_f64 v[61:62], -v[29:30], v[61:62], v[69:70]
	v_fma_f64 v[37:38], -v[15:16], v[37:38], v[57:58]
	s_waitcnt lgkmcnt(0)
	v_fma_f64 v[3:4], -v[7:8], v[51:52], v[3:4]
	v_fma_f64 v[41:42], -v[23:24], v[41:42], v[47:48]
	;; [unrolled: 1-line block ×3, first 2 shown]
	v_mov_b32_e32 v43, 0xd98
	v_fma_f64 v[75:76], -v[31:32], v[59:60], v[61:62]
	ds_read2_b64 v[43:46], v43 offset1:1
	ds_read_b128 v[57:60], v55 offset:3264
	v_mov_b32_e32 v47, 0xbd8
	v_mov_b32_e32 v51, 0xbc8
	v_fma_f64 v[3:4], -v[9:10], v[49:50], v[3:4]
	ds_read2_b64 v[47:50], v47 offset1:1
	ds_read_b128 v[67:70], v55 offset:3248
	s_waitcnt lgkmcnt(2)
	v_fma_f64 v[37:38], -v[17:18], v[59:60], v[37:38]
	v_fma_f64 v[77:78], -v[25:26], v[39:40], v[41:42]
	;; [unrolled: 1-line block ×3, first 2 shown]
	ds_read_b128 v[39:42], v55 offset:2800
	ds_read2_b64 v[59:62], v51 offset1:1
	s_waitcnt lgkmcnt(3)
	v_fma_f64 v[3:4], -v[11:12], v[49:50], v[3:4]
	v_fma_f64 v[57:58], -v[19:20], v[57:58], v[37:38]
	;; [unrolled: 1-line block ×3, first 2 shown]
	v_mul_f64 v[37:38], v[63:64], v[65:66]
	v_mov_b32_e32 v65, 0xba8
	v_fma_f64 v[3:4], -v[13:14], v[47:48], v[3:4]
	ds_read_b128 v[45:48], v55 offset:3696
	s_waitcnt lgkmcnt(2)
	v_fma_f64 v[63:64], -v[5:6], v[41:42], v[73:74]
	v_fma_f64 v[57:58], -v[21:22], v[69:70], v[57:58]
	v_mov_b32_e32 v41, 0xd88
	v_fma_f64 v[77:78], -v[29:30], v[43:44], v[71:72]
	ds_read2_b64 v[41:44], v41 offset1:1
	ds_read_b128 v[49:52], v55 offset:3712
	s_waitcnt lgkmcnt(3)
	v_fma_f64 v[3:4], -v[15:16], v[61:62], v[3:4]
	v_mov_b32_e32 v69, 0xd78
	v_fma_f64 v[39:40], -v[7:8], v[39:40], v[63:64]
	v_fma_f64 v[86:87], -v[23:24], v[67:68], v[57:58]
	v_mov_b32_e32 v57, 0xbb8
	ds_read_b128 v[61:64], v55 offset:2768
	ds_read2_b64 v[65:68], v65 offset1:1
	s_waitcnt lgkmcnt(3)
	v_fma_f64 v[43:44], -v[31:32], v[43:44], v[77:78]
	v_fma_f64 v[3:4], -v[17:18], v[59:60], v[3:4]
	ds_read2_b64 v[57:60], v57 offset1:1
	s_waitcnt lgkmcnt(3)
	v_fma_f64 v[51:52], -v[33:34], v[51:52], v[75:76]
	v_fma_f64 v[98:99], -v[33:34], v[41:42], v[43:44]
	s_waitcnt lgkmcnt(0)
	v_fma_f64 v[3:4], -v[19:20], v[59:60], v[3:4]
	v_fma_f64 v[84:85], -v[35:36], v[49:50], v[51:52]
	ds_read_b128 v[49:52], v55 offset:2784
	ds_read2_b64 v[69:72], v69 offset1:1
	ds_read_b128 v[73:76], v55 offset:3232
	ds_read_b128 v[80:83], v55 offset:3216
	s_waitcnt lgkmcnt(3)
	v_fma_f64 v[39:40], -v[9:10], v[51:52], v[39:40]
	s_waitcnt lgkmcnt(1)
	v_fma_f64 v[86:87], -v[25:26], v[75:76], v[86:87]
	v_mov_b32_e32 v51, 0xd68
	v_fma_f64 v[3:4], -v[21:22], v[57:58], v[3:4]
	v_fma_f64 v[47:48], -v[37:38], v[47:48], v[84:85]
	;; [unrolled: 1-line block ×3, first 2 shown]
	ds_read2_b64 v[49:52], v51 offset1:1
	ds_read_b128 v[57:60], v55 offset:3168
	ds_read2_b64 v[75:78], v56 offset1:32
	v_fma_f64 v[67:68], -v[23:24], v[67:68], v[3:4]
	v_fma_f64 v[39:40], -v[13:14], v[63:64], v[39:40]
	;; [unrolled: 1-line block ×3, first 2 shown]
	s_waitcnt lgkmcnt(0)
	v_fma_f64 v[73:74], -v[5:6], v[1:2], v[77:78]
	v_mov_b32_e32 v77, 0x9e8
	ds_read_b128 v[1:4], v55 offset:3184
	ds_read_b128 v[41:44], v55 offset:3200
	ds_read2_b64 v[84:87], v77 offset1:1
	v_fma_f64 v[90:91], -v[25:26], v[65:66], v[67:68]
	v_mov_b32_e32 v65, 0xb98
	v_fma_f64 v[39:40], -v[15:16], v[61:62], v[39:40]
	v_fma_f64 v[77:78], -v[29:30], v[82:83], v[63:64]
	s_waitcnt lgkmcnt(0)
	v_fma_f64 v[73:74], -v[7:8], v[86:87], v[73:74]
	ds_read_b128 v[61:64], v55 offset:2752
	ds_read2_b64 v[65:68], v65 offset1:1
	ds_read_b128 v[86:89], v55 offset:2736
	s_waitcnt lgkmcnt(2)
	v_fma_f64 v[39:40], -v[17:18], v[63:64], v[39:40]
	v_mov_b32_e32 v63, 0xb88
	v_fma_f64 v[73:74], -v[9:10], v[84:85], v[73:74]
	v_fma_f64 v[77:78], -v[31:32], v[80:81], v[77:78]
	ds_read2_b64 v[80:83], v63 offset1:1
	v_mov_b32_e32 v63, 0x9d8
	s_waitcnt lgkmcnt(2)
	v_fma_f64 v[67:68], -v[27:28], v[67:68], v[90:91]
	ds_read2_b64 v[90:93], v63 offset1:1
	v_mov_b32_e32 v84, 0x9c8
	v_fma_f64 v[39:40], -v[19:20], v[61:62], v[39:40]
	ds_read_b128 v[61:64], v55 offset:2288
	ds_read2_b64 v[94:97], v84 offset1:1
	v_fma_f64 v[77:78], -v[33:34], v[43:44], v[77:78]
	s_waitcnt lgkmcnt(2)
	v_fma_f64 v[84:85], -v[11:12], v[92:93], v[73:74]
	v_fma_f64 v[92:93], -v[35:36], v[71:72], v[98:99]
	s_waitcnt lgkmcnt(1)
	v_fma_f64 v[63:64], -v[5:6], v[63:64], v[75:76]
	v_fma_f64 v[65:66], -v[29:30], v[65:66], v[67:68]
	ds_read_b128 v[71:74], v55 offset:2272
	v_fma_f64 v[75:76], -v[21:22], v[88:89], v[39:40]
	v_mul_f64 v[39:40], v[45:46], v[47:48]
	v_fma_f64 v[41:42], -v[35:36], v[41:42], v[77:78]
	v_fma_f64 v[47:48], -v[13:14], v[90:91], v[84:85]
	;; [unrolled: 1-line block ×4, first 2 shown]
	ds_read_b128 v[61:64], v55 offset:2720
	v_fma_f64 v[77:78], -v[31:32], v[82:83], v[65:66]
	v_fma_f64 v[75:76], -v[23:24], v[86:87], v[75:76]
	ds_read2_b64 v[43:46], v79 offset0:192 offset1:224
	v_fma_f64 v[3:4], -v[37:38], v[3:4], v[41:42]
	s_waitcnt lgkmcnt(3)
	v_fma_f64 v[47:48], -v[15:16], v[96:97], v[47:48]
	v_fma_f64 v[51:52], -v[39:40], v[51:52], v[67:68]
	ds_read_b128 v[65:68], v55 offset:2704
	s_waitcnt lgkmcnt(3)
	v_fma_f64 v[69:70], -v[9:10], v[73:74], v[69:70]
	v_mov_b32_e32 v73, 0x9b8
	s_waitcnt lgkmcnt(2)
	v_fma_f64 v[63:64], -v[25:26], v[63:64], v[75:76]
	ds_read2_b64 v[73:76], v73 offset1:1
	v_fma_f64 v[41:42], -v[33:34], v[80:81], v[77:78]
	v_fma_f64 v[47:48], -v[17:18], v[94:95], v[47:48]
	v_mov_b32_e32 v86, 0xb78
	v_fma_f64 v[84:85], -v[11:12], v[71:72], v[69:70]
	v_mov_b32_e32 v69, 0x9a8
	v_fma_f64 v[88:89], -v[27:28], v[61:62], v[63:64]
	ds_read_b128 v[61:64], v55 offset:2256
	ds_read2_b64 v[69:72], v69 offset1:1
	s_waitcnt lgkmcnt(2)
	v_fma_f64 v[47:48], -v[19:20], v[75:76], v[47:48]
	ds_read_b128 v[75:78], v55 offset:2240
	ds_read2_b64 v[80:83], v55 offset0:191 offset1:255
	s_waitcnt lgkmcnt(3)
	v_fma_f64 v[63:64], -v[13:14], v[63:64], v[84:85]
	ds_read2_b64 v[84:87], v86 offset1:1
	v_fma_f64 v[67:68], -v[29:30], v[67:68], v[88:89]
	s_waitcnt lgkmcnt(1)
	v_fma_f64 v[82:83], -v[5:6], v[82:83], v[45:46]
	v_mov_b32_e32 v88, 0xb68
	v_fma_f64 v[73:74], -v[21:22], v[73:74], v[47:48]
	ds_read2_b64 v[45:48], v88 offset1:1
	ds_read2_b64 v[88:91], v55 offset0:253 offset1:254
	s_waitcnt lgkmcnt(2)
	v_fma_f64 v[86:87], -v[35:36], v[86:87], v[41:42]
	v_fma_f64 v[92:93], -v[15:16], v[61:62], v[63:64]
	v_mul_f64 v[41:42], v[49:50], v[51:52]
	v_fma_f64 v[94:95], -v[31:32], v[65:66], v[67:68]
	s_waitcnt lgkmcnt(0)
	v_fma_f64 v[82:83], -v[7:8], v[90:91], v[82:83]
	ds_read2_b64 v[61:64], v55 offset0:251 offset1:252
	v_fma_f64 v[71:72], -v[23:24], v[71:72], v[73:74]
	ds_read_b128 v[65:68], v55 offset:2688
	v_fma_f64 v[90:91], -v[39:40], v[1:2], v[3:4]
	v_fma_f64 v[49:50], -v[17:18], v[77:78], v[92:93]
	v_mov_b32_e32 v1, 0x998
	ds_read2_b64 v[1:4], v1 offset1:1
	v_fma_f64 v[73:74], -v[9:10], v[88:89], v[82:83]
	v_fma_f64 v[84:85], -v[37:38], v[84:85], v[86:87]
	;; [unrolled: 1-line block ×3, first 2 shown]
	s_waitcnt lgkmcnt(1)
	v_fma_f64 v[86:87], -v[33:34], v[67:68], v[94:95]
	v_fma_f64 v[88:89], -v[41:42], v[59:60], v[90:91]
	v_fma_f64 v[82:83], -v[19:20], v[75:76], v[49:50]
	v_mov_b32_e32 v49, 0x988
	ds_read2_b64 v[49:52], v49 offset1:1
	ds_read_b128 v[67:70], v55 offset:2224
	v_fma_f64 v[63:64], -v[11:12], v[63:64], v[73:74]
	v_fma_f64 v[47:48], -v[39:40], v[47:48], v[84:85]
	s_waitcnt lgkmcnt(2)
	v_fma_f64 v[3:4], -v[27:28], v[3:4], v[71:72]
	ds_read_b128 v[71:74], v55 offset:2672
	ds_read_b128 v[75:78], v55 offset:2208
	v_fma_f64 v[86:87], -v[35:36], v[65:66], v[86:87]
	s_waitcnt lgkmcnt(2)
	v_fma_f64 v[69:70], -v[21:22], v[69:70], v[82:83]
	v_fma_f64 v[82:83], -v[13:14], v[61:62], v[63:64]
	;; [unrolled: 1-line block ×3, first 2 shown]
	ds_read_b128 v[1:4], v55 offset:1776
	ds_read2_b64 v[59:62], v55 offset0:249 offset1:250
	s_waitcnt lgkmcnt(3)
	v_fma_f64 v[73:74], -v[37:38], v[73:74], v[86:87]
	v_fma_f64 v[92:93], -v[23:24], v[67:68], v[69:70]
	ds_read2_b64 v[63:66], v55 offset0:247 offset1:248
	ds_read_b128 v[67:70], v55 offset:1760
	s_waitcnt lgkmcnt(3)
	v_fma_f64 v[3:4], -v[5:6], v[3:4], v[43:44]
	s_waitcnt lgkmcnt(2)
	v_fma_f64 v[61:62], -v[15:16], v[61:62], v[82:83]
	v_mov_b32_e32 v43, 0xb58
	ds_read2_b64 v[82:85], v43 offset1:1
	v_fma_f64 v[51:52], -v[31:32], v[51:52], v[90:91]
	v_fma_f64 v[90:91], -v[41:42], v[45:46], v[47:48]
	;; [unrolled: 1-line block ×3, first 2 shown]
	ds_read_b128 v[45:48], v55 offset:2192
	v_mul_f64 v[43:44], v[57:58], v[88:89]
	v_fma_f64 v[57:58], -v[7:8], v[1:2], v[3:4]
	v_fma_f64 v[59:60], -v[17:18], v[59:60], v[61:62]
	v_fma_f64 v[92:93], -v[39:40], v[71:72], v[73:74]
	v_fma_f64 v[73:74], -v[33:34], v[49:50], v[51:52]
	v_mov_b32_e32 v49, 0x978
	v_fma_f64 v[61:62], -v[27:28], v[75:76], v[77:78]
	ds_read_b128 v[1:4], v55 offset:2656
	s_waitcnt lgkmcnt(3)
	v_fma_f64 v[75:76], -v[9:10], v[69:70], v[57:58]
	v_fma_f64 v[65:66], -v[19:20], v[65:66], v[59:60]
	ds_read2_b64 v[49:52], v49 offset1:1
	ds_read_b128 v[57:60], v55 offset:2176
	s_waitcnt lgkmcnt(2)
	v_fma_f64 v[3:4], -v[41:42], v[3:4], v[92:93]
	v_fma_f64 v[47:48], -v[29:30], v[47:48], v[61:62]
	v_mov_b32_e32 v61, 0x968
	ds_read2_b64 v[69:72], v61 offset1:1
	v_fma_f64 v[77:78], -v[11:12], v[67:68], v[75:76]
	v_fma_f64 v[94:95], -v[21:22], v[63:64], v[65:66]
	ds_read_b128 v[61:64], v55 offset:1744
	ds_read2_b64 v[65:68], v55 offset0:245 offset1:246
	s_waitcnt lgkmcnt(4)
	v_fma_f64 v[51:52], -v[35:36], v[51:52], v[73:74]
	ds_read2_b64 v[73:76], v55 offset0:243 offset1:244
	ds_read_b128 v[86:89], v55 offset:1728
	v_fma_f64 v[45:46], -v[31:32], v[45:46], v[47:48]
	s_waitcnt lgkmcnt(3)
	v_fma_f64 v[47:48], -v[13:14], v[63:64], v[77:78]
	s_waitcnt lgkmcnt(2)
	v_fma_f64 v[63:64], -v[23:24], v[67:68], v[94:95]
	v_fma_f64 v[67:68], -v[43:44], v[84:85], v[90:91]
	;; [unrolled: 1-line block ×3, first 2 shown]
	ds_read2_b64 v[49:52], v79 offset0:128 offset1:160
	v_fma_f64 v[59:60], -v[33:34], v[59:60], v[45:46]
	v_fma_f64 v[47:48], -v[15:16], v[61:62], v[47:48]
	v_fma_f64 v[61:62], -v[25:26], v[65:66], v[63:64]
	s_waitcnt lgkmcnt(0)
	v_fma_f64 v[51:52], -v[5:6], v[80:81], v[51:52]
	v_mul_f64 v[45:46], v[82:83], v[67:68]
	v_fma_f64 v[63:64], -v[43:44], v[1:2], v[3:4]
	ds_read_b128 v[1:4], v55 offset:2640
	v_fma_f64 v[71:72], -v[39:40], v[71:72], v[77:78]
	v_fma_f64 v[77:78], -v[35:36], v[57:58], v[59:60]
	;; [unrolled: 1-line block ×4, first 2 shown]
	ds_read2_b64 v[57:60], v55 offset0:189 offset1:190
	s_waitcnt lgkmcnt(1)
	v_fma_f64 v[3:4], -v[45:46], v[3:4], v[63:64]
	ds_read_b128 v[61:64], v55 offset:2144
	ds_read_b128 v[65:68], v55 offset:2160
	v_fma_f64 v[92:93], -v[41:42], v[69:70], v[71:72]
	s_waitcnt lgkmcnt(2)
	v_fma_f64 v[51:52], -v[7:8], v[59:60], v[51:52]
	v_fma_f64 v[47:48], -v[19:20], v[86:87], v[47:48]
	;; [unrolled: 1-line block ×3, first 2 shown]
	s_waitcnt lgkmcnt(0)
	v_fma_f64 v[88:89], -v[37:38], v[67:68], v[77:78]
	ds_read_b128 v[67:70], v55 offset:1712
	ds_read2_b64 v[71:74], v55 offset0:241 offset1:242
	ds_read2_b64 v[75:78], v55 offset0:239 offset1:240
	ds_read_b128 v[80:83], v55 offset:1696
	v_fma_f64 v[51:52], -v[9:10], v[57:58], v[51:52]
	s_waitcnt lgkmcnt(3)
	v_fma_f64 v[47:48], -v[21:22], v[69:70], v[47:48]
	s_waitcnt lgkmcnt(2)
	v_fma_f64 v[69:70], -v[31:32], v[73:74], v[59:60]
	ds_read2_b64 v[57:60], v55 offset0:187 offset1:188
	v_mov_b32_e32 v73, 0x958
	ds_read2_b64 v[84:87], v73 offset1:1
	v_fma_f64 v[73:74], -v[39:40], v[65:66], v[88:89]
	ds_read2_b64 v[88:91], v55 offset0:185 offset1:186
	s_waitcnt lgkmcnt(2)
	v_fma_f64 v[51:52], -v[11:12], v[59:60], v[51:52]
	v_fma_f64 v[47:48], -v[23:24], v[67:68], v[47:48]
	;; [unrolled: 1-line block ×3, first 2 shown]
	s_waitcnt lgkmcnt(1)
	v_fma_f64 v[69:70], -v[43:44], v[86:87], v[92:93]
	v_mov_b32_e32 v65, 0x948
	ds_read2_b64 v[65:68], v65 offset1:1
	v_fma_f64 v[63:64], -v[41:42], v[63:64], v[73:74]
	v_fma_f64 v[51:52], -v[13:14], v[57:58], v[51:52]
	;; [unrolled: 1-line block ×5, first 2 shown]
	v_mul_f64 v[47:48], v[1:2], v[3:4]
	ds_read_b128 v[1:4], v55 offset:2128
	v_fma_f64 v[96:97], -v[43:44], v[61:62], v[63:64]
	s_waitcnt lgkmcnt(2)
	v_fma_f64 v[51:52], -v[15:16], v[90:91], v[51:52]
	v_fma_f64 v[84:85], -v[27:28], v[80:81], v[57:58]
	;; [unrolled: 1-line block ×3, first 2 shown]
	ds_read_b128 v[57:60], v55 offset:1680
	ds_read2_b64 v[61:64], v55 offset0:237 offset1:238
	ds_read2_b64 v[69:72], v55 offset0:235 offset1:236
	ds_read_b128 v[73:76], v55 offset:1664
	ds_read_b128 v[80:83], v55 offset:1264
	s_waitcnt lgkmcnt(6)
	v_fma_f64 v[67:68], -v[47:48], v[67:68], v[77:78]
	s_waitcnt lgkmcnt(5)
	v_fma_f64 v[3:4], -v[45:46], v[3:4], v[96:97]
	v_fma_f64 v[51:52], -v[17:18], v[88:89], v[51:52]
	s_waitcnt lgkmcnt(4)
	v_fma_f64 v[59:60], -v[29:30], v[59:60], v[84:85]
	s_waitcnt lgkmcnt(0)
	v_fma_f64 v[49:50], -v[5:6], v[82:83], v[49:50]
	v_fma_f64 v[63:64], -v[39:40], v[63:64], v[92:93]
	ds_read2_b64 v[84:87], v55 offset0:183 offset1:184
	ds_read_b128 v[88:91], v55 offset:1248
	ds_read2_b64 v[92:95], v55 offset0:181 offset1:182
	s_waitcnt lgkmcnt(2)
	v_fma_f64 v[51:52], -v[19:20], v[86:87], v[51:52]
	v_fma_f64 v[77:78], -v[31:32], v[57:58], v[59:60]
	;; [unrolled: 1-line block ×4, first 2 shown]
	ds_read_b128 v[57:60], v55 offset:2112
	v_mul_f64 v[49:50], v[65:66], v[67:68]
	v_fma_f64 v[51:52], -v[21:22], v[84:85], v[51:52]
	v_fma_f64 v[75:76], -v[33:34], v[75:76], v[77:78]
	s_waitcnt lgkmcnt(2)
	v_fma_f64 v[80:81], -v[9:10], v[90:91], v[80:81]
	v_fma_f64 v[82:83], -v[43:44], v[71:72], v[61:62]
	;; [unrolled: 1-line block ×3, first 2 shown]
	ds_read_b128 v[1:4], v55 offset:1584
	ds_read2_b64 v[61:64], v79 offset0:64 offset1:96
	ds_read2_b64 v[65:68], v79 offset1:32
	s_waitcnt lgkmcnt(4)
	v_fma_f64 v[51:52], -v[23:24], v[94:95], v[51:52]
	v_fma_f64 v[84:85], -v[35:36], v[73:74], v[75:76]
	ds_read_b128 v[71:74], v55 offset:1648
	v_fma_f64 v[94:95], -v[11:12], v[88:89], v[80:81]
	v_fma_f64 v[104:105], -v[45:46], v[69:70], v[82:83]
	s_waitcnt lgkmcnt(4)
	v_fma_f64 v[59:60], -v[49:50], v[59:60], v[77:78]
	ds_read_b128 v[75:78], v55 offset:1632
	ds_read_b128 v[80:83], v55 offset:1232
	v_fma_f64 v[51:52], -v[25:26], v[92:93], v[51:52]
	s_waitcnt lgkmcnt(2)
	v_fma_f64 v[69:70], -v[37:38], v[73:74], v[84:85]
	ds_read2_b64 v[84:87], v55 offset0:179 offset1:180
	ds_read_b128 v[88:91], v55 offset:1216
	s_waitcnt lgkmcnt(2)
	v_fma_f64 v[73:74], -v[13:14], v[82:83], v[94:95]
	ds_read2_b64 v[92:95], v55 offset0:233 offset1:234
	ds_read2_b64 v[96:99], v55 offset0:63 offset1:127
	;; [unrolled: 1-line block ×3, first 2 shown]
	s_waitcnt lgkmcnt(2)
	v_fma_f64 v[94:95], -v[47:48], v[94:95], v[104:105]
	v_fma_f64 v[86:87], -v[27:28], v[86:87], v[51:52]
	;; [unrolled: 1-line block ×3, first 2 shown]
	s_waitcnt lgkmcnt(1)
	v_fma_f64 v[63:64], -v[5:6], v[98:99], v[63:64]
	v_fma_f64 v[73:74], -v[15:16], v[80:81], v[73:74]
	ds_read2_b64 v[80:83], v55 offset0:125 offset1:126
	v_mul_f64 v[51:52], v[57:58], v[59:60]
	ds_read2_b64 v[57:60], v55 offset0:123 offset1:124
	ds_read2_b64 v[69:72], v55 offset0:231 offset1:232
	v_fma_f64 v[86:87], -v[29:30], v[84:85], v[86:87]
	v_fma_f64 v[77:78], -v[41:42], v[77:78], v[106:107]
	s_waitcnt lgkmcnt(2)
	v_fma_f64 v[63:64], -v[7:8], v[82:83], v[63:64]
	v_fma_f64 v[98:99], -v[17:18], v[90:91], v[73:74]
	;; [unrolled: 1-line block ×3, first 2 shown]
	ds_read_b128 v[82:85], v55 offset:1600
	ds_read_b128 v[90:93], v55 offset:1616
	v_fma_f64 v[67:68], -v[5:6], v[96:97], v[67:68]
	v_fma_f64 v[106:107], -v[31:32], v[102:103], v[86:87]
	;; [unrolled: 1-line block ×3, first 2 shown]
	ds_read_b128 v[73:76], v55 offset:752
	v_fma_f64 v[80:81], -v[9:10], v[80:81], v[63:64]
	v_fma_f64 v[98:99], -v[19:20], v[88:89], v[98:99]
	ds_read_b128 v[86:89], v55 offset:1200
	ds_read_b128 v[102:105], v55 offset:736
	s_waitcnt lgkmcnt(5)
	v_fma_f64 v[112:113], -v[51:52], v[71:72], v[94:95]
	s_waitcnt lgkmcnt(2)
	v_fma_f64 v[110:111], -v[5:6], v[75:76], v[61:62]
	v_fma_f64 v[100:101], -v[33:34], v[100:101], v[106:107]
	;; [unrolled: 1-line block ×3, first 2 shown]
	ds_read2_b64 v[61:64], v55 offset0:175 offset1:176
	ds_read_b128 v[75:78], v55 offset:1184
	v_fma_f64 v[59:60], -v[11:12], v[59:60], v[80:81]
	s_waitcnt lgkmcnt(3)
	v_fma_f64 v[80:81], -v[21:22], v[88:89], v[98:99]
	v_fma_f64 v[92:93], -v[7:8], v[73:74], v[110:111]
	s_waitcnt lgkmcnt(1)
	v_fma_f64 v[63:64], -v[35:36], v[63:64], v[100:101]
	ds_read2_b64 v[71:74], v55 offset0:173 offset1:174
	v_fma_f64 v[100:101], -v[13:14], v[57:58], v[59:60]
	v_fma_f64 v[80:81], -v[23:24], v[86:87], v[80:81]
	ds_read2_b64 v[57:60], v55 offset0:61 offset1:62
	ds_read2_b64 v[86:89], v55 offset0:121 offset1:122
	v_fma_f64 v[110:111], -v[9:10], v[104:105], v[92:93]
	ds_read_b128 v[92:95], v55 offset:240
	ds_read2_b64 v[96:99], v55 offset0:119 offset1:120
	s_waitcnt lgkmcnt(3)
	v_fma_f64 v[67:68], -v[7:8], v[59:60], v[67:68]
	ds_read_b128 v[104:107], v55 offset:224
	s_waitcnt lgkmcnt(3)
	v_fma_f64 v[88:89], -v[15:16], v[88:89], v[100:101]
	s_waitcnt lgkmcnt(2)
	v_fma_f64 v[94:95], -v[5:6], v[94:95], v[65:66]
	v_fma_f64 v[100:101], -v[37:38], v[61:62], v[63:64]
	ds_read_b128 v[59:62], v55 offset:720
	v_fma_f64 v[102:103], -v[11:12], v[102:103], v[110:111]
	v_fma_f64 v[77:78], -v[25:26], v[77:78], v[80:81]
	;; [unrolled: 1-line block ×3, first 2 shown]
	ds_read2_b64 v[63:66], v55 offset0:59 offset1:60
	v_fma_f64 v[80:81], -v[17:18], v[86:87], v[88:89]
	v_fma_f64 v[92:93], -v[7:8], v[92:93], v[94:95]
	ds_read_b128 v[86:89], v55 offset:704
	v_fma_f64 v[73:74], -v[39:40], v[73:74], v[100:101]
	s_waitcnt lgkmcnt(2)
	v_fma_f64 v[61:62], -v[13:14], v[61:62], v[102:103]
	v_fma_f64 v[94:95], -v[27:28], v[75:76], v[77:78]
	s_waitcnt lgkmcnt(1)
	v_fma_f64 v[102:103], -v[11:12], v[65:66], v[57:58]
	ds_read_b128 v[65:68], v55 offset:1168
	v_fma_f64 v[80:81], -v[19:20], v[98:99], v[80:81]
	v_fma_f64 v[92:93], -v[9:10], v[106:107], v[92:93]
	;; [unrolled: 1-line block ×3, first 2 shown]
	ds_read2_b64 v[75:78], v55 offset0:57 offset1:58
	v_fma_f64 v[61:62], -v[15:16], v[59:60], v[61:62]
	ds_read_b128 v[57:60], v55 offset:1152
	s_waitcnt lgkmcnt(2)
	v_fma_f64 v[67:68], -v[29:30], v[67:68], v[94:95]
	v_fma_f64 v[94:95], -v[13:14], v[63:64], v[102:103]
	;; [unrolled: 1-line block ×7, first 2 shown]
	ds_read_b128 v[61:64], v55 offset:208
	v_fma_f64 v[96:97], -v[31:32], v[65:66], v[67:68]
	ds_read2_b64 v[65:68], v55 offset0:117 offset1:118
	ds_read_b128 v[71:74], v55 offset:192
	s_waitcnt lgkmcnt(4)
	v_fma_f64 v[77:78], -v[15:16], v[77:78], v[94:95]
	s_waitcnt lgkmcnt(2)
	v_fma_f64 v[63:64], -v[13:14], v[63:64], v[90:91]
	;; [unrolled: 2-line block ×3, first 2 shown]
	v_fma_f64 v[86:87], -v[19:20], v[86:87], v[92:93]
	ds_read_b128 v[92:95], v55 offset:688
	v_fma_f64 v[102:103], -v[33:34], v[59:60], v[96:97]
	ds_read2_b64 v[88:91], v55 offset0:115 offset1:116
	v_fma_f64 v[80:81], -v[17:18], v[75:76], v[77:78]
	ds_read2_b64 v[75:78], v55 offset0:55 offset1:56
	v_fma_f64 v[104:105], -v[15:16], v[61:62], v[63:64]
	ds_read_b128 v[59:62], v55 offset:672
	s_waitcnt lgkmcnt(3)
	v_fma_f64 v[86:87], -v[21:22], v[94:95], v[86:87]
	v_fma_f64 v[67:68], -v[25:26], v[65:66], v[67:68]
	ds_read2_b64 v[63:66], v55 offset0:53 offset1:54
	v_fma_f64 v[57:58], -v[35:36], v[57:58], v[102:103]
	s_waitcnt lgkmcnt(2)
	v_fma_f64 v[77:78], -v[19:20], v[77:78], v[80:81]
	ds_read2_b64 v[94:97], v55 offset0:171 offset1:172
	ds_read2_b64 v[98:101], v55 offset0:169 offset1:170
	v_fma_f64 v[80:81], -v[17:18], v[73:74], v[104:105]
	ds_read_b128 v[102:105], v55 offset:1136
	v_fma_f64 v[86:87], -v[23:24], v[92:93], v[86:87]
	v_fma_f64 v[67:68], -v[27:28], v[90:91], v[67:68]
	ds_read_b128 v[90:93], v55 offset:176
	s_waitcnt lgkmcnt(3)
	v_fma_f64 v[96:97], -v[43:44], v[96:97], v[108:109]
	v_fma_f64 v[77:78], -v[21:22], v[75:76], v[77:78]
	s_waitcnt lgkmcnt(1)
	v_fma_f64 v[57:58], -v[37:38], v[104:105], v[57:58]
	v_fma_f64 v[71:72], -v[19:20], v[71:72], v[80:81]
	ds_read_b128 v[73:76], v55 offset:1120
	v_fma_f64 v[61:62], -v[25:26], v[61:62], v[86:87]
	v_fma_f64 v[80:81], -v[29:30], v[88:89], v[67:68]
	ds_read2_b64 v[86:89], v55 offset0:113 offset1:114
	v_fma_f64 v[77:78], -v[23:24], v[65:66], v[77:78]
	ds_read_b128 v[65:68], v55 offset:160
	s_waitcnt lgkmcnt(3)
	v_fma_f64 v[71:72], -v[21:22], v[92:93], v[71:72]
	v_fma_f64 v[92:93], -v[39:40], v[102:103], v[57:58]
	;; [unrolled: 1-line block ×3, first 2 shown]
	ds_read2_b64 v[57:60], v55 offset0:111 offset1:112
	s_waitcnt lgkmcnt(2)
	v_fma_f64 v[80:81], -v[31:32], v[88:89], v[80:81]
	ds_read_b128 v[102:105], v55 offset:656
	v_fma_f64 v[77:78], -v[25:26], v[63:64], v[77:78]
	ds_read_b128 v[61:64], v55 offset:640
	v_fma_f64 v[71:72], -v[23:24], v[90:91], v[71:72]
	ds_read2_b64 v[88:91], v55 offset0:51 offset1:52
	s_waitcnt lgkmcnt(2)
	v_fma_f64 v[104:105], -v[29:30], v[104:105], v[108:109]
	v_fma_f64 v[80:81], -v[33:34], v[86:87], v[80:81]
	ds_read2_b64 v[84:87], v55 offset0:49 offset1:50
	s_waitcnt lgkmcnt(1)
	v_fma_f64 v[77:78], -v[27:28], v[90:91], v[77:78]
	v_fma_f64 v[90:91], -v[45:46], v[94:95], v[96:97]
	;; [unrolled: 1-line block ×3, first 2 shown]
	v_mul_f64 v[96:97], v[69:70], v[112:113]
	v_fma_f64 v[59:60], -v[35:36], v[59:60], v[80:81]
	v_fma_f64 v[69:70], -v[29:30], v[88:89], v[77:78]
	;; [unrolled: 1-line block ×5, first 2 shown]
	ds_read2_b64 v[57:60], v55 offset0:109 offset1:110
	v_fma_f64 v[71:72], -v[41:42], v[75:76], v[92:93]
	v_fma_f64 v[75:76], -v[31:32], v[102:103], v[104:105]
	s_waitcnt lgkmcnt(1)
	v_fma_f64 v[86:87], -v[31:32], v[86:87], v[69:70]
	ds_read_b128 v[67:70], v55 offset:128
	v_fma_f64 v[102:103], -v[51:52], v[82:83], v[106:107]
	v_fma_f64 v[98:99], -v[49:50], v[98:99], v[88:89]
	s_waitcnt lgkmcnt(1)
	v_fma_f64 v[104:105], -v[39:40], v[59:60], v[90:91]
	v_fma_f64 v[100:101], -v[43:44], v[73:74], v[71:72]
	v_fma_f64 v[80:81], -v[33:34], v[63:64], v[75:76]
	ds_read_b128 v[63:66], v55 offset:144
	v_fma_f64 v[106:107], -v[33:34], v[84:85], v[86:87]
	v_fma_f64 v[3:4], -v[96:97], v[3:4], v[102:103]
	s_waitcnt lgkmcnt(0)
	v_fma_f64 v[65:66], -v[29:30], v[65:66], v[77:78]
	ds_read_b128 v[71:74], v55 offset:1088
	ds_read_b128 v[75:78], v55 offset:1104
	v_fma_f64 v[92:93], -v[35:36], v[61:62], v[80:81]
	ds_read2_b64 v[80:83], v55 offset0:107 offset1:108
	ds_read_b128 v[59:62], v55 offset:624
	ds_read_b128 v[84:87], v55 offset:608
	s_waitcnt lgkmcnt(3)
	v_fma_f64 v[77:78], -v[45:46], v[77:78], v[100:101]
	v_fma_f64 v[100:101], -v[41:42], v[57:58], v[104:105]
	;; [unrolled: 1-line block ×3, first 2 shown]
	ds_read2_b64 v[63:66], v55 offset0:47 offset1:48
	s_waitcnt lgkmcnt(2)
	v_fma_f64 v[61:62], -v[37:38], v[61:62], v[92:93]
	ds_read2_b64 v[88:91], v55 offset0:167 offset1:168
	ds_read2_b64 v[92:95], v55 offset0:45 offset1:46
	s_waitcnt lgkmcnt(2)
	v_fma_f64 v[65:66], -v[35:36], v[65:66], v[106:107]
	v_fma_f64 v[75:76], -v[47:48], v[75:76], v[77:78]
	;; [unrolled: 1-line block ×3, first 2 shown]
	s_waitcnt lgkmcnt(1)
	v_fma_f64 v[90:91], -v[51:52], v[90:91], v[98:99]
	v_fma_f64 v[61:62], -v[39:40], v[59:60], v[61:62]
	v_mul_f64 v[98:99], v[1:2], v[3:4]
	ds_read_b128 v[1:4], v55 offset:96
	ds_read2_b64 v[57:60], v55 offset0:165 offset1:166
	v_fma_f64 v[65:66], -v[37:38], v[63:64], v[65:66]
	v_fma_f64 v[67:68], -v[35:36], v[67:68], v[69:70]
	;; [unrolled: 1-line block ×4, first 2 shown]
	ds_read_b128 v[61:64], v55 offset:112
	v_fma_f64 v[88:89], -v[96:97], v[88:89], v[90:91]
	v_fma_f64 v[90:91], -v[49:50], v[73:74], v[75:76]
	s_waitcnt lgkmcnt(3)
	v_fma_f64 v[82:83], -v[39:40], v[94:95], v[65:66]
	s_waitcnt lgkmcnt(0)
	v_fma_f64 v[86:87], -v[37:38], v[63:64], v[67:68]
	v_fma_f64 v[94:95], -v[45:46], v[80:81], v[69:70]
	ds_read2_b64 v[63:66], v55 offset0:105 offset1:106
	ds_read2_b64 v[67:70], v55 offset0:103 offset1:104
	v_fma_f64 v[77:78], -v[43:44], v[84:85], v[77:78]
	ds_read_b128 v[73:76], v55 offset:592
	v_fma_f64 v[71:72], -v[51:52], v[71:72], v[90:91]
	v_fma_f64 v[92:93], -v[41:42], v[92:93], v[82:83]
	ds_read2_b64 v[80:83], v55 offset0:43 offset1:44
	v_fma_f64 v[61:62], -v[39:40], v[61:62], v[86:87]
	s_waitcnt lgkmcnt(3)
	v_fma_f64 v[65:66], -v[47:48], v[65:66], v[94:95]
	ds_read_b128 v[84:87], v55 offset:576
	v_fma_f64 v[3:4], -v[41:42], v[3:4], v[61:62]
	v_fma_f64 v[63:64], -v[49:50], v[63:64], v[65:66]
	;; [unrolled: 1-line block ×3, first 2 shown]
	ds_read_b128 v[59:62], v55 offset:1072
	s_waitcnt lgkmcnt(3)
	v_fma_f64 v[94:95], -v[45:46], v[75:76], v[77:78]
	ds_read2_b64 v[75:78], v55 offset0:41 offset1:42
	s_waitcnt lgkmcnt(3)
	v_fma_f64 v[82:83], -v[43:44], v[82:83], v[92:93]
	s_waitcnt lgkmcnt(1)
	v_fma_f64 v[71:72], -v[96:97], v[61:62], v[71:72]
	v_fma_f64 v[69:70], -v[51:52], v[69:70], v[63:64]
	ds_read_b128 v[61:64], v55 offset:64
	v_mul_f64 v[88:89], v[57:58], v[65:66]
	v_fma_f64 v[73:74], -v[47:48], v[73:74], v[94:95]
	v_fma_f64 v[80:81], -v[45:46], v[80:81], v[82:83]
	;; [unrolled: 1-line block ×3, first 2 shown]
	ds_read_b128 v[1:4], v55 offset:80
	s_waitcnt lgkmcnt(2)
	v_fma_f64 v[77:78], -v[47:48], v[77:78], v[80:81]
	s_waitcnt lgkmcnt(0)
	v_fma_f64 v[3:4], -v[45:46], v[3:4], v[82:83]
	v_fma_f64 v[80:81], -v[98:99], v[59:60], v[71:72]
	;; [unrolled: 1-line block ×3, first 2 shown]
	ds_read_b128 v[69:72], v55 offset:560
	v_fma_f64 v[73:74], -v[49:50], v[86:87], v[73:74]
	ds_read_b128 v[57:60], v55 offset:1056
	ds_read2_b64 v[65:68], v55 offset0:101 offset1:102
	v_fma_f64 v[77:78], -v[49:50], v[75:76], v[77:78]
	v_fma_f64 v[86:87], -v[47:48], v[1:2], v[3:4]
	s_waitcnt lgkmcnt(1)
	v_fma_f64 v[59:60], -v[88:89], v[59:60], v[80:81]
	s_waitcnt lgkmcnt(0)
	v_fma_f64 v[67:68], -v[98:99], v[67:68], v[82:83]
	v_fma_f64 v[84:85], -v[51:52], v[84:85], v[73:74]
	ds_read2_b64 v[1:4], v55 offset0:39 offset1:40
	ds_read2_b64 v[73:76], v55 offset0:99 offset1:100
	;; [unrolled: 1-line block ×3, first 2 shown]
	v_fma_f64 v[63:64], -v[49:50], v[63:64], v[86:87]
	s_waitcnt lgkmcnt(2)
	v_fma_f64 v[3:4], -v[51:52], v[3:4], v[77:78]
	v_mul_f64 v[77:78], v[57:58], v[59:60]
	v_fma_f64 v[65:66], -v[88:89], v[65:66], v[67:68]
	v_fma_f64 v[71:72], -v[96:97], v[71:72], v[84:85]
	ds_read_b128 v[57:60], v55 offset:544
	v_fma_f64 v[61:62], -v[51:52], v[61:62], v[63:64]
	s_waitcnt lgkmcnt(2)
	v_fma_f64 v[63:64], -v[77:78], v[75:76], v[65:66]
	v_fma_f64 v[67:68], -v[98:99], v[69:70], v[71:72]
	;; [unrolled: 1-line block ×3, first 2 shown]
	ds_read_b128 v[1:4], v55 offset:48
	s_waitcnt lgkmcnt(0)
	v_fma_f64 v[3:4], -v[96:97], v[3:4], v[61:62]
	v_fma_f64 v[59:60], -v[88:89], v[59:60], v[67:68]
	;; [unrolled: 1-line block ×3, first 2 shown]
	v_mul_f64 v[69:70], v[73:74], v[63:64]
	v_fma_f64 v[73:74], -v[98:99], v[1:2], v[3:4]
	v_fma_f64 v[67:68], -v[77:78], v[57:58], v[59:60]
	ds_read_b128 v[57:60], v55 offset:528
	v_fma_f64 v[71:72], -v[88:89], v[80:81], v[65:66]
	ds_read2_b64 v[1:4], v55 offset0:35 offset1:36
	ds_read_b128 v[61:64], v55 offset:32
	ds_write2_b64 v53, v[7:8], v[5:6] offset0:192 offset1:224
	s_waitcnt lgkmcnt(1)
	v_fma_f64 v[63:64], -v[88:89], v[63:64], v[73:74]
	v_fma_f64 v[59:60], -v[69:70], v[59:60], v[67:68]
	;; [unrolled: 1-line block ×3, first 2 shown]
	ds_read2_b64 v[65:68], v55 offset0:33 offset1:34
	v_fma_f64 v[61:62], -v[77:78], v[61:62], v[63:64]
	v_mul_f64 v[57:58], v[57:58], v[59:60]
	v_fma_f64 v[59:60], -v[69:70], v[1:2], v[3:4]
	ds_read_b128 v[1:4], v55 offset:16
	s_waitcnt lgkmcnt(0)
	v_fma_f64 v[3:4], -v[69:70], v[3:4], v[61:62]
	v_fma_f64 v[61:62], -v[57:58], v[1:2], v[3:4]
	ds_read_b128 v[1:4], v55
	v_fma_f64 v[59:60], -v[57:58], v[67:68], v[59:60]
	ds_write2_b64 v53, v[11:12], v[9:10] offset0:128 offset1:160
	ds_write2_b64 v53, v[15:16], v[13:14] offset0:64 offset1:96
	ds_write2_b64 v53, v[19:20], v[17:18] offset1:32
	ds_write2_b64 v54, v[23:24], v[21:22] offset0:192 offset1:224
	ds_write2_b64 v54, v[27:28], v[25:26] offset0:128 offset1:160
	;; [unrolled: 1-line block ×3, first 2 shown]
	ds_write2_b64 v54, v[35:36], v[33:34] offset1:32
	v_mul_f64 v[59:60], v[65:66], v[59:60]
	s_waitcnt lgkmcnt(7)
	v_fma_f64 v[3:4], -v[59:60], v[3:4], v[61:62]
	v_mul_f64 v[1:2], v[1:2], v[3:4]
	ds_write2_b64 v56, v[39:40], v[37:38] offset0:192 offset1:224
	ds_write2_b64 v56, v[43:44], v[41:42] offset0:128 offset1:160
	;; [unrolled: 1-line block ×3, first 2 shown]
	ds_write2_b64 v56, v[51:52], v[49:50] offset1:32
	ds_write2_b64 v79, v[98:99], v[96:97] offset0:192 offset1:224
	ds_write2_b64 v79, v[77:78], v[88:89] offset0:128 offset1:160
	;; [unrolled: 1-line block ×3, first 2 shown]
	ds_write2_b64 v79, v[1:2], v[59:60] offset1:32
.LBB104_12:
	s_cmp_gt_i32 s5, -1
	s_cbranch_scc0 .LBB104_35
; %bb.13:
	s_cmp_lt_u32 s5, 27
	s_cbranch_scc1 .LBB104_18
; %bb.14:
	s_lshl_b32 s8, s5, 8
	v_add_u32_e32 v57, s8, v79
	v_add_u32_e32 v1, 0xffffff00, v57
	v_add_u32_e32 v2, 0xfffffe00, v57
	v_add_u32_e32 v3, 0xfffffd00, v57
	ds_read_b64 v[7:8], v57
	ds_read_b64 v[55:56], v1
	ds_read_b64 v[5:6], v2
	ds_read_b64 v[11:12], v3
	v_add_u32_e32 v1, 0xfffffc00, v57
	v_add_u32_e32 v2, 0xfffffb00, v57
	v_add_u32_e32 v3, 0xfffffa00, v57
	v_add_u32_e32 v4, 0xfffff900, v57
	ds_read_b64 v[9:10], v1
	ds_read_b64 v[53:54], v2
	ds_read_b64 v[13:14], v3
	ds_read_b64 v[17:18], v4
	;; [unrolled: 8-line block ×7, first 2 shown]
	s_cmp_le_i32 s4, s5
	s_cbranch_scc1 .LBB104_17
; %bb.15:
	v_lshlrev_b32_e32 v58, 3, v0
	s_lshl_b32 s11, s22, 3
	v_lshl_or_b32 v58, s22, 8, v58
	s_add_i32 s8, s8, s11
	v_add_u32_e32 v58, 0x1f00, v58
	s_addk_i32 s8, 0xe4f8
	s_mov_b32 s11, s4
.LBB104_16:                             ; =>This Inner Loop Header: Depth=1
	v_mov_b32_e32 v71, s8
	v_add_u32_e32 v80, 0x1800, v71
	v_add_u32_e32 v96, 0x1000, v71
	;; [unrolled: 1-line block ×3, first 2 shown]
	ds_read_b64 v[116:117], v58
	ds_read2_b64 v[59:62], v71 offset0:192 offset1:224
	ds_read2_b64 v[63:66], v71 offset0:128 offset1:160
	;; [unrolled: 1-line block ×3, first 2 shown]
	ds_read2_b64 v[71:74], v71 offset1:32
	ds_read2_b64 v[75:78], v80 offset0:64 offset1:96
	ds_read2_b64 v[80:83], v80 offset1:32
	ds_read2_b64 v[84:87], v96 offset0:192 offset1:224
	ds_read2_b64 v[88:91], v96 offset0:128 offset1:160
	;; [unrolled: 1-line block ×3, first 2 shown]
	ds_read2_b64 v[96:99], v96 offset1:32
	ds_read2_b64 v[100:103], v112 offset0:192 offset1:224
	ds_read2_b64 v[104:107], v112 offset0:128 offset1:160
	;; [unrolled: 1-line block ×3, first 2 shown]
	ds_read2_b64 v[112:115], v112 offset1:32
	s_add_i32 s11, s11, -1
	s_add_i32 s8, s8, -8
	s_cmp_gt_i32 s11, s5
	s_waitcnt lgkmcnt(13)
	v_fma_f64 v[43:44], -v[116:117], v[61:62], v[43:44]
	v_fma_f64 v[37:38], -v[116:117], v[59:60], v[37:38]
	s_waitcnt lgkmcnt(12)
	v_fma_f64 v[35:36], -v[116:117], v[65:66], v[35:36]
	v_fma_f64 v[29:30], -v[116:117], v[63:64], v[29:30]
	;; [unrolled: 3-line block ×14, first 2 shown]
	v_add_u32_e32 v58, 0xffffff00, v58
	s_cbranch_scc1 .LBB104_16
.LBB104_17:
	s_mul_i32 s8, s5, 0x108
	v_mov_b32_e32 v58, s8
	ds_read_b64 v[62:63], v58
	s_add_i32 s8, s5, -1
	s_lshl_b32 s13, s8, 8
	s_lshl_b32 s8, s8, 3
	s_add_i32 s8, s13, s8
	s_waitcnt lgkmcnt(0)
	v_mul_f64 v[7:8], v[62:63], v[7:8]
	v_mov_b32_e32 v58, s8
	ds_read2_b64 v[58:61], v58 offset1:1
	s_add_i32 s8, s5, -2
	s_lshl_b32 s17, s5, 3
	s_lshl_b32 s11, s8, 8
	s_add_i32 s12, s11, s17
	s_add_i32 s14, s5, -3
	s_waitcnt lgkmcnt(0)
	v_fma_f64 v[55:56], -v[7:8], v[60:61], v[55:56]
	v_mov_b32_e32 v60, s12
	ds_read_b64 v[64:65], v60
	s_lshl_b32 s8, s8, 3
	s_add_i32 s8, s11, s8
	s_lshl_b32 s12, s14, 8
	v_mov_b32_e32 v60, s8
	s_waitcnt lgkmcnt(0)
	v_fma_f64 v[72:73], -v[7:8], v[64:65], v[5:6]
	v_mul_f64 v[5:6], v[58:59], v[55:56]
	s_add_i32 s8, s12, s17
	s_add_i32 s8, s8, -8
	v_mov_b32_e32 v55, s8
	ds_read2_b64 v[60:63], v60 offset1:1
	ds_read2_b64 v[64:67], v55 offset1:1
	s_lshl_b32 s8, s14, 3
	s_add_i32 s8, s12, s8
	s_add_i32 s15, s5, -4
	v_mov_b32_e32 v55, s8
	s_lshl_b32 s8, s15, 8
	s_add_i32 s14, s8, s17
	v_mov_b32_e32 v58, s14
	ds_read2_b64 v[68:71], v55 offset1:1
	ds_read_b64 v[58:59], v58
	s_waitcnt lgkmcnt(2)
	v_fma_f64 v[11:12], -v[7:8], v[66:67], v[11:12]
	v_fma_f64 v[55:56], -v[5:6], v[62:63], v[72:73]
	s_add_i32 s14, s14, -16
	v_mov_b32_e32 v62, s14
	s_waitcnt lgkmcnt(0)
	v_fma_f64 v[58:59], -v[7:8], v[58:59], v[9:10]
	s_add_i32 s16, s5, -5
	s_lshl_b32 s14, s16, 8
	s_add_i32 s18, s14, s17
	v_fma_f64 v[11:12], -v[5:6], v[64:65], v[11:12]
	v_mul_f64 v[9:10], v[60:61], v[55:56]
	ds_read2_b64 v[62:65], v62 offset1:1
	s_add_i32 s19, s18, -8
	s_lshl_b32 s15, s15, 3
	s_add_i32 s15, s8, s15
	s_add_i32 s20, s5, -7
	s_waitcnt lgkmcnt(0)
	v_fma_f64 v[55:56], -v[5:6], v[64:65], v[58:59]
	v_mov_b32_e32 v58, s19
	v_fma_f64 v[11:12], -v[9:10], v[70:71], v[11:12]
	ds_read2_b64 v[58:61], v58 offset1:1
	s_add_i32 s25, s5, -9
	s_waitcnt lgkmcnt(0)
	v_fma_f64 v[60:61], -v[7:8], v[60:61], v[53:54]
	v_fma_f64 v[62:63], -v[9:10], v[62:63], v[55:56]
	v_mul_f64 v[11:12], v[68:69], v[11:12]
	v_mov_b32_e32 v53, s15
	ds_read2_b64 v[53:56], v53 offset1:1
	s_sub_i32 s15, s18, 24
	s_add_i32 s18, s5, -6
	v_fma_f64 v[66:67], -v[5:6], v[58:59], v[60:61]
	v_mov_b32_e32 v58, s15
	s_lshl_b32 s15, s16, 3
	s_add_i32 s15, s14, s15
	s_waitcnt lgkmcnt(0)
	v_fma_f64 v[55:56], -v[11:12], v[55:56], v[62:63]
	v_mov_b32_e32 v62, s15
	s_lshl_b32 s15, s18, 8
	s_add_i32 s19, s15, s17
	v_mov_b32_e32 v68, s19
	ds_read2_b64 v[58:61], v58 offset1:1
	ds_read2_b64 v[62:65], v62 offset1:1
	ds_read_b64 v[70:71], v68
	s_add_i32 s16, s19, -16
	s_sub_i32 s19, s19, 32
	s_waitcnt lgkmcnt(2)
	v_fma_f64 v[60:61], -v[9:10], v[60:61], v[66:67]
	v_mov_b32_e32 v66, s16
	s_waitcnt lgkmcnt(0)
	v_fma_f64 v[70:71], -v[7:8], v[70:71], v[13:14]
	ds_read2_b64 v[66:69], v66 offset1:1
	v_mul_f64 v[13:14], v[53:54], v[55:56]
	s_lshl_b32 s16, s20, 8
	s_add_i32 s21, s16, s17
	s_add_i32 s23, s21, -8
	v_fma_f64 v[53:54], -v[11:12], v[58:59], v[60:61]
	s_lshl_b32 s18, s18, 3
	s_waitcnt lgkmcnt(0)
	v_fma_f64 v[55:56], -v[5:6], v[68:69], v[70:71]
	s_add_i32 s18, s15, s18
	v_fma_f64 v[72:73], -v[13:14], v[64:65], v[53:54]
	v_mov_b32_e32 v53, s23
	v_fma_f64 v[74:75], -v[9:10], v[66:67], v[55:56]
	ds_read2_b64 v[53:56], v53 offset1:1
	s_sub_i32 s23, s21, 24
	v_mov_b32_e32 v58, s23
	ds_read2_b64 v[58:61], v58 offset1:1
	s_add_i32 s23, s5, -8
	s_waitcnt lgkmcnt(1)
	v_fma_f64 v[17:18], -v[7:8], v[55:56], v[17:18]
	v_mov_b32_e32 v55, s19
	ds_read2_b64 v[64:67], v55 offset1:1
	v_mov_b32_e32 v55, s18
	ds_read2_b64 v[68:71], v55 offset1:1
	s_lshl_b32 s18, s23, 8
	s_add_i32 s24, s18, s17
	s_waitcnt lgkmcnt(1)
	v_fma_f64 v[55:56], -v[11:12], v[66:67], v[74:75]
	v_fma_f64 v[53:54], -v[5:6], v[53:54], v[17:18]
	v_mul_f64 v[17:18], v[62:63], v[72:73]
	s_sub_i32 s19, s21, 40
	s_add_i32 s21, s24, -16
	s_lshl_b32 s23, s23, 3
	s_add_i32 s23, s18, s23
	v_fma_f64 v[55:56], -v[13:14], v[64:65], v[55:56]
	v_fma_f64 v[53:54], -v[9:10], v[60:61], v[53:54]
	s_waitcnt lgkmcnt(0)
	v_fma_f64 v[66:67], -v[17:18], v[70:71], v[55:56]
	v_fma_f64 v[70:71], -v[11:12], v[58:59], v[53:54]
	v_mov_b32_e32 v53, s24
	ds_read_b64 v[58:59], v53
	v_mov_b32_e32 v53, s21
	ds_read2_b64 v[53:56], v53 offset1:1
	s_waitcnt lgkmcnt(1)
	v_fma_f64 v[19:20], -v[7:8], v[58:59], v[19:20]
	v_mov_b32_e32 v58, s19
	ds_read2_b64 v[58:61], v58 offset1:1
	s_lshl_b32 s19, s20, 3
	s_add_i32 s19, s16, s19
	v_mov_b32_e32 v62, s19
	s_sub_i32 s19, s24, 32
	s_waitcnt lgkmcnt(0)
	v_fma_f64 v[60:61], -v[13:14], v[60:61], v[70:71]
	v_fma_f64 v[55:56], -v[5:6], v[55:56], v[19:20]
	v_mul_f64 v[19:20], v[68:69], v[66:67]
	ds_read2_b64 v[62:65], v62 offset1:1
	v_fma_f64 v[70:71], -v[17:18], v[58:59], v[60:61]
	v_fma_f64 v[72:73], -v[9:10], v[53:54], v[55:56]
	v_mov_b32_e32 v53, s19
	s_lshl_b32 s19, s25, 8
	s_add_i32 s21, s19, s17
	s_add_i32 s20, s21, -8
	v_mov_b32_e32 v58, s20
	ds_read2_b64 v[53:56], v53 offset1:1
	ds_read2_b64 v[58:61], v58 offset1:1
	s_sub_i32 s20, s24, 48
	v_mov_b32_e32 v66, s20
	s_sub_i32 s20, s21, 24
	s_waitcnt lgkmcnt(1)
	v_fma_f64 v[55:56], -v[11:12], v[55:56], v[72:73]
	s_waitcnt lgkmcnt(0)
	v_fma_f64 v[21:22], -v[7:8], v[60:61], v[21:22]
	ds_read2_b64 v[66:69], v66 offset1:1
	v_fma_f64 v[64:65], -v[19:20], v[64:65], v[70:71]
	s_add_i32 s24, s5, -10
	v_fma_f64 v[70:71], -v[13:14], v[53:54], v[55:56]
	v_fma_f64 v[21:22], -v[5:6], v[58:59], v[21:22]
	v_mov_b32_e32 v53, s20
	ds_read2_b64 v[53:56], v53 offset1:1
	s_sub_i32 s20, s21, 40
	v_mov_b32_e32 v58, s20
	ds_read2_b64 v[58:61], v58 offset1:1
	s_lshl_b32 s20, s24, 8
	s_add_i32 s26, s20, s17
	s_waitcnt lgkmcnt(1)
	v_fma_f64 v[55:56], -v[9:10], v[55:56], v[21:22]
	v_mul_f64 v[21:22], v[62:63], v[64:65]
	v_mov_b32_e32 v64, s26
	ds_read_b64 v[64:65], v64
	v_fma_f64 v[62:63], -v[17:18], v[68:69], v[70:71]
	s_add_i32 s27, s26, -16
	s_sub_i32 s21, s21, 56
	s_lshl_b32 s24, s24, 3
	v_fma_f64 v[68:69], -v[11:12], v[53:54], v[55:56]
	s_waitcnt lgkmcnt(0)
	v_fma_f64 v[51:52], -v[7:8], v[64:65], v[51:52]
	v_mov_b32_e32 v53, s27
	ds_read2_b64 v[53:56], v53 offset1:1
	v_fma_f64 v[64:65], -v[19:20], v[66:67], v[62:63]
	s_add_i32 s27, s5, -11
	s_add_i32 s24, s20, s24
	v_fma_f64 v[66:67], -v[13:14], v[60:61], v[68:69]
	v_mov_b32_e32 v60, s23
	ds_read2_b64 v[60:63], v60 offset1:1
	s_waitcnt lgkmcnt(1)
	v_fma_f64 v[51:52], -v[5:6], v[55:56], v[51:52]
	v_mov_b32_e32 v55, s21
	s_sub_i32 s21, s26, 32
	s_waitcnt lgkmcnt(0)
	v_fma_f64 v[76:77], -v[21:22], v[62:63], v[64:65]
	ds_read2_b64 v[62:65], v55 offset1:1
	v_fma_f64 v[58:59], -v[17:18], v[58:59], v[66:67]
	v_fma_f64 v[55:56], -v[9:10], v[53:54], v[51:52]
	v_mov_b32_e32 v51, s21
	s_sub_i32 s21, s26, 48
	v_mov_b32_e32 v66, s21
	ds_read2_b64 v[51:54], v51 offset1:1
	ds_read2_b64 v[66:69], v66 offset1:1
	s_lshl_b32 s21, s27, 8
	s_add_i32 s28, s21, s17
	s_add_i32 s23, s28, -8
	s_waitcnt lgkmcnt(1)
	v_fma_f64 v[80:81], -v[11:12], v[53:54], v[55:56]
	v_mov_b32_e32 v70, s23
	ds_read2_b64 v[70:73], v70 offset1:1
	v_fma_f64 v[58:59], -v[19:20], v[64:65], v[58:59]
	s_sub_i32 s23, s28, 24
	v_mov_b32_e32 v53, s23
	s_lshl_b32 s23, s25, 3
	s_waitcnt lgkmcnt(0)
	v_fma_f64 v[25:26], -v[7:8], v[72:73], v[25:26]
	v_fma_f64 v[51:52], -v[13:14], v[51:52], v[80:81]
	s_add_i32 s23, s19, s23
	v_mov_b32_e32 v72, s23
	v_fma_f64 v[58:59], -v[21:22], v[62:63], v[58:59]
	ds_read2_b64 v[72:75], v72 offset1:1
	ds_read2_b64 v[53:56], v53 offset1:1
	s_sub_i32 s25, s26, 64
	v_fma_f64 v[64:65], -v[5:6], v[70:71], v[25:26]
	v_mul_f64 v[25:26], v[60:61], v[76:77]
	v_fma_f64 v[51:52], -v[17:18], v[68:69], v[51:52]
	s_add_i32 s26, s5, -12
	s_lshl_b32 s23, s26, 8
	s_add_i32 s29, s23, s17
	s_add_i32 s31, s29, -16
	s_sub_i32 s30, s28, 40
	s_lshl_b32 s26, s26, 3
	s_waitcnt lgkmcnt(1)
	v_fma_f64 v[70:71], -v[25:26], v[74:75], v[58:59]
	v_fma_f64 v[74:75], -v[19:20], v[66:67], v[51:52]
	v_mov_b32_e32 v51, s29
	ds_read_b64 v[58:59], v51
	s_waitcnt lgkmcnt(1)
	v_fma_f64 v[55:56], -v[9:10], v[55:56], v[64:65]
	v_mov_b32_e32 v51, s31
	v_mov_b32_e32 v66, s25
	s_sub_i32 s25, s28, 56
	s_waitcnt lgkmcnt(0)
	v_fma_f64 v[27:28], -v[7:8], v[58:59], v[27:28]
	v_mov_b32_e32 v58, s30
	ds_read2_b64 v[58:61], v58 offset1:1
	v_mov_b32_e32 v62, s25
	v_fma_f64 v[55:56], -v[11:12], v[53:54], v[55:56]
	ds_read2_b64 v[51:54], v51 offset1:1
	ds_read2_b64 v[62:65], v62 offset1:1
	s_add_i32 s26, s23, s26
	s_waitcnt lgkmcnt(1)
	v_fma_f64 v[27:28], -v[5:6], v[53:54], v[27:28]
	v_fma_f64 v[60:61], -v[13:14], v[60:61], v[55:56]
	ds_read2_b64 v[53:56], v66 offset1:1
	v_mov_b32_e32 v66, s24
	s_sub_i32 s24, s29, 32
	ds_read2_b64 v[66:69], v66 offset1:1
	v_fma_f64 v[51:52], -v[9:10], v[51:52], v[27:28]
	v_mov_b32_e32 v27, s24
	s_waitcnt lgkmcnt(1)
	v_fma_f64 v[55:56], -v[21:22], v[55:56], v[74:75]
	v_fma_f64 v[74:75], -v[17:18], v[58:59], v[60:61]
	ds_read2_b64 v[58:61], v27 offset1:1
	v_mul_f64 v[27:28], v[72:73], v[70:71]
	s_sub_i32 s24, s29, 48
	v_mov_b32_e32 v70, s24
	ds_read2_b64 v[70:73], v70 offset1:1
	s_waitcnt lgkmcnt(1)
	v_fma_f64 v[51:52], -v[11:12], v[60:61], v[51:52]
	v_fma_f64 v[53:54], -v[25:26], v[53:54], v[55:56]
	v_fma_f64 v[55:56], -v[19:20], v[64:65], v[74:75]
	s_add_i32 s24, s28, 0xffffffb8
	s_add_i32 s28, s5, -14
	v_fma_f64 v[51:52], -v[13:14], v[58:59], v[51:52]
	v_mov_b32_e32 v58, s24
	s_lshl_b32 s24, s27, 3
	s_add_i32 s24, s21, s24
	s_add_i32 s27, s5, -13
	v_fma_f64 v[76:77], -v[27:28], v[68:69], v[53:54]
	v_fma_f64 v[68:69], -v[21:22], v[62:63], v[55:56]
	v_mov_b32_e32 v62, s24
	s_lshl_b32 s24, s27, 8
	s_waitcnt lgkmcnt(0)
	v_fma_f64 v[55:56], -v[17:18], v[72:73], v[51:52]
	s_add_i32 s30, s24, s17
	s_add_i32 s25, s30, -8
	v_mov_b32_e32 v51, s25
	ds_read2_b64 v[51:54], v51 offset1:1
	ds_read2_b64 v[58:61], v58 offset1:1
	;; [unrolled: 1-line block ×3, first 2 shown]
	s_sub_i32 s25, s29, 64
	s_lshl_b32 s27, s27, 3
	s_waitcnt lgkmcnt(2)
	v_fma_f64 v[31:32], -v[7:8], v[53:54], v[31:32]
	v_fma_f64 v[72:73], -v[19:20], v[70:71], v[55:56]
	v_mov_b32_e32 v53, s25
	ds_read2_b64 v[53:56], v53 offset1:1
	s_add_i32 s25, s29, 0xffffffb0
	s_waitcnt lgkmcnt(2)
	v_fma_f64 v[60:61], -v[25:26], v[60:61], v[68:69]
	v_mov_b32_e32 v68, s25
	s_sub_i32 s25, s30, 24
	v_fma_f64 v[51:52], -v[5:6], v[51:52], v[31:32]
	s_waitcnt lgkmcnt(0)
	v_fma_f64 v[55:56], -v[21:22], v[55:56], v[72:73]
	v_mov_b32_e32 v31, s25
	ds_read2_b64 v[68:71], v68 offset1:1
	ds_read2_b64 v[72:75], v31 offset1:1
	v_mul_f64 v[31:32], v[66:67], v[76:77]
	v_fma_f64 v[58:59], -v[27:28], v[58:59], v[60:61]
	s_sub_i32 s25, s30, 40
	v_mov_b32_e32 v66, s25
	s_waitcnt lgkmcnt(0)
	v_fma_f64 v[51:52], -v[9:10], v[74:75], v[51:52]
	v_fma_f64 v[53:54], -v[25:26], v[53:54], v[55:56]
	s_lshl_b32 s25, s28, 8
	s_add_i32 s31, s25, s17
	ds_read2_b64 v[80:83], v66 offset1:1
	v_fma_f64 v[55:56], -v[31:32], v[64:65], v[58:59]
	s_add_i32 s29, s31, -16
	v_mov_b32_e32 v74, s26
	v_fma_f64 v[51:52], -v[11:12], v[72:73], v[51:52]
	v_fma_f64 v[58:59], -v[27:28], v[70:71], v[53:54]
	v_mov_b32_e32 v53, s31
	ds_read_b64 v[60:61], v53
	s_sub_i32 s26, s31, 48
	v_mov_b32_e32 v66, s26
	s_add_i32 s27, s24, s27
	s_lshl_b32 s28, s28, 3
	s_waitcnt lgkmcnt(1)
	v_fma_f64 v[64:65], -v[13:14], v[82:83], v[51:52]
	s_waitcnt lgkmcnt(0)
	v_fma_f64 v[60:61], -v[7:8], v[60:61], v[33:34]
	v_mov_b32_e32 v51, s29
	ds_read2_b64 v[51:54], v51 offset1:1
	v_mul_f64 v[33:34], v[62:63], v[55:56]
	v_fma_f64 v[70:71], -v[31:32], v[68:69], v[58:59]
	ds_read2_b64 v[66:69], v66 offset1:1
	s_sub_i32 s29, s30, 56
	v_fma_f64 v[62:63], -v[17:18], v[80:81], v[64:65]
	s_waitcnt lgkmcnt(1)
	v_fma_f64 v[64:65], -v[5:6], v[53:54], v[60:61]
	v_mov_b32_e32 v53, s29
	ds_read2_b64 v[53:56], v53 offset1:1
	s_add_i32 s29, s30, 0xffffffb8
	v_mov_b32_e32 v58, s29
	s_sub_i32 s29, s31, 32
	ds_read2_b64 v[58:61], v58 offset1:1
	s_waitcnt lgkmcnt(1)
	v_fma_f64 v[55:56], -v[19:20], v[55:56], v[62:63]
	v_fma_f64 v[51:52], -v[9:10], v[51:52], v[64:65]
	v_mov_b32_e32 v62, s29
	ds_read2_b64 v[62:65], v62 offset1:1
	s_add_i32 s29, s5, -15
	s_lshl_b32 s26, s29, 8
	s_add_i32 s34, s26, s17
	s_add_i32 s33, s34, -8
	v_fma_f64 v[55:56], -v[21:22], v[53:54], v[55:56]
	s_waitcnt lgkmcnt(0)
	v_fma_f64 v[64:65], -v[11:12], v[64:65], v[51:52]
	v_mov_b32_e32 v51, s33
	ds_read2_b64 v[51:54], v51 offset1:1
	s_sub_i32 s33, s34, 24
	s_addk_i32 s30, 0xffa8
	s_add_i32 s28, s25, s28
	s_lshl_b32 s29, s29, 3
	s_waitcnt lgkmcnt(0)
	v_fma_f64 v[41:42], -v[7:8], v[53:54], v[41:42]
	v_fma_f64 v[72:73], -v[13:14], v[62:63], v[64:65]
	;; [unrolled: 1-line block ×3, first 2 shown]
	ds_read2_b64 v[53:56], v74 offset1:1
	v_mov_b32_e32 v62, s33
	ds_read2_b64 v[62:65], v62 offset1:1
	s_add_i32 s29, s26, s29
	v_fma_f64 v[41:42], -v[5:6], v[51:52], v[41:42]
	v_fma_f64 v[68:69], -v[17:18], v[68:69], v[72:73]
	s_waitcnt lgkmcnt(1)
	v_fma_f64 v[55:56], -v[33:34], v[55:56], v[70:71]
	v_mov_b32_e32 v70, s30
	s_sub_i32 s30, s31, 64
	v_fma_f64 v[51:52], -v[27:28], v[58:59], v[60:61]
	v_mov_b32_e32 v58, s30
	ds_read2_b64 v[58:61], v58 offset1:1
	s_waitcnt lgkmcnt(1)
	v_fma_f64 v[41:42], -v[9:10], v[64:65], v[41:42]
	v_fma_f64 v[68:69], -v[19:20], v[66:67], v[68:69]
	v_mov_b32_e32 v72, s27
	s_add_i32 s27, s31, 0xffffffb0
	v_mov_b32_e32 v64, s27
	s_sub_i32 s27, s34, 40
	ds_read2_b64 v[64:67], v64 offset1:1
	s_add_i32 s30, s5, -16
	v_fma_f64 v[41:42], -v[11:12], v[62:63], v[41:42]
	s_waitcnt lgkmcnt(1)
	v_fma_f64 v[76:77], -v[21:22], v[60:61], v[68:69]
	v_mov_b32_e32 v60, s27
	ds_read2_b64 v[60:63], v60 offset1:1
	ds_read2_b64 v[68:71], v70 offset1:1
	;; [unrolled: 1-line block ×3, first 2 shown]
	s_sub_i32 s27, s34, 56
	v_mov_b32_e32 v78, s27
	s_lshl_b32 s27, s30, 8
	s_add_i32 s35, s27, s17
	s_waitcnt lgkmcnt(2)
	v_fma_f64 v[41:42], -v[13:14], v[62:63], v[41:42]
	v_fma_f64 v[62:63], -v[25:26], v[58:59], v[76:77]
	v_mov_b32_e32 v58, s35
	ds_read2_b64 v[80:83], v78 offset1:1
	s_waitcnt lgkmcnt(2)
	v_fma_f64 v[51:52], -v[31:32], v[70:71], v[51:52]
	ds_read_b64 v[70:71], v58
	s_add_i32 s33, s35, -16
	v_mov_b32_e32 v58, s33
	v_fma_f64 v[41:42], -v[17:18], v[60:61], v[41:42]
	ds_read2_b64 v[58:61], v58 offset1:1
	s_waitcnt lgkmcnt(1)
	v_fma_f64 v[70:71], -v[7:8], v[70:71], v[39:40]
	v_mul_f64 v[39:40], v[53:54], v[55:56]
	v_fma_f64 v[51:52], -v[33:34], v[68:69], v[51:52]
	v_fma_f64 v[53:54], -v[27:28], v[66:67], v[62:63]
	s_sub_i32 s33, s35, 32
	s_sub_i32 s36, s35, 48
	v_fma_f64 v[41:42], -v[19:20], v[82:83], v[41:42]
	s_addk_i32 s31, 0xffa0
	s_waitcnt lgkmcnt(0)
	v_fma_f64 v[55:56], -v[5:6], v[60:61], v[70:71]
	v_mov_b32_e32 v68, s31
	v_fma_f64 v[70:71], -v[39:40], v[74:75], v[51:52]
	v_mov_b32_e32 v51, s33
	v_fma_f64 v[82:83], -v[31:32], v[64:65], v[53:54]
	ds_read2_b64 v[51:54], v51 offset1:1
	v_fma_f64 v[41:42], -v[21:22], v[80:81], v[41:42]
	s_add_i32 s33, s34, 0xffffffb8
	v_fma_f64 v[55:56], -v[9:10], v[58:59], v[55:56]
	v_mov_b32_e32 v58, s36
	ds_read2_b64 v[58:61], v58 offset1:1
	s_add_i32 s31, s34, 0xffffffa8
	v_mov_b32_e32 v62, s31
	ds_read2_b64 v[62:65], v62 offset1:1
	s_addk_i32 s34, 0xff98
	s_lshl_b32 s30, s30, 3
	s_waitcnt lgkmcnt(2)
	v_fma_f64 v[66:67], -v[11:12], v[53:54], v[55:56]
	v_mov_b32_e32 v53, s33
	ds_read2_b64 v[53:56], v53 offset1:1
	s_sub_i32 s33, s5, 17
	s_add_i32 s30, s27, s30
	v_mov_b32_e32 v78, s30
	s_waitcnt lgkmcnt(0)
	v_fma_f64 v[41:42], -v[25:26], v[55:56], v[41:42]
	v_fma_f64 v[51:52], -v[13:14], v[51:52], v[66:67]
	ds_read2_b64 v[66:69], v68 offset1:1
	v_mov_b32_e32 v55, s28
	ds_read2_b64 v[74:77], v55 offset1:1
	s_sub_i32 s28, s35, 64
	s_waitcnt lgkmcnt(1)
	v_fma_f64 v[55:56], -v[33:34], v[68:69], v[82:83]
	v_fma_f64 v[53:54], -v[27:28], v[53:54], v[41:42]
	;; [unrolled: 1-line block ×3, first 2 shown]
	v_mul_f64 v[41:42], v[72:73], v[70:71]
	v_fma_f64 v[55:56], -v[39:40], v[66:67], v[55:56]
	v_fma_f64 v[68:69], -v[31:32], v[64:65], v[53:54]
	;; [unrolled: 1-line block ×3, first 2 shown]
	v_mov_b32_e32 v51, s28
	s_add_i32 s28, s35, 0xffffffb0
	v_mov_b32_e32 v58, s28
	s_lshl_b32 s28, s33, 8
	s_add_i32 s31, s28, s17
	s_add_i32 s36, s31, -8
	v_mov_b32_e32 v64, s36
	ds_read2_b64 v[51:54], v51 offset1:1
	ds_read2_b64 v[58:61], v58 offset1:1
	;; [unrolled: 1-line block ×3, first 2 shown]
	v_fma_f64 v[68:69], -v[33:34], v[62:63], v[68:69]
	s_waitcnt lgkmcnt(3)
	v_fma_f64 v[72:73], -v[41:42], v[76:77], v[55:56]
	s_waitcnt lgkmcnt(2)
	v_fma_f64 v[53:54], -v[21:22], v[53:54], v[70:71]
	s_add_i32 s30, s31, 0xffffff98
	s_waitcnt lgkmcnt(0)
	v_fma_f64 v[66:67], -v[7:8], v[66:67], v[49:50]
	v_mov_b32_e32 v49, s34
	s_sub_i32 s34, s31, 24
	s_lshl_b32 s33, s33, 3
	s_add_i32 s33, s28, s33
	v_fma_f64 v[62:63], -v[25:26], v[51:52], v[53:54]
	v_mov_b32_e32 v53, s34
	v_fma_f64 v[64:65], -v[5:6], v[64:65], v[66:67]
	ds_read2_b64 v[49:52], v49 offset1:1
	ds_read2_b64 v[53:56], v53 offset1:1
	s_sub_i32 s34, s31, 40
	v_fma_f64 v[70:71], -v[27:28], v[60:61], v[62:63]
	v_mov_b32_e32 v60, s34
	s_waitcnt lgkmcnt(0)
	v_fma_f64 v[55:56], -v[9:10], v[55:56], v[64:65]
	v_mov_b32_e32 v64, s29
	s_add_i32 s29, s35, 0xffffffa0
	s_add_i32 s34, s35, 0xffffff90
	s_sub_i32 s35, s5, 18
	v_fma_f64 v[76:77], -v[39:40], v[51:52], v[68:69]
	v_mov_b32_e32 v51, s29
	s_lshl_b32 s29, s35, 8
	v_fma_f64 v[55:56], -v[11:12], v[53:54], v[55:56]
	s_add_i32 s38, s29, s17
	ds_read2_b64 v[60:63], v60 offset1:1
	ds_read2_b64 v[51:54], v51 offset1:1
	v_mov_b32_e32 v68, s38
	ds_read_b64 v[80:81], v68
	v_fma_f64 v[58:59], -v[31:32], v[58:59], v[70:71]
	s_add_i32 s36, s38, -16
	s_waitcnt lgkmcnt(2)
	v_fma_f64 v[55:56], -v[13:14], v[62:63], v[55:56]
	v_mov_b32_e32 v62, s36
	s_waitcnt lgkmcnt(0)
	v_fma_f64 v[47:48], -v[7:8], v[80:81], v[47:48]
	ds_read2_b64 v[64:67], v64 offset1:1
	ds_read2_b64 v[68:71], v62 offset1:1
	v_mov_b32_e32 v62, s34
	s_sub_i32 s34, s31, 56
	ds_read2_b64 v[80:83], v62 offset1:1
	v_fma_f64 v[84:85], -v[17:18], v[60:61], v[55:56]
	v_fma_f64 v[62:63], -v[33:34], v[53:54], v[58:59]
	s_waitcnt lgkmcnt(1)
	v_fma_f64 v[70:71], -v[5:6], v[70:71], v[47:48]
	v_mov_b32_e32 v53, s34
	ds_read2_b64 v[53:56], v53 offset1:1
	s_add_i32 s34, s31, 0xffffffb8
	v_mov_b32_e32 v47, s34
	ds_read2_b64 v[58:61], v47 offset1:1
	s_sub_i32 s34, s38, 32
	s_waitcnt lgkmcnt(1)
	v_fma_f64 v[55:56], -v[19:20], v[55:56], v[84:85]
	v_fma_f64 v[68:69], -v[9:10], v[68:69], v[70:71]
	v_mul_f64 v[47:48], v[74:75], v[72:73]
	v_fma_f64 v[72:73], -v[41:42], v[49:50], v[76:77]
	v_mov_b32_e32 v49, s34
	v_fma_f64 v[62:63], -v[39:40], v[51:52], v[62:63]
	ds_read2_b64 v[49:52], v49 offset1:1
	s_sub_i32 s34, s38, 48
	v_fma_f64 v[70:71], -v[21:22], v[53:54], v[55:56]
	v_mov_b32_e32 v53, s34
	ds_read2_b64 v[53:56], v53 offset1:1
	s_waitcnt lgkmcnt(1)
	v_fma_f64 v[51:52], -v[11:12], v[51:52], v[68:69]
	v_fma_f64 v[66:67], -v[47:48], v[66:67], v[72:73]
	;; [unrolled: 1-line block ×3, first 2 shown]
	s_add_i32 s34, s31, 0xffffffa8
	s_addk_i32 s31, 0xff88
	v_fma_f64 v[60:61], -v[25:26], v[60:61], v[70:71]
	v_fma_f64 v[51:52], -v[13:14], v[49:50], v[51:52]
	v_mul_f64 v[49:50], v[64:65], v[66:67]
	v_fma_f64 v[74:75], -v[47:48], v[80:81], v[62:63]
	v_fma_f64 v[66:67], -v[27:28], v[58:59], v[60:61]
	s_waitcnt lgkmcnt(0)
	v_fma_f64 v[51:52], -v[17:18], v[55:56], v[51:52]
	v_mov_b32_e32 v55, s34
	ds_read2_b64 v[58:61], v55 offset1:1
	v_mov_b32_e32 v55, s30
	s_sub_i32 s30, s38, 64
	s_sub_i32 s34, s5, 19
	ds_read2_b64 v[62:65], v55 offset1:1
	v_mov_b32_e32 v55, s30
	s_lshl_b32 s30, s34, 8
	s_add_i32 s37, s30, s17
	s_add_i32 s36, s37, -8
	v_fma_f64 v[76:77], -v[19:20], v[53:54], v[51:52]
	v_mov_b32_e32 v51, s36
	s_waitcnt lgkmcnt(1)
	v_fma_f64 v[60:61], -v[31:32], v[60:61], v[66:67]
	ds_read2_b64 v[51:54], v51 offset1:1
	ds_read2_b64 v[66:69], v55 offset1:1
	s_sub_i32 s36, s37, 24
	v_mov_b32_e32 v55, s36
	s_add_i32 s36, s38, 0xffffffb0
	s_waitcnt lgkmcnt(1)
	v_fma_f64 v[45:46], -v[7:8], v[53:54], v[45:46]
	s_waitcnt lgkmcnt(0)
	v_fma_f64 v[68:69], -v[21:22], v[68:69], v[76:77]
	v_mov_b32_e32 v53, s36
	ds_read2_b64 v[70:73], v55 offset1:1
	ds_read2_b64 v[53:56], v53 offset1:1
	v_fma_f64 v[76:77], -v[33:34], v[58:59], v[60:61]
	ds_read2_b64 v[58:61], v78 offset1:1
	s_sub_i32 s36, s5, 20
	v_fma_f64 v[45:46], -v[5:6], v[51:52], v[45:46]
	s_lshl_b32 s34, s34, 3
	s_add_i32 s34, s30, s34
	s_waitcnt lgkmcnt(0)
	v_fma_f64 v[51:52], -v[49:50], v[60:61], v[74:75]
	v_fma_f64 v[60:61], -v[25:26], v[66:67], v[68:69]
	;; [unrolled: 1-line block ×3, first 2 shown]
	v_mov_b32_e32 v68, s31
	s_sub_i32 s31, s37, 40
	v_fma_f64 v[66:67], -v[9:10], v[72:73], v[45:46]
	v_mul_f64 v[45:46], v[58:59], v[51:52]
	v_fma_f64 v[51:52], -v[27:28], v[55:56], v[60:61]
	v_mov_b32_e32 v58, s31
	ds_read2_b64 v[58:61], v58 offset1:1
	s_sub_i32 s31, s37, 56
	v_fma_f64 v[55:56], -v[11:12], v[70:71], v[66:67]
	v_fma_f64 v[74:75], -v[41:42], v[62:63], v[64:65]
	;; [unrolled: 1-line block ×3, first 2 shown]
	v_mov_b32_e32 v51, s31
	s_add_i32 s31, s38, 0xffffffa0
	v_mov_b32_e32 v64, s31
	s_lshl_b32 s31, s36, 8
	s_add_i32 s40, s31, s17
	ds_read2_b64 v[51:54], v51 offset1:1
	s_waitcnt lgkmcnt(1)
	v_fma_f64 v[55:56], -v[13:14], v[60:61], v[55:56]
	v_mov_b32_e32 v60, s40
	ds_read_b64 v[62:63], v60
	s_add_i32 s39, s40, -16
	s_lshl_b32 s36, s36, 3
	s_add_i32 s36, s31, s36
	s_waitcnt lgkmcnt(0)
	v_fma_f64 v[43:44], -v[7:8], v[62:63], v[43:44]
	v_fma_f64 v[55:56], -v[17:18], v[58:59], v[55:56]
	v_mov_b32_e32 v58, s39
	ds_read2_b64 v[58:61], v58 offset1:1
	ds_read2_b64 v[62:65], v64 offset1:1
	;; [unrolled: 1-line block ×3, first 2 shown]
	s_add_i32 s39, s38, 0xffffff90
	v_mov_b32_e32 v70, s39
	ds_read2_b64 v[70:73], v70 offset1:1
	s_waitcnt lgkmcnt(3)
	v_fma_f64 v[43:44], -v[5:6], v[60:61], v[43:44]
	s_waitcnt lgkmcnt(2)
	v_fma_f64 v[64:65], -v[33:34], v[64:65], v[76:77]
	v_fma_f64 v[76:77], -v[19:20], v[53:54], v[55:56]
	v_mov_b32_e32 v53, s33
	s_sub_i32 s33, s40, 32
	ds_read2_b64 v[53:56], v53 offset1:1
	s_waitcnt lgkmcnt(2)
	v_fma_f64 v[68:69], -v[47:48], v[68:69], v[74:75]
	s_sub_i32 s39, s40, 48
	v_fma_f64 v[43:44], -v[9:10], v[58:59], v[43:44]
	v_mov_b32_e32 v58, s33
	ds_read2_b64 v[58:61], v58 offset1:1
	v_fma_f64 v[80:81], -v[39:40], v[62:63], v[64:65]
	s_add_i32 s33, s37, 0xffffffb8
	v_fma_f64 v[51:52], -v[21:22], v[51:52], v[76:77]
	v_mov_b32_e32 v62, s39
	ds_read2_b64 v[62:65], v62 offset1:1
	s_waitcnt lgkmcnt(1)
	v_fma_f64 v[43:44], -v[11:12], v[60:61], v[43:44]
	v_mov_b32_e32 v60, s33
	ds_read2_b64 v[74:77], v60 offset1:1
	v_fma_f64 v[60:61], -v[49:50], v[66:67], v[68:69]
	s_add_i32 s33, s37, 0xffffffa8
	v_mov_b32_e32 v66, s33
	s_add_i32 s33, s38, 0xffffff80
	s_waitcnt lgkmcnt(0)
	v_fma_f64 v[51:52], -v[25:26], v[76:77], v[51:52]
	v_fma_f64 v[43:44], -v[13:14], v[58:59], v[43:44]
	;; [unrolled: 1-line block ×3, first 2 shown]
	ds_read2_b64 v[66:69], v66 offset1:1
	v_fma_f64 v[55:56], -v[45:46], v[55:56], v[60:61]
	s_sub_i32 s38, s5, 21
	v_fma_f64 v[51:52], -v[27:28], v[74:75], v[51:52]
	v_fma_f64 v[76:77], -v[47:48], v[70:71], v[58:59]
	v_mov_b32_e32 v58, s33
	ds_read2_b64 v[58:61], v58 offset1:1
	v_fma_f64 v[43:44], -v[17:18], v[64:65], v[43:44]
	s_lshl_b32 s33, s35, 3
	s_sub_i32 s35, s40, 64
	s_add_i32 s33, s29, s33
	v_mov_b32_e32 v72, s33
	s_add_i32 s33, s40, 0xffffffb0
	s_waitcnt lgkmcnt(0)
	v_fma_f64 v[76:77], -v[49:50], v[60:61], v[76:77]
	ds_read2_b64 v[72:75], v72 offset1:1
	v_fma_f64 v[43:44], -v[19:20], v[62:63], v[43:44]
	v_mov_b32_e32 v62, s35
	ds_read2_b64 v[62:65], v62 offset1:1
	v_fma_f64 v[51:52], -v[31:32], v[68:69], v[51:52]
	v_mov_b32_e32 v68, s33
	s_add_i32 s33, s37, 0xffffff98
	v_mov_b32_e32 v60, s33
	s_lshl_b32 s33, s38, 8
	s_waitcnt lgkmcnt(0)
	v_fma_f64 v[43:44], -v[21:22], v[64:65], v[43:44]
	s_add_i32 s41, s33, s17
	s_add_i32 s39, s41, -8
	ds_read2_b64 v[68:71], v68 offset1:1
	v_fma_f64 v[51:52], -v[33:34], v[66:67], v[51:52]
	ds_read2_b64 v[64:67], v60 offset1:1
	v_mov_b32_e32 v60, s39
	s_add_i32 s35, s37, 0xffffff88
	v_fma_f64 v[43:44], -v[25:26], v[62:63], v[43:44]
	ds_read2_b64 v[60:63], v60 offset1:1
	v_mov_b32_e32 v78, s35
	s_sub_i32 s35, s41, 24
	s_waitcnt lgkmcnt(1)
	v_fma_f64 v[51:52], -v[39:40], v[66:67], v[51:52]
	s_sub_i32 s39, s41, 40
	s_waitcnt lgkmcnt(0)
	v_fma_f64 v[62:63], -v[7:8], v[62:63], v[37:38]
	v_mul_f64 v[37:38], v[53:54], v[55:56]
	v_fma_f64 v[43:44], -v[27:28], v[70:71], v[43:44]
	v_fma_f64 v[66:67], -v[45:46], v[58:59], v[76:77]
	v_mov_b32_e32 v58, s39
	ds_read2_b64 v[80:83], v78 offset1:1
	v_fma_f64 v[64:65], -v[41:42], v[64:65], v[51:52]
	v_mov_b32_e32 v51, s35
	v_fma_f64 v[55:56], -v[5:6], v[60:61], v[62:63]
	ds_read2_b64 v[51:54], v51 offset1:1
	ds_read2_b64 v[58:61], v58 offset1:1
	v_fma_f64 v[43:44], -v[31:32], v[68:69], v[43:44]
	s_add_i32 s35, s40, 0xffffffa0
	s_waitcnt lgkmcnt(2)
	v_fma_f64 v[70:71], -v[47:48], v[82:83], v[64:65]
	v_fma_f64 v[82:83], -v[37:38], v[74:75], v[66:67]
	s_waitcnt lgkmcnt(1)
	v_fma_f64 v[68:69], -v[9:10], v[53:54], v[55:56]
	v_mov_b32_e32 v53, s35
	ds_read2_b64 v[53:56], v53 offset1:1
	s_add_i32 s35, s40, 0xffffff90
	v_mov_b32_e32 v62, s35
	ds_read2_b64 v[62:65], v62 offset1:1
	s_add_i32 s35, s37, 0xffffff78
	s_waitcnt lgkmcnt(1)
	v_fma_f64 v[43:44], -v[33:34], v[55:56], v[43:44]
	v_fma_f64 v[51:52], -v[11:12], v[51:52], v[68:69]
	;; [unrolled: 1-line block ×3, first 2 shown]
	v_mov_b32_e32 v66, s35
	s_sub_i32 s37, s5, 22
	v_fma_f64 v[43:44], -v[39:40], v[53:54], v[43:44]
	v_fma_f64 v[60:61], -v[13:14], v[60:61], v[51:52]
	ds_read2_b64 v[51:54], v66 offset1:1
	v_mov_b32_e32 v66, s34
	s_sub_i32 s34, s41, 56
	ds_read2_b64 v[66:69], v66 offset1:1
	s_waitcnt lgkmcnt(1)
	v_fma_f64 v[70:71], -v[45:46], v[53:54], v[55:56]
	v_mov_b32_e32 v53, s34
	s_lshl_b32 s34, s37, 8
	s_add_i32 s39, s34, s17
	v_mov_b32_e32 v54, s39
	ds_read_b64 v[74:75], v54
	ds_read2_b64 v[53:56], v53 offset1:1
	v_fma_f64 v[43:44], -v[41:42], v[64:65], v[43:44]
	v_fma_f64 v[64:65], -v[17:18], v[58:59], v[60:61]
	s_add_i32 s35, s39, -16
	s_waitcnt lgkmcnt(1)
	v_fma_f64 v[80:81], -v[7:8], v[74:75], v[35:36]
	v_mov_b32_e32 v58, s35
	ds_read2_b64 v[58:61], v58 offset1:1
	s_add_i32 s35, s41, 0xffffffb8
	v_mov_b32_e32 v35, s35
	s_add_i32 s35, s40, 0xffffff80
	s_waitcnt lgkmcnt(1)
	v_fma_f64 v[55:56], -v[19:20], v[55:56], v[64:65]
	ds_read2_b64 v[74:77], v35 offset1:1
	s_waitcnt lgkmcnt(1)
	v_fma_f64 v[60:61], -v[5:6], v[60:61], v[80:81]
	v_fma_f64 v[80:81], -v[37:38], v[51:52], v[70:71]
	v_mov_b32_e32 v51, s35
	s_add_i32 s35, s40, 0xffffff70
	s_sub_i32 s40, s39, 32
	v_fma_f64 v[43:44], -v[47:48], v[62:63], v[43:44]
	v_fma_f64 v[55:56], -v[21:22], v[53:54], v[55:56]
	ds_read2_b64 v[51:54], v51 offset1:1
	v_fma_f64 v[70:71], -v[9:10], v[58:59], v[60:61]
	v_mov_b32_e32 v58, s40
	ds_read2_b64 v[58:61], v58 offset1:1
	s_sub_i32 s40, s39, 48
	v_mov_b32_e32 v62, s40
	ds_read2_b64 v[62:65], v62 offset1:1
	s_waitcnt lgkmcnt(3)
	v_fma_f64 v[55:56], -v[25:26], v[76:77], v[55:56]
	s_waitcnt lgkmcnt(2)
	v_fma_f64 v[43:44], -v[49:50], v[53:54], v[43:44]
	;; [unrolled: 2-line block ×3, first 2 shown]
	v_mov_b32_e32 v70, s35
	s_add_i32 s35, s41, 0xffffffa8
	v_mul_f64 v[35:36], v[72:73], v[82:83]
	v_mov_b32_e32 v53, s35
	s_add_i32 s35, s41, 0xffffff98
	v_fma_f64 v[74:75], -v[27:28], v[74:75], v[55:56]
	ds_read2_b64 v[53:56], v53 offset1:1
	v_fma_f64 v[76:77], -v[13:14], v[58:59], v[60:61]
	v_fma_f64 v[43:44], -v[45:46], v[51:52], v[43:44]
	v_mov_b32_e32 v51, s35
	ds_read2_b64 v[58:61], v51 offset1:1
	v_fma_f64 v[68:69], -v[35:36], v[68:69], v[80:81]
	ds_read2_b64 v[70:73], v70 offset1:1
	s_waitcnt lgkmcnt(2)
	v_fma_f64 v[51:52], -v[31:32], v[55:56], v[74:75]
	s_sub_i32 s35, s39, 64
	v_fma_f64 v[55:56], -v[17:18], v[64:65], v[76:77]
	s_sub_i32 s40, s5, 23
	s_waitcnt lgkmcnt(0)
	v_fma_f64 v[64:65], -v[37:38], v[72:73], v[43:44]
	v_mov_b32_e32 v76, s36
	v_mul_f64 v[43:44], v[66:67], v[68:69]
	s_add_i32 s36, s39, 0xffffffa0
	v_fma_f64 v[66:67], -v[33:34], v[53:54], v[51:52]
	v_mov_b32_e32 v51, s35
	v_fma_f64 v[55:56], -v[19:20], v[62:63], v[55:56]
	ds_read2_b64 v[51:54], v51 offset1:1
	s_add_i32 s35, s39, 0xffffffb0
	v_mov_b32_e32 v62, s35
	s_lshl_b32 s35, s40, 8
	v_fma_f64 v[72:73], -v[35:36], v[70:71], v[64:65]
	ds_read2_b64 v[62:65], v62 offset1:1
	s_add_i32 s42, s35, s17
	s_waitcnt lgkmcnt(1)
	v_fma_f64 v[68:69], -v[21:22], v[53:54], v[55:56]
	s_add_i32 s43, s42, -8
	v_mov_b32_e32 v53, s43
	ds_read2_b64 v[53:56], v53 offset1:1
	s_sub_i32 s43, s42, 24
	v_fma_f64 v[60:61], -v[39:40], v[60:61], v[66:67]
	v_mov_b32_e32 v66, s43
	s_add_i32 s43, s41, 0xffffff88
	v_fma_f64 v[51:52], -v[25:26], v[51:52], v[68:69]
	ds_read2_b64 v[66:69], v66 offset1:1
	s_waitcnt lgkmcnt(1)
	v_fma_f64 v[29:30], -v[7:8], v[55:56], v[29:30]
	s_lshl_b32 s37, s37, 3
	s_add_i32 s37, s34, s37
	v_fma_f64 v[55:56], -v[41:42], v[58:59], v[60:61]
	v_mov_b32_e32 v58, s43
	ds_read2_b64 v[58:61], v58 offset1:1
	v_fma_f64 v[64:65], -v[27:28], v[64:65], v[51:52]
	s_add_i32 s43, s41, 0xffffff78
	v_fma_f64 v[29:30], -v[5:6], v[53:54], v[29:30]
	v_mov_b32_e32 v51, s43
	ds_read2_b64 v[51:54], v51 offset1:1
	s_waitcnt lgkmcnt(1)
	v_fma_f64 v[55:56], -v[47:48], v[60:61], v[55:56]
	v_mov_b32_e32 v60, s36
	s_add_i32 s36, s39, 0xffffff90
	v_fma_f64 v[64:65], -v[31:32], v[62:63], v[64:65]
	ds_read2_b64 v[60:63], v60 offset1:1
	v_fma_f64 v[29:30], -v[9:10], v[68:69], v[29:30]
	s_sub_i32 s43, s5, 24
	s_lshl_b32 s40, s40, 3
	v_fma_f64 v[55:56], -v[49:50], v[58:59], v[55:56]
	v_mov_b32_e32 v58, s36
	ds_read2_b64 v[68:71], v58 offset1:1
	s_waitcnt lgkmcnt(1)
	v_fma_f64 v[58:59], -v[33:34], v[62:63], v[64:65]
	s_sub_i32 s36, s42, 40
	v_fma_f64 v[29:30], -v[11:12], v[66:67], v[29:30]
	v_mov_b32_e32 v62, s36
	ds_read2_b64 v[62:65], v62 offset1:1
	v_fma_f64 v[74:75], -v[45:46], v[53:54], v[55:56]
	s_sub_i32 s36, s42, 56
	v_mov_b32_e32 v53, s36
	v_fma_f64 v[58:59], -v[39:40], v[60:61], v[58:59]
	s_add_i32 s36, s41, 0xffffff68
	s_waitcnt lgkmcnt(0)
	v_fma_f64 v[29:30], -v[13:14], v[64:65], v[29:30]
	ds_read2_b64 v[64:67], v76 offset1:1
	v_mov_b32_e32 v60, s36
	v_fma_f64 v[51:52], -v[37:38], v[51:52], v[74:75]
	ds_read2_b64 v[53:56], v53 offset1:1
	s_lshl_b32 s36, s38, 3
	s_add_i32 s36, s33, s36
	s_waitcnt lgkmcnt(1)
	v_fma_f64 v[80:81], -v[43:44], v[66:67], v[72:73]
	v_fma_f64 v[29:30], -v[17:18], v[62:63], v[29:30]
	v_fma_f64 v[62:63], -v[41:42], v[70:71], v[58:59]
	ds_read2_b64 v[58:61], v60 offset1:1
	v_mov_b32_e32 v66, s36
	s_add_i32 s36, s39, 0xffffff80
	ds_read2_b64 v[70:73], v66 offset1:1
	s_add_i32 s41, s39, 0xffffff70
	s_waitcnt lgkmcnt(1)
	v_fma_f64 v[82:83], -v[35:36], v[60:61], v[51:52]
	v_mov_b32_e32 v51, s36
	v_fma_f64 v[84:85], -v[47:48], v[68:69], v[62:63]
	ds_read2_b64 v[60:63], v51 offset1:1
	v_fma_f64 v[29:30], -v[19:20], v[55:56], v[29:30]
	s_add_i32 s36, s42, 0xffffffb8
	v_mov_b32_e32 v51, s36
	s_lshl_b32 s36, s43, 8
	s_add_i32 s38, s36, s17
	v_mov_b32_e32 v52, s38
	s_add_i32 s44, s38, -16
	v_mov_b32_e32 v66, s44
	v_fma_f64 v[29:30], -v[21:22], v[53:54], v[29:30]
	ds_read_b64 v[55:56], v52
	ds_read2_b64 v[51:54], v51 offset1:1
	ds_read2_b64 v[66:69], v66 offset1:1
	s_waitcnt lgkmcnt(3)
	v_fma_f64 v[62:63], -v[49:50], v[62:63], v[84:85]
	s_add_i32 s44, s42, 0xffffffa8
	s_waitcnt lgkmcnt(2)
	v_fma_f64 v[23:24], -v[7:8], v[55:56], v[23:24]
	v_mov_b32_e32 v55, s44
	ds_read2_b64 v[74:77], v55 offset1:1
	s_waitcnt lgkmcnt(2)
	v_fma_f64 v[29:30], -v[25:26], v[53:54], v[29:30]
	v_mov_b32_e32 v53, s41
	s_sub_i32 s41, s38, 32
	s_addk_i32 s39, 0xff60
	s_lshl_b32 s43, s43, 3
	s_waitcnt lgkmcnt(1)
	v_fma_f64 v[68:69], -v[5:6], v[68:69], v[23:24]
	v_mul_f64 v[23:24], v[64:65], v[80:81]
	v_fma_f64 v[80:81], -v[45:46], v[60:61], v[62:63]
	v_fma_f64 v[29:30], -v[27:28], v[51:52], v[29:30]
	;; [unrolled: 1-line block ×3, first 2 shown]
	v_mov_b32_e32 v58, s41
	s_sub_i32 s41, s38, 48
	v_mov_b32_e32 v62, s41
	v_fma_f64 v[66:67], -v[9:10], v[66:67], v[68:69]
	ds_read2_b64 v[58:61], v58 offset1:1
	ds_read2_b64 v[62:65], v62 offset1:1
	;; [unrolled: 1-line block ×3, first 2 shown]
	s_waitcnt lgkmcnt(3)
	v_fma_f64 v[29:30], -v[31:32], v[76:77], v[29:30]
	s_add_i32 s41, s42, 0xffffff98
	v_fma_f64 v[76:77], -v[23:24], v[72:73], v[51:52]
	s_add_i32 s43, s36, s43
	s_waitcnt lgkmcnt(2)
	v_fma_f64 v[60:61], -v[11:12], v[60:61], v[66:67]
	s_waitcnt lgkmcnt(0)
	v_fma_f64 v[51:52], -v[37:38], v[55:56], v[80:81]
	v_mov_b32_e32 v55, s41
	ds_read2_b64 v[66:69], v55 offset1:1
	v_fma_f64 v[29:30], -v[33:34], v[74:75], v[29:30]
	s_add_i32 s41, s42, 0xffffff88
	s_add_i32 s45, s38, 0xffffff70
	v_fma_f64 v[55:56], -v[13:14], v[58:59], v[60:61]
	v_mov_b32_e32 v58, s41
	ds_read2_b64 v[58:61], v58 offset1:1
	s_waitcnt lgkmcnt(1)
	v_fma_f64 v[29:30], -v[39:40], v[68:69], v[29:30]
	v_fma_f64 v[68:69], -v[35:36], v[53:54], v[51:52]
	v_mov_b32_e32 v51, s39
	ds_read2_b64 v[51:54], v51 offset1:1
	v_fma_f64 v[55:56], -v[17:18], v[64:65], v[55:56]
	v_mov_b32_e32 v64, s37
	s_sub_i32 s37, s38, 64
	s_sub_i32 s39, s5, 25
	v_fma_f64 v[29:30], -v[41:42], v[66:67], v[29:30]
	s_waitcnt lgkmcnt(0)
	v_fma_f64 v[68:69], -v[43:44], v[53:54], v[68:69]
	v_mov_b32_e32 v53, s37
	s_add_i32 s37, s38, 0xffffffb0
	v_fma_f64 v[72:73], -v[19:20], v[62:63], v[55:56]
	ds_read2_b64 v[53:56], v53 offset1:1
	ds_read2_b64 v[64:67], v64 offset1:1
	v_fma_f64 v[80:81], -v[47:48], v[60:61], v[29:30]
	v_mov_b32_e32 v29, s37
	s_lshl_b32 s37, s39, 8
	s_add_i32 s41, s37, s17
	s_add_i32 s44, s41, -8
	ds_read2_b64 v[60:63], v29 offset1:1
	s_waitcnt lgkmcnt(2)
	v_fma_f64 v[55:56], -v[21:22], v[55:56], v[72:73]
	v_mov_b32_e32 v29, s44
	ds_read2_b64 v[72:75], v29 offset1:1
	s_add_i32 s44, s42, 0xffffff78
	v_fma_f64 v[82:83], -v[23:24], v[51:52], v[68:69]
	v_mov_b32_e32 v51, s44
	s_add_i32 s44, s42, 0xffffff68
	s_waitcnt lgkmcnt(0)
	v_fma_f64 v[15:16], -v[7:8], v[74:75], v[15:16]
	v_fma_f64 v[55:56], -v[25:26], v[53:54], v[55:56]
	v_mov_b32_e32 v68, s44
	s_sub_i32 s44, s41, 24
	v_mul_f64 v[29:30], v[70:71], v[76:77]
	ds_read2_b64 v[51:54], v51 offset1:1
	ds_read2_b64 v[68:71], v68 offset1:1
	v_fma_f64 v[58:59], -v[49:50], v[58:59], v[80:81]
	s_addk_i32 s42, 0xff58
	v_fma_f64 v[15:16], -v[5:6], v[72:73], v[15:16]
	v_fma_f64 v[62:63], -v[27:28], v[62:63], v[55:56]
	v_mov_b32_e32 v55, s44
	ds_read2_b64 v[72:75], v55 offset1:1
	s_sub_i32 s44, s41, 40
	ds_write_b64 v57, v[7:8]
	s_waitcnt lgkmcnt(3)
	v_fma_f64 v[80:81], -v[45:46], v[53:54], v[58:59]
	v_mov_b32_e32 v53, s44
	s_waitcnt lgkmcnt(1)
	v_fma_f64 v[15:16], -v[9:10], v[74:75], v[15:16]
	v_fma_f64 v[62:63], -v[31:32], v[60:61], v[62:63]
	s_add_i32 s44, s38, 0xffffffa0
	v_mov_b32_e32 v58, s44
	ds_read2_b64 v[53:56], v53 offset1:1
	ds_read2_b64 v[58:61], v58 offset1:1
	v_fma_f64 v[51:52], -v[37:38], v[51:52], v[80:81]
	s_add_i32 s44, s38, 0xffffff90
	v_fma_f64 v[15:16], -v[11:12], v[72:73], v[15:16]
	v_mov_b32_e32 v74, s44
	s_waitcnt lgkmcnt(0)
	v_fma_f64 v[60:61], -v[33:34], v[60:61], v[62:63]
	v_fma_f64 v[62:63], -v[29:30], v[66:67], v[82:83]
	ds_read2_b64 v[74:77], v74 offset1:1
	v_add_u32_e32 v57, s13, v79
	v_fma_f64 v[70:71], -v[35:36], v[70:71], v[51:52]
	s_add_i32 s13, s41, 0xffffff68
	v_fma_f64 v[55:56], -v[13:14], v[55:56], v[15:16]
	v_mov_b32_e32 v15, s43
	v_fma_f64 v[66:67], -v[39:40], v[58:59], v[60:61]
	s_sub_i32 s43, s41, 56
	v_mov_b32_e32 v51, s43
	ds_read2_b64 v[58:61], v15 offset1:1
	s_add_i32 s43, s41, 0xffffffb8
	v_fma_f64 v[84:85], -v[43:44], v[68:69], v[70:71]
	v_fma_f64 v[55:56], -v[17:18], v[53:54], v[55:56]
	ds_read2_b64 v[51:54], v51 offset1:1
	s_waitcnt lgkmcnt(2)
	v_fma_f64 v[66:67], -v[41:42], v[76:77], v[66:67]
	v_mul_f64 v[15:16], v[64:65], v[62:63]
	v_mov_b32_e32 v62, s43
	s_sub_i32 s43, s5, 26
	ds_read2_b64 v[62:65], v62 offset1:1
	s_waitcnt lgkmcnt(1)
	v_fma_f64 v[72:73], -v[19:20], v[53:54], v[55:56]
	v_mov_b32_e32 v53, s42
	s_add_i32 s42, s38, 0xffffff80
	v_fma_f64 v[80:81], -v[47:48], v[74:75], v[66:67]
	v_mov_b32_e32 v66, s42
	s_lshl_b32 s42, s43, 8
	s_add_i32 s44, s42, s17
	v_mov_b32_e32 v70, s44
	v_fma_f64 v[51:52], -v[21:22], v[51:52], v[72:73]
	ds_read_b64 v[74:75], v70
	s_add_i32 s46, s44, -16
	ds_read2_b64 v[66:69], v66 offset1:1
	ds_read2_b64 v[53:56], v53 offset1:1
	s_waitcnt lgkmcnt(2)
	v_fma_f64 v[3:4], -v[7:8], v[74:75], v[3:4]
	v_fma_f64 v[51:52], -v[25:26], v[64:65], v[51:52]
	v_mov_b32_e32 v64, s46
	ds_read2_b64 v[70:73], v64 offset1:1
	s_waitcnt lgkmcnt(2)
	v_fma_f64 v[68:69], -v[49:50], v[68:69], v[80:81]
	s_add_i32 s46, s35, s40
	s_add_i32 s40, s41, 0xffffffa8
	v_mov_b32_e32 v64, s45
	s_waitcnt lgkmcnt(0)
	v_fma_f64 v[3:4], -v[5:6], v[72:73], v[3:4]
	v_fma_f64 v[51:52], -v[27:28], v[62:63], v[51:52]
	v_mov_b32_e32 v62, s40
	ds_read2_b64 v[74:77], v64 offset1:1
	ds_read2_b64 v[62:65], v62 offset1:1
	s_add_i32 s40, s41, 0xffffff98
	v_fma_f64 v[80:81], -v[45:46], v[66:67], v[68:69]
	v_mov_b32_e32 v66, s40
	v_fma_f64 v[3:4], -v[9:10], v[70:71], v[3:4]
	s_sub_i32 s40, s44, 32
	ds_read2_b64 v[66:69], v66 offset1:1
	s_waitcnt lgkmcnt(1)
	v_fma_f64 v[51:52], -v[31:32], v[64:65], v[51:52]
	v_mov_b32_e32 v64, s40
	ds_read2_b64 v[70:73], v64 offset1:1
	s_sub_i32 s40, s44, 48
	s_sub_i32 s45, s5, 27
	v_mov_b32_e32 v64, s40
	s_lshl_b32 s40, s45, 8
	s_waitcnt lgkmcnt(0)
	v_fma_f64 v[3:4], -v[11:12], v[72:73], v[3:4]
	s_add_i32 s17, s40, s17
	s_add_i32 s47, s17, -8
	v_fma_f64 v[51:52], -v[33:34], v[62:63], v[51:52]
	v_mov_b32_e32 v62, s47
	v_fma_f64 v[76:77], -v[37:38], v[76:77], v[80:81]
	ds_read2_b64 v[80:83], v64 offset1:1
	ds_read2_b64 v[62:65], v62 offset1:1
	v_fma_f64 v[86:87], -v[13:14], v[70:71], v[3:4]
	s_sub_i32 s47, s17, 24
	v_mov_b32_e32 v3, s47
	v_fma_f64 v[51:52], -v[39:40], v[68:69], v[51:52]
	s_waitcnt lgkmcnt(0)
	v_fma_f64 v[64:65], -v[7:8], v[64:65], v[1:2]
	ds_read2_b64 v[70:73], v3 offset1:1
	s_sub_i32 s47, s44, 64
	v_mov_b32_e32 v1, s46
	v_fma_f64 v[68:69], -v[17:18], v[82:83], v[86:87]
	v_fma_f64 v[86:87], -v[35:36], v[74:75], v[76:77]
	s_add_i32 s46, s38, 0xffffff60
	v_fma_f64 v[51:52], -v[41:42], v[66:67], v[51:52]
	v_fma_f64 v[74:75], -v[5:6], v[62:63], v[64:65]
	v_mov_b32_e32 v62, s47
	ds_read2_b64 v[62:65], v62 offset1:1
	s_add_i32 s47, s44, 0xffffffb0
	v_fma_f64 v[76:77], -v[19:20], v[80:81], v[68:69]
	v_mov_b32_e32 v66, s47
	ds_read2_b64 v[66:69], v66 offset1:1
	s_sub_i32 s47, s17, 40
	s_waitcnt lgkmcnt(2)
	v_fma_f64 v[80:81], -v[9:10], v[72:73], v[74:75]
	v_mov_b32_e32 v78, s46
	s_add_i32 s46, s41, 0xffffff88
	v_mov_b32_e32 v72, s46
	s_waitcnt lgkmcnt(1)
	v_fma_f64 v[64:65], -v[21:22], v[64:65], v[76:77]
	v_mov_b32_e32 v76, s47
	ds_read2_b64 v[72:75], v72 offset1:1
	s_add_i32 s46, s41, 0xffffff78
	v_fma_f64 v[70:71], -v[11:12], v[70:71], v[80:81]
	ds_read2_b64 v[80:83], v76 offset1:1
	v_fma_f64 v[55:56], -v[23:24], v[55:56], v[84:85]
	s_sub_i32 s47, s17, 56
	v_fma_f64 v[76:77], -v[25:26], v[62:63], v[64:65]
	v_mov_b32_e32 v62, s47
	ds_read2_b64 v[62:65], v62 offset1:1
	s_addk_i32 s38, 0xff50
	s_waitcnt lgkmcnt(1)
	v_fma_f64 v[88:89], -v[13:14], v[82:83], v[70:71]
	v_mov_b32_e32 v70, s46
	ds_read2_b64 v[82:85], v70 offset1:1
	v_fma_f64 v[51:52], -v[47:48], v[74:75], v[51:52]
	v_fma_f64 v[90:91], -v[27:28], v[68:69], v[76:77]
	ds_read2_b64 v[68:71], v78 offset1:1
	v_mov_b32_e32 v74, s38
	s_add_i32 s38, s44, 0xffffffa0
	v_fma_f64 v[80:81], -v[17:18], v[80:81], v[88:89]
	ds_read2_b64 v[74:77], v74 offset1:1
	s_waitcnt lgkmcnt(1)
	v_fma_f64 v[86:87], -v[43:44], v[70:71], v[86:87]
	v_fma_f64 v[51:52], -v[49:50], v[72:73], v[51:52]
	;; [unrolled: 1-line block ×3, first 2 shown]
	v_mov_b32_e32 v66, s38
	ds_read2_b64 v[70:73], v66 offset1:1
	s_add_i32 s38, s44, 0xffffff90
	v_fma_f64 v[80:81], -v[19:20], v[64:65], v[80:81]
	v_mov_b32_e32 v64, s38
	s_add_i32 s38, s17, 0xffffffb8
	v_fma_f64 v[84:85], -v[45:46], v[84:85], v[51:52]
	s_waitcnt lgkmcnt(0)
	v_fma_f64 v[72:73], -v[33:34], v[72:73], v[88:89]
	v_mov_b32_e32 v51, s38
	ds_read2_b64 v[1:4], v1 offset1:1
	v_fma_f64 v[55:56], -v[29:30], v[53:54], v[55:56]
	v_fma_f64 v[62:63], -v[21:22], v[62:63], v[80:81]
	ds_read2_b64 v[51:54], v51 offset1:1
	ds_read2_b64 v[64:67], v64 offset1:1
	s_add_i32 s38, s17, 0xffffffa8
	v_fma_f64 v[72:73], -v[39:40], v[70:71], v[72:73]
	v_fma_f64 v[86:87], -v[23:24], v[68:69], v[86:87]
	v_mov_b32_e32 v68, s38
	ds_read2_b64 v[68:71], v68 offset1:1
	s_waitcnt lgkmcnt(2)
	v_fma_f64 v[53:54], -v[25:26], v[53:54], v[62:63]
	v_fma_f64 v[3:4], -v[15:16], v[3:4], v[55:56]
	;; [unrolled: 1-line block ×3, first 2 shown]
	s_sub_i32 s5, s5, 28
	s_waitcnt lgkmcnt(1)
	v_fma_f64 v[62:63], -v[41:42], v[66:67], v[72:73]
	v_fma_f64 v[7:8], -v[29:30], v[76:77], v[86:87]
	;; [unrolled: 1-line block ×3, first 2 shown]
	v_mov_b32_e32 v51, s13
	s_add_i32 s13, s41, 0xffffff58
	v_mov_b32_e32 v72, s13
	ds_read2_b64 v[51:54], v51 offset1:1
	ds_read2_b64 v[80:83], v72 offset1:1
	v_fma_f64 v[72:73], -v[47:48], v[64:65], v[62:63]
	s_add_i32 s13, s44, 0xffffff80
	v_mov_b32_e32 v62, s13
	s_waitcnt lgkmcnt(2)
	v_fma_f64 v[66:67], -v[31:32], v[70:71], v[66:67]
	ds_read2_b64 v[62:65], v62 offset1:1
	s_waitcnt lgkmcnt(2)
	v_fma_f64 v[70:71], -v[35:36], v[53:54], v[55:56]
	s_add_i32 s13, s44, 0xffffff70
	v_mov_b32_e32 v53, s13
	s_add_i32 s13, s17, 0xffffff98
	ds_read2_b64 v[53:56], v53 offset1:1
	s_waitcnt lgkmcnt(1)
	v_fma_f64 v[72:73], -v[49:50], v[64:65], v[72:73]
	v_fma_f64 v[76:77], -v[33:34], v[68:69], v[66:67]
	v_mov_b32_e32 v64, s13
	ds_read2_b64 v[64:67], v64 offset1:1
	s_add_i32 s13, s17, 0xffffff88
	v_mov_b32_e32 v68, s13
	v_fma_f64 v[51:52], -v[43:44], v[51:52], v[70:71]
	ds_read2_b64 v[68:71], v68 offset1:1
	v_fma_f64 v[62:63], -v[45:46], v[62:63], v[72:73]
	s_waitcnt lgkmcnt(1)
	v_fma_f64 v[66:67], -v[39:40], v[66:67], v[76:77]
	ds_write_b64 v57, v[5:6]
	v_add_u32_e32 v5, s11, v79
	ds_write_b64 v5, v[9:10]
	v_mul_f64 v[72:73], v[1:2], v[3:4]
	v_fma_f64 v[1:2], -v[15:16], v[74:75], v[7:8]
	v_add_u32_e32 v9, s12, v79
	v_fma_f64 v[7:8], -v[37:38], v[55:56], v[62:63]
	v_fma_f64 v[5:6], -v[41:42], v[64:65], v[66:67]
	ds_write_b64 v9, v[11:12]
	v_fma_f64 v[3:4], -v[23:24], v[82:83], v[51:52]
	s_add_i32 s11, s41, 0xffffff48
	v_mov_b32_e32 v57, s11
	s_add_i32 s11, s44, 0xffffff60
	v_fma_f64 v[55:56], -v[72:73], v[60:61], v[1:2]
	v_fma_f64 v[51:52], -v[35:36], v[53:54], v[7:8]
	s_waitcnt lgkmcnt(3)
	v_fma_f64 v[9:10], -v[47:48], v[70:71], v[5:6]
	v_mov_b32_e32 v1, s11
	s_add_i32 s11, s44, 0xffffff50
	v_mov_b32_e32 v5, s11
	s_add_i32 s11, s17, 0xffffff78
	v_fma_f64 v[74:75], -v[29:30], v[80:81], v[3:4]
	ds_read2_b64 v[1:4], v1 offset1:1
	ds_read2_b64 v[5:8], v5 offset1:1
	v_fma_f64 v[60:61], -v[49:50], v[68:69], v[9:10]
	v_mov_b32_e32 v9, s11
	ds_read2_b64 v[9:12], v9 offset1:1
	s_add_i32 s11, s17, 0xffffff68
	s_waitcnt lgkmcnt(2)
	v_fma_f64 v[3:4], -v[43:44], v[3:4], v[51:52]
	v_mov_b32_e32 v51, s11
	ds_read2_b64 v[51:54], v51 offset1:1
	s_lshl_b32 s11, s39, 3
	s_waitcnt lgkmcnt(1)
	v_fma_f64 v[11:12], -v[45:46], v[11:12], v[60:61]
	ds_read2_b64 v[60:63], v57 offset1:1
	s_add_i32 s11, s37, s11
	v_mov_b32_e32 v57, s11
	v_fma_f64 v[1:2], -v[23:24], v[1:2], v[3:4]
	ds_read2_b64 v[64:67], v57 offset1:1
	s_waitcnt lgkmcnt(1)
	v_fma_f64 v[62:63], -v[15:16], v[62:63], v[74:75]
	s_add_i32 s11, s17, 0xffffff48
	v_fma_f64 v[3:4], -v[37:38], v[9:10], v[11:12]
	v_add_u32_e32 v9, s8, v79
	ds_write_b64 v9, v[13:14]
	v_add_u32_e32 v9, s14, v79
	ds_write_b64 v9, v[17:18]
	v_mul_f64 v[13:14], v[58:59], v[55:56]
	v_fma_f64 v[9:10], -v[72:73], v[60:61], v[62:63]
	v_fma_f64 v[1:2], -v[29:30], v[7:8], v[1:2]
	;; [unrolled: 1-line block ×3, first 2 shown]
	v_add_u32_e32 v7, s15, v79
	ds_write_b64 v7, v[19:20]
	v_add_u32_e32 v7, s16, v79
	ds_write_b64 v7, v[21:22]
	s_add_i32 s8, s17, 0xffffff58
	s_waitcnt lgkmcnt(4)
	v_fma_f64 v[21:22], -v[13:14], v[66:67], v[9:10]
	v_fma_f64 v[53:54], -v[15:16], v[5:6], v[1:2]
	;; [unrolled: 1-line block ×3, first 2 shown]
	v_mov_b32_e32 v1, s8
	ds_read2_b64 v[1:4], v1 offset1:1
	v_mov_b32_e32 v5, s11
	ds_read2_b64 v[5:8], v5 offset1:1
	s_add_i32 s8, s44, 0xffffff40
	v_mul_f64 v[21:22], v[64:65], v[21:22]
	v_add_u32_e32 v55, s18, v79
	s_waitcnt lgkmcnt(1)
	v_fma_f64 v[3:4], -v[23:24], v[3:4], v[9:10]
	v_mov_b32_e32 v9, s8
	ds_read2_b64 v[9:12], v9 offset1:1
	s_lshl_b32 s8, s43, 3
	s_add_i32 s8, s42, s8
	v_mov_b32_e32 v17, s8
	ds_read2_b64 v[17:20], v17 offset1:1
	s_waitcnt lgkmcnt(1)
	v_fma_f64 v[11:12], -v[72:73], v[11:12], v[53:54]
	v_fma_f64 v[1:2], -v[29:30], v[1:2], v[3:4]
	v_add_u32_e32 v3, s19, v79
	ds_write_b64 v3, v[27:28]
	v_add_u32_e32 v3, s20, v79
	ds_write_b64 v3, v[31:32]
	s_add_i32 s8, s17, 0xffffff38
	ds_write_b64 v55, v[25:26]
	v_fma_f64 v[3:4], -v[13:14], v[9:10], v[11:12]
	v_fma_f64 v[1:2], -v[15:16], v[7:8], v[1:2]
	v_add_u32_e32 v7, s21, v79
	ds_write_b64 v7, v[33:34]
	v_add_u32_e32 v7, s23, v79
	ds_write_b64 v7, v[39:40]
	;; [unrolled: 2-line block ×3, first 2 shown]
	s_waitcnt lgkmcnt(6)
	v_fma_f64 v[9:10], -v[21:22], v[19:20], v[3:4]
	v_fma_f64 v[11:12], -v[72:73], v[5:6], v[1:2]
	v_mov_b32_e32 v1, s8
	ds_read2_b64 v[1:4], v1 offset1:1
	s_lshl_b32 s8, s45, 3
	s_add_i32 s8, s40, s8
	v_mov_b32_e32 v5, s8
	ds_read2_b64 v[5:8], v5 offset1:1
	v_mul_f64 v[9:10], v[17:18], v[9:10]
	s_waitcnt lgkmcnt(1)
	v_fma_f64 v[3:4], -v[13:14], v[3:4], v[11:12]
	v_add_u32_e32 v11, s25, v79
	ds_write_b64 v11, v[47:48]
	v_add_u32_e32 v11, s26, v79
	ds_write_b64 v11, v[49:50]
	;; [unrolled: 2-line block ×3, first 2 shown]
	v_fma_f64 v[1:2], -v[21:22], v[1:2], v[3:4]
	v_add_u32_e32 v3, s28, v79
	ds_write_b64 v3, v[37:38]
	v_add_u32_e32 v3, s29, v79
	ds_write_b64 v3, v[35:36]
	;; [unrolled: 2-line block ×3, first 2 shown]
	v_add_u32_e32 v3, s31, v79
	s_waitcnt lgkmcnt(6)
	v_fma_f64 v[1:2], -v[9:10], v[7:8], v[1:2]
	ds_write_b64 v3, v[23:24]
	v_add_u32_e32 v3, s33, v79
	ds_write_b64 v3, v[29:30]
	v_add_u32_e32 v3, s34, v79
	;; [unrolled: 2-line block ×3, first 2 shown]
	ds_write_b64 v3, v[72:73]
	v_mul_f64 v[1:2], v[5:6], v[1:2]
	v_add_u32_e32 v3, s36, v79
	ds_write_b64 v3, v[13:14]
	v_add_u32_e32 v3, s37, v79
	ds_write_b64 v3, v[21:22]
	;; [unrolled: 2-line block ×4, first 2 shown]
.LBB104_18:
	s_cmp_lt_i32 s5, 0
	s_cbranch_scc1 .LBB104_35
; %bb.19:
	s_and_b32 s8, s5, 3
	s_cmp_eq_u32 s8, 3
	v_lshlrev_b32_e32 v3, 3, v0
	s_mov_b32 s8, s5
	s_cbranch_scc1 .LBB104_24
; %bb.20:
	s_add_i32 s8, s5, 1
	s_and_b32 s11, s8, 3
	s_lshl_b32 s8, s5, 8
	s_lshl_b32 s12, s22, 3
	s_add_i32 s8, s8, s12
	v_lshl_or_b32 v1, s22, 8, v3
	s_add_i32 s12, s8, -8
	v_add_u32_e32 v4, 0x1f00, v1
	s_mov_b32 s13, 0
	s_mov_b32 s8, s5
	s_branch .LBB104_22
.LBB104_21:                             ;   in Loop: Header=BB104_22 Depth=1
	s_mul_i32 s14, s8, 0x108
	v_mov_b32_e32 v6, s14
	ds_read_b64 v[6:7], v6
	s_add_i32 s8, s8, -1
	s_add_i32 s13, s13, 1
	s_addk_i32 s12, 0xff00
	s_cmp_lg_u32 s13, s11
	s_waitcnt lgkmcnt(0)
	v_mul_f64 v[1:2], v[6:7], v[1:2]
	ds_write_b64 v5, v[1:2]
	s_cbranch_scc0 .LBB104_24
.LBB104_22:                             ; =>This Loop Header: Depth=1
                                        ;     Child Loop BB104_23 Depth 2
	s_lshl_b32 s14, s8, 8
	v_add_u32_e32 v5, s14, v79
	ds_read_b64 v[1:2], v5
	s_cmp_le_i32 s4, s8
	v_mov_b32_e32 v6, v4
	s_mov_b32 s14, s12
	s_mov_b32 s15, s4
	s_cbranch_scc1 .LBB104_21
.LBB104_23:                             ;   Parent Loop BB104_22 Depth=1
                                        ; =>  This Inner Loop Header: Depth=2
	v_mov_b32_e32 v9, s14
	ds_read_b64 v[7:8], v6
	ds_read_b64 v[9:10], v9
	s_add_i32 s15, s15, -1
	s_add_i32 s14, s14, -8
	s_cmp_gt_i32 s15, s8
	v_add_u32_e32 v6, 0xffffff00, v6
	s_waitcnt lgkmcnt(0)
	v_fma_f64 v[1:2], -v[7:8], v[9:10], v[1:2]
	s_cbranch_scc1 .LBB104_23
	s_branch .LBB104_21
.LBB104_24:
	s_cmp_lt_u32 s5, 3
	s_cbranch_scc1 .LBB104_35
; %bb.25:
	s_lshl_b32 s5, s8, 8
	s_lshl_b32 s11, s22, 3
	s_add_i32 s13, s5, s11
	v_lshl_or_b32 v1, s22, 8, v3
	s_add_i32 s5, s13, -8
	v_add_u32_e32 v5, 0x1f00, v1
	s_add_i32 s11, s13, 0xfffffef8
	s_add_i32 s12, s13, 0xfffffdf8
	s_addk_i32 s13, 0xfcf8
	s_branch .LBB104_27
.LBB104_26:                             ;   in Loop: Header=BB104_27 Depth=1
	s_addk_i32 s14, 0xfef8
	v_mov_b32_e32 v3, s14
	ds_read_b64 v[3:4], v3
	s_add_i32 s14, s8, -4
	s_addk_i32 s5, 0xfc00
	s_addk_i32 s11, 0xfc00
	;; [unrolled: 1-line block ×3, first 2 shown]
	s_waitcnt lgkmcnt(0)
	v_mul_f64 v[1:2], v[3:4], v[1:2]
	s_addk_i32 s13, 0xfc00
	s_cmp_lt_i32 s8, 4
	s_mov_b32 s8, s14
	ds_write_b64 v6, v[1:2]
	s_cbranch_scc1 .LBB104_35
.LBB104_27:                             ; =>This Loop Header: Depth=1
                                        ;     Child Loop BB104_28 Depth 2
                                        ;     Child Loop BB104_30 Depth 2
	;; [unrolled: 1-line block ×4, first 2 shown]
	s_lshl_b32 s15, s8, 8
	v_add_u32_e32 v7, s15, v79
	ds_read_b64 v[3:4], v7
	s_cmp_le_i32 s4, s8
	v_mov_b32_e32 v1, v5
	s_mov_b32 s14, s5
	s_mov_b32 s16, s4
	s_cbranch_scc1 .LBB104_29
.LBB104_28:                             ;   Parent Loop BB104_27 Depth=1
                                        ; =>  This Inner Loop Header: Depth=2
	v_mov_b32_e32 v2, s14
	ds_read_b64 v[8:9], v1
	ds_read_b64 v[10:11], v2
	s_add_i32 s16, s16, -1
	s_add_i32 s14, s14, -8
	s_cmp_gt_i32 s16, s8
	v_add_u32_e32 v1, 0xffffff00, v1
	s_waitcnt lgkmcnt(0)
	v_fma_f64 v[3:4], -v[8:9], v[10:11], v[3:4]
	s_cbranch_scc1 .LBB104_28
.LBB104_29:                             ;   in Loop: Header=BB104_27 Depth=1
	s_mul_i32 s14, s8, 0x108
	v_mov_b32_e32 v1, s14
	ds_read_b64 v[8:9], v1
	s_addk_i32 s15, 0xff00
	v_add_u32_e32 v6, s15, v79
	ds_read_b64 v[1:2], v6
	s_mov_b32 s15, s11
	s_waitcnt lgkmcnt(1)
	v_mul_f64 v[8:9], v[8:9], v[3:4]
	v_mov_b32_e32 v3, v5
	s_cmp_le_i32 s22, s8
	s_mov_b32 s16, s22
	ds_write_b64 v7, v[8:9]
	s_cbranch_scc1 .LBB104_31
.LBB104_30:                             ;   Parent Loop BB104_27 Depth=1
                                        ; =>  This Inner Loop Header: Depth=2
	v_mov_b32_e32 v4, s15
	ds_read_b64 v[7:8], v3
	ds_read_b64 v[9:10], v4
	s_add_i32 s16, s16, -1
	s_add_i32 s15, s15, -8
	s_cmp_gt_i32 s16, s8
	v_add_u32_e32 v3, 0xffffff00, v3
	s_waitcnt lgkmcnt(0)
	v_fma_f64 v[1:2], -v[7:8], v[9:10], v[1:2]
	s_cbranch_scc1 .LBB104_30
.LBB104_31:                             ;   in Loop: Header=BB104_27 Depth=1
	s_addk_i32 s14, 0xfef8
	v_mov_b32_e32 v3, s14
	ds_read_b64 v[8:9], v3
	s_add_i32 s15, s8, -2
	s_lshl_b32 s16, s15, 8
	v_add_u32_e32 v7, s16, v79
	ds_read_b64 v[3:4], v7
	s_waitcnt lgkmcnt(1)
	v_mul_f64 v[8:9], v[8:9], v[1:2]
	v_mov_b32_e32 v1, v5
	s_mov_b32 s16, s12
	s_cmp_le_i32 s4, s15
	s_mov_b32 s17, s4
	ds_write_b64 v6, v[8:9]
	s_cbranch_scc1 .LBB104_33
.LBB104_32:                             ;   Parent Loop BB104_27 Depth=1
                                        ; =>  This Inner Loop Header: Depth=2
	v_mov_b32_e32 v2, s16
	ds_read_b64 v[8:9], v1
	ds_read_b64 v[10:11], v2
	s_add_i32 s17, s17, -1
	s_add_i32 s16, s16, -8
	s_cmp_gt_i32 s17, s15
	v_add_u32_e32 v1, 0xffffff00, v1
	s_waitcnt lgkmcnt(0)
	v_fma_f64 v[3:4], -v[8:9], v[10:11], v[3:4]
	s_cbranch_scc1 .LBB104_32
.LBB104_33:                             ;   in Loop: Header=BB104_27 Depth=1
	s_addk_i32 s14, 0xfef8
	v_mov_b32_e32 v1, s14
	ds_read_b64 v[8:9], v1
	s_add_i32 s15, s8, -3
	s_lshl_b32 s16, s15, 8
	v_add_u32_e32 v6, s16, v79
	ds_read_b64 v[1:2], v6
	s_waitcnt lgkmcnt(1)
	v_mul_f64 v[8:9], v[8:9], v[3:4]
	v_mov_b32_e32 v3, v5
	s_mov_b32 s16, s13
	s_cmp_le_i32 s4, s15
	s_mov_b32 s17, s4
	ds_write_b64 v7, v[8:9]
	s_cbranch_scc1 .LBB104_26
.LBB104_34:                             ;   Parent Loop BB104_27 Depth=1
                                        ; =>  This Inner Loop Header: Depth=2
	v_mov_b32_e32 v4, s16
	ds_read_b64 v[7:8], v3
	ds_read_b64 v[9:10], v4
	s_add_i32 s17, s17, -1
	s_add_i32 s16, s16, -8
	s_cmp_gt_i32 s17, s15
	v_add_u32_e32 v3, 0xffffff00, v3
	s_waitcnt lgkmcnt(0)
	v_fma_f64 v[1:2], -v[7:8], v[9:10], v[1:2]
	s_cbranch_scc1 .LBB104_34
	s_branch .LBB104_26
.LBB104_35:
	s_mov_b64 s[4:5], 0
.LBB104_36:
	s_and_b64 vcc, exec, s[4:5]
	s_cbranch_vccz .LBB104_50
; %bb.37:
	s_cmp_gt_i32 s10, 31
	s_cselect_b64 s[4:5], -1, 0
	s_mov_b32 s8, 0
	s_and_b64 vcc, exec, s[4:5]
	s_cbranch_vccz .LBB104_39
; %bb.38:
	ds_read2_b64 v[7:10], v79 offset1:32
	v_mov_b32_e32 v77, 0
	ds_read_b128 v[11:14], v77
	ds_read_b128 v[21:24], v77 offset:16
	v_add_u32_e32 v78, 0x800, v79
	v_mov_b32_e32 v80, 0x948
	v_mov_b32_e32 v81, 0x958
	s_waitcnt lgkmcnt(1)
	v_mul_f64 v[69:70], v[11:12], v[7:8]
	ds_read2_b64 v[31:34], v79 offset0:64 offset1:96
	ds_read2_b64 v[5:8], v79 offset0:128 offset1:160
	;; [unrolled: 1-line block ×3, first 2 shown]
	s_movk_i32 s8, 0x1f8
	v_fma_f64 v[9:10], -v[69:70], v[13:14], v[9:10]
	ds_read2_b64 v[25:28], v78 offset1:32
	ds_read2_b64 v[35:38], v77 offset0:33 offset1:34
	ds_read2_b64 v[17:20], v78 offset0:64 offset1:96
	;; [unrolled: 1-line block ×4, first 2 shown]
	s_waitcnt lgkmcnt(7)
	v_fma_f64 v[21:22], -v[69:70], v[21:22], v[31:32]
	v_fma_f64 v[75:76], -v[69:70], v[23:24], v[33:34]
	s_waitcnt lgkmcnt(3)
	v_mul_f64 v[71:72], v[35:36], v[9:10]
	ds_read2_b64 v[9:12], v78 offset0:192 offset1:224
	ds_read_b128 v[57:60], v77 offset:528
	ds_read2_b64 v[41:44], v77 offset0:99 offset1:100
	ds_read2_b64 v[29:32], v77 offset0:101 offset1:102
	ds_read_b128 v[61:64], v77 offset:32
	ds_read_b128 v[45:48], v77 offset:48
	s_waitcnt lgkmcnt(1)
	v_fma_f64 v[5:6], -v[69:70], v[61:62], v[5:6]
	v_fma_f64 v[63:64], -v[69:70], v[63:64], v[7:8]
	s_waitcnt lgkmcnt(0)
	v_fma_f64 v[1:2], -v[69:70], v[45:46], v[1:2]
	v_fma_f64 v[73:74], -v[71:72], v[37:38], v[21:22]
	;; [unrolled: 1-line block ×3, first 2 shown]
	ds_read_b128 v[49:52], v77 offset:544
	ds_read_b128 v[37:40], v77 offset:560
	;; [unrolled: 1-line block ×4, first 2 shown]
	ds_read2_b64 v[65:68], v77 offset0:61 offset1:62
	v_fma_f64 v[3:4], -v[69:70], v[47:48], v[3:4]
	v_fma_f64 v[106:107], -v[71:72], v[55:56], v[5:6]
	v_mul_f64 v[53:54], v[57:58], v[73:74]
	ds_read2_b64 v[73:76], v77 offset0:37 offset1:38
	ds_read2_b64 v[82:85], v77 offset0:39 offset1:40
	;; [unrolled: 1-line block ×6, first 2 shown]
	s_waitcnt lgkmcnt(5)
	v_fma_f64 v[45:46], -v[71:72], v[73:74], v[63:64]
	v_fma_f64 v[1:2], -v[71:72], v[75:76], v[1:2]
	s_waitcnt lgkmcnt(4)
	v_fma_f64 v[82:83], -v[71:72], v[82:83], v[3:4]
	v_fma_f64 v[108:109], -v[53:54], v[59:60], v[61:62]
	v_fma_f64 v[49:50], -v[53:54], v[49:50], v[106:107]
	v_fma_f64 v[51:52], -v[53:54], v[51:52], v[45:46]
	ds_read2_b64 v[5:8], v77 offset0:231 offset1:232
	ds_read2_b64 v[55:58], v77 offset0:233 offset1:234
	ds_read_b128 v[59:62], v77 offset:64
	ds_read_b128 v[102:105], v77 offset:80
	v_fma_f64 v[37:38], -v[53:54], v[37:38], v[1:2]
	v_fma_f64 v[39:40], -v[53:54], v[39:40], v[82:83]
	s_waitcnt lgkmcnt(1)
	v_fma_f64 v[59:60], -v[69:70], v[59:60], v[25:26]
	v_mul_f64 v[41:42], v[41:42], v[108:109]
	ds_read_b128 v[106:109], v77 offset:576
	ds_read_b128 v[110:113], v77 offset:592
	;; [unrolled: 1-line block ×4, first 2 shown]
	s_waitcnt lgkmcnt(4)
	v_fma_f64 v[82:83], -v[69:70], v[104:105], v[19:20]
	v_fma_f64 v[59:60], -v[71:72], v[84:85], v[59:60]
	;; [unrolled: 1-line block ×6, first 2 shown]
	ds_read_b128 v[43:46], v77 offset:1600
	ds_read_b128 v[47:50], v77 offset:1616
	;; [unrolled: 1-line block ×4, first 2 shown]
	ds_read2_b64 v[1:4], v77 offset0:41 offset1:42
	ds_read2_b64 v[126:129], v77 offset0:43 offset1:44
	;; [unrolled: 1-line block ×4, first 2 shown]
	v_fma_f64 v[39:40], -v[41:42], v[94:95], v[39:40]
	v_mul_f64 v[25:26], v[33:34], v[63:64]
	v_fma_f64 v[63:64], -v[69:70], v[102:103], v[17:18]
	s_waitcnt lgkmcnt(3)
	v_fma_f64 v[1:2], -v[71:72], v[1:2], v[51:52]
	v_fma_f64 v[51:52], -v[53:54], v[106:107], v[59:60]
	s_waitcnt lgkmcnt(2)
	v_fma_f64 v[94:95], -v[71:72], v[126:127], v[82:83]
	v_fma_f64 v[35:36], -v[25:26], v[35:36], v[29:30]
	;; [unrolled: 1-line block ×7, first 2 shown]
	ds_read_b128 v[27:30], v77 offset:608
	ds_read2_b64 v[31:34], v77 offset0:45 offset1:46
	v_mul_f64 v[17:18], v[86:87], v[35:36]
	ds_read_b128 v[35:38], v77 offset:96
	ds_read_b128 v[59:62], v77 offset:112
	v_fma_f64 v[63:64], -v[53:54], v[110:111], v[63:64]
	v_fma_f64 v[96:97], -v[41:42], v[98:99], v[84:85]
	;; [unrolled: 1-line block ×3, first 2 shown]
	s_waitcnt lgkmcnt(1)
	v_fma_f64 v[35:36], -v[69:70], v[35:36], v[13:14]
	s_waitcnt lgkmcnt(0)
	v_fma_f64 v[9:10], -v[69:70], v[59:60], v[9:10]
	v_fma_f64 v[11:12], -v[69:70], v[61:62], v[11:12]
	;; [unrolled: 1-line block ×3, first 2 shown]
	ds_read_b128 v[19:22], v77 offset:1584
	ds_read2_b64 v[1:4], v77 offset0:189 offset1:190
	v_fma_f64 v[23:24], -v[17:18], v[90:91], v[23:24]
	ds_read2_b64 v[82:85], v77 offset0:107 offset1:108
	ds_read2_b64 v[86:89], v77 offset0:109 offset1:110
	v_fma_f64 v[51:52], -v[17:18], v[92:93], v[51:52]
	ds_read_b128 v[90:93], v77 offset:624
	v_fma_f64 v[9:10], -v[71:72], v[33:34], v[9:10]
	s_waitcnt lgkmcnt(4)
	v_mul_f64 v[13:14], v[19:20], v[39:40]
	v_fma_f64 v[19:20], -v[71:72], v[128:129], v[35:36]
	v_fma_f64 v[35:36], -v[53:54], v[112:113], v[94:95]
	;; [unrolled: 1-line block ×5, first 2 shown]
	s_waitcnt lgkmcnt(0)
	v_fma_f64 v[9:10], -v[53:54], v[90:91], v[9:10]
	v_fma_f64 v[21:22], -v[13:14], v[21:22], v[23:24]
	;; [unrolled: 1-line block ×8, first 2 shown]
	v_mul_f64 v[15:16], v[5:6], v[21:22]
	v_fma_f64 v[5:6], -v[71:72], v[31:32], v[94:95]
	v_fma_f64 v[19:20], -v[41:42], v[84:85], v[19:20]
	;; [unrolled: 1-line block ×5, first 2 shown]
	ds_read_b128 v[21:24], v77 offset:1120
	ds_read2_b64 v[35:38], v77 offset0:47 offset1:48
	v_fma_f64 v[7:8], -v[15:16], v[7:8], v[43:44]
	v_fma_f64 v[51:52], -v[53:54], v[29:30], v[5:6]
	s_waitcnt lgkmcnt(1)
	v_fma_f64 v[21:22], -v[25:26], v[21:22], v[19:20]
	v_fma_f64 v[59:60], -v[17:18], v[134:135], v[27:28]
	;; [unrolled: 1-line block ×4, first 2 shown]
	ds_read_b128 v[43:46], v77 offset:1136
	s_waitcnt lgkmcnt(1)
	v_fma_f64 v[35:36], -v[71:72], v[35:36], v[11:12]
	v_mul_f64 v[19:20], v[73:74], v[7:8]
	ds_read2_b64 v[5:8], v80 offset1:1
	ds_read2_b64 v[27:30], v81 offset1:1
	ds_read_b128 v[80:83], v77 offset:1632
	v_fma_f64 v[21:22], -v[17:18], v[136:137], v[21:22]
	v_fma_f64 v[59:60], -v[13:14], v[49:50], v[59:60]
	;; [unrolled: 1-line block ×4, first 2 shown]
	ds_read2_b64 v[31:34], v77 offset0:235 offset1:236
	ds_read2_b64 v[48:51], v77 offset0:237 offset1:238
	ds_read_b128 v[55:58], v77 offset:1648
	s_waitcnt lgkmcnt(6)
	v_fma_f64 v[9:10], -v[25:26], v[43:44], v[9:10]
	v_fma_f64 v[39:40], -v[19:20], v[75:76], v[39:40]
	v_mov_b32_e32 v52, 0xb58
	s_waitcnt lgkmcnt(3)
	v_fma_f64 v[80:81], -v[13:14], v[80:81], v[21:22]
	v_fma_f64 v[35:36], -v[53:54], v[92:93], v[35:36]
	v_fma_f64 v[90:91], -v[19:20], v[122:123], v[73:74]
	v_fma_f64 v[23:24], -v[25:26], v[23:24], v[63:64]
	ds_read_b128 v[73:76], v77 offset:2144
	ds_read2_b64 v[84:87], v77 offset0:173 offset1:174
	ds_read2_b64 v[94:97], v77 offset0:175 offset1:176
	v_add_u32_e32 v47, 0x1000, v79
	v_mul_f64 v[21:22], v[5:6], v[39:40]
	s_waitcnt lgkmcnt(5)
	v_fma_f64 v[5:6], -v[15:16], v[31:32], v[59:60]
	v_fma_f64 v[39:40], -v[15:16], v[33:34], v[80:81]
	s_waitcnt lgkmcnt(1)
	v_fma_f64 v[43:44], -v[17:18], v[86:87], v[9:10]
	v_mov_b32_e32 v9, 0x968
	v_fma_f64 v[80:81], -v[17:18], v[84:85], v[23:24]
	v_fma_f64 v[59:60], -v[21:22], v[7:8], v[90:91]
	;; [unrolled: 1-line block ×3, first 2 shown]
	ds_read_b128 v[5:8], v77 offset:2640
	ds_read_b128 v[31:34], v77 offset:2656
	;; [unrolled: 1-line block ×3, first 2 shown]
	v_fma_f64 v[39:40], -v[19:20], v[73:74], v[39:40]
	v_fma_f64 v[43:44], -v[13:14], v[55:56], v[43:44]
	ds_read2_b64 v[9:12], v9 offset1:1
	s_waitcnt lgkmcnt(3)
	v_mul_f64 v[23:24], v[5:6], v[59:60]
	v_fma_f64 v[5:6], -v[21:22], v[27:28], v[63:64]
	v_fma_f64 v[27:28], -v[13:14], v[82:83], v[80:81]
	;; [unrolled: 1-line block ×5, first 2 shown]
	ds_read2_b64 v[5:8], v52 offset1:1
	s_waitcnt lgkmcnt(3)
	v_fma_f64 v[55:56], -v[23:24], v[31:32], v[29:30]
	ds_read2_b64 v[29:32], v47 offset1:32
	v_mov_b32_e32 v52, 0xd68
	s_waitcnt lgkmcnt(1)
	v_mul_f64 v[27:28], v[5:6], v[39:40]
	v_fma_f64 v[5:6], -v[19:20], v[75:76], v[48:49]
	ds_read_b128 v[59:62], v77 offset:3168
	ds_read2_b64 v[73:76], v77 offset0:111 offset1:112
	ds_read_b128 v[80:83], v77 offset:128
	v_fma_f64 v[39:40], -v[15:16], v[50:51], v[43:44]
	ds_read2_b64 v[48:51], v77 offset0:113 offset1:114
	ds_read_b128 v[84:87], v77 offset:144
	s_waitcnt lgkmcnt(3)
	v_fma_f64 v[35:36], -v[41:42], v[73:74], v[35:36]
	ds_read_b128 v[98:101], v77 offset:2688
	v_fma_f64 v[43:44], -v[27:28], v[7:8], v[55:56]
	s_waitcnt lgkmcnt(3)
	v_fma_f64 v[55:56], -v[69:70], v[80:81], v[29:30]
	v_fma_f64 v[9:10], -v[21:22], v[9:10], v[5:6]
	;; [unrolled: 1-line block ×4, first 2 shown]
	ds_read_b128 v[5:8], v77 offset:2800
	v_mul_f64 v[29:30], v[59:60], v[43:44]
	v_fma_f64 v[43:44], -v[25:26], v[45:46], v[35:36]
	v_fma_f64 v[55:56], -v[71:72], v[37:38], v[55:56]
	ds_read_b128 v[37:40], v77 offset:640
	v_fma_f64 v[59:60], -v[23:24], v[33:34], v[9:10]
	v_mov_b32_e32 v9, 0xb68
	v_fma_f64 v[63:64], -v[21:22], v[11:12], v[63:64]
	ds_read2_b64 v[33:36], v9 offset1:1
	v_fma_f64 v[73:74], -v[17:18], v[94:95], v[43:44]
	ds_read_b128 v[43:46], v77 offset:656
	s_waitcnt lgkmcnt(2)
	v_fma_f64 v[37:38], -v[53:54], v[37:38], v[55:56]
	ds_read2_b64 v[92:95], v52 offset1:1
	ds_read_b128 v[9:12], v77 offset:2672
	s_waitcnt lgkmcnt(3)
	v_fma_f64 v[59:60], -v[27:28], v[33:34], v[59:60]
	ds_read2_b64 v[31:34], v77 offset0:49 offset1:50
	v_mov_b32_e32 v52, 0x978
	s_waitcnt lgkmcnt(1)
	v_fma_f64 v[9:10], -v[23:24], v[9:10], v[63:64]
	v_fma_f64 v[63:64], -v[13:14], v[57:58], v[73:74]
	;; [unrolled: 1-line block ×3, first 2 shown]
	s_waitcnt lgkmcnt(0)
	v_fma_f64 v[31:32], -v[71:72], v[31:32], v[88:89]
	ds_read2_b64 v[55:58], v77 offset0:239 offset1:240
	ds_read_b128 v[73:76], v77 offset:1152
	ds_read2_b64 v[80:83], v77 offset0:51 offset1:52
	ds_read2_b64 v[110:113], v47 offset0:64 offset1:96
	;; [unrolled: 1-line block ×3, first 2 shown]
	ds_read_b128 v[106:109], v77 offset:1168
	v_fma_f64 v[9:10], -v[27:28], v[35:36], v[9:10]
	s_waitcnt lgkmcnt(5)
	v_fma_f64 v[55:56], -v[15:16], v[55:56], v[63:64]
	s_waitcnt lgkmcnt(4)
	v_fma_f64 v[63:64], -v[25:26], v[73:74], v[37:38]
	v_fma_f64 v[31:32], -v[53:54], v[39:40], v[31:32]
	;; [unrolled: 1-line block ×3, first 2 shown]
	ds_read2_b64 v[59:62], v52 offset1:1
	ds_read_b128 v[35:38], v77 offset:3184
	v_mov_b32_e32 v52, 0xb78
	v_fma_f64 v[39:40], -v[19:20], v[90:91], v[55:56]
	v_fma_f64 v[55:56], -v[17:18], v[96:97], v[63:64]
	ds_read_b128 v[88:91], v77 offset:1664
	v_fma_f64 v[48:49], -v[41:42], v[48:49], v[31:32]
	s_waitcnt lgkmcnt(5)
	v_fma_f64 v[63:64], -v[69:70], v[84:85], v[110:111]
	ds_read2_b64 v[114:117], v52 offset1:1
	ds_read_b128 v[118:121], v77 offset:1680
	ds_read_b128 v[122:125], v77 offset:3200
	s_waitcnt lgkmcnt(4)
	v_fma_f64 v[9:10], -v[29:30], v[35:36], v[9:10]
	v_fma_f64 v[39:40], -v[21:22], v[59:60], v[39:40]
	s_waitcnt lgkmcnt(3)
	v_fma_f64 v[55:56], -v[13:14], v[88:89], v[55:56]
	v_mul_f64 v[31:32], v[92:93], v[73:74]
	v_fma_f64 v[48:49], -v[25:26], v[75:76], v[48:49]
	v_fma_f64 v[59:60], -v[71:72], v[33:34], v[63:64]
	ds_read2_b64 v[33:36], v77 offset0:177 offset1:178
	v_mov_b32_e32 v52, 0xd88
	v_fma_f64 v[11:12], -v[23:24], v[11:12], v[39:40]
	v_fma_f64 v[63:64], -v[15:16], v[57:58], v[55:56]
	ds_read_b128 v[55:58], v77 offset:2176
	ds_read2_b64 v[73:76], v77 offset0:179 offset1:180
	s_waitcnt lgkmcnt(2)
	v_fma_f64 v[33:34], -v[17:18], v[33:34], v[48:49]
	v_fma_f64 v[39:40], -v[53:54], v[43:44], v[59:60]
	;; [unrolled: 1-line block ×3, first 2 shown]
	ds_read_b128 v[126:129], v77 offset:3696
	ds_read_b128 v[92:95], v77 offset:2192
	s_waitcnt lgkmcnt(3)
	v_fma_f64 v[48:49], -v[19:20], v[55:56], v[63:64]
	v_fma_f64 v[55:56], -v[27:28], v[114:115], v[11:12]
	;; [unrolled: 1-line block ×4, first 2 shown]
	s_waitcnt lgkmcnt(1)
	v_mul_f64 v[33:34], v[126:127], v[43:44]
	ds_read_b128 v[9:12], v77 offset:3312
	v_fma_f64 v[43:44], -v[21:22], v[61:62], v[48:49]
	v_fma_f64 v[61:62], -v[69:70], v[86:87], v[112:113]
	;; [unrolled: 1-line block ×5, first 2 shown]
	v_mov_b32_e32 v37, 0xd78
	ds_read2_b64 v[37:40], v37 offset1:1
	v_mov_b32_e32 v48, 0xf78
	v_fma_f64 v[43:44], -v[23:24], v[98:99], v[43:44]
	v_fma_f64 v[61:62], -v[71:72], v[80:81], v[61:62]
	ds_read2_b64 v[48:51], v48 offset1:1
	s_waitcnt lgkmcnt(1)
	v_fma_f64 v[80:81], -v[31:32], v[37:38], v[55:56]
	v_fma_f64 v[55:56], -v[19:20], v[57:58], v[59:60]
	;; [unrolled: 1-line block ×3, first 2 shown]
	v_mov_b32_e32 v37, 0x988
	ds_read2_b64 v[35:38], v37 offset1:1
	v_fma_f64 v[63:64], -v[27:28], v[116:117], v[43:44]
	v_fma_f64 v[88:89], -v[53:54], v[45:46], v[61:62]
	v_mov_b32_e32 v43, 0xb88
	ds_read2_b64 v[43:46], v43 offset1:1
	s_waitcnt lgkmcnt(1)
	v_fma_f64 v[35:36], -v[21:22], v[35:36], v[55:56]
	ds_read2_b64 v[55:58], v77 offset0:115 offset1:116
	ds_read2_b64 v[84:87], v77 offset0:117 offset1:118
	v_fma_f64 v[96:97], -v[13:14], v[118:119], v[59:60]
	ds_read2_b64 v[59:62], v47 offset0:128 offset1:160
	v_fma_f64 v[80:81], -v[33:34], v[128:129], v[80:81]
	s_waitcnt lgkmcnt(2)
	v_fma_f64 v[55:56], -v[41:42], v[55:56], v[88:89]
	ds_read_b128 v[88:91], v77 offset:160
	v_fma_f64 v[100:101], -v[23:24], v[100:101], v[35:36]
	v_fma_f64 v[63:64], -v[29:30], v[122:123], v[63:64]
	;; [unrolled: 1-line block ×3, first 2 shown]
	ds_read_b128 v[96:99], v77 offset:176
	s_waitcnt lgkmcnt(1)
	v_fma_f64 v[59:60], -v[69:70], v[88:89], v[59:60]
	v_fma_f64 v[55:56], -v[25:26], v[108:109], v[55:56]
	v_mul_f64 v[35:36], v[48:49], v[80:81]
	v_fma_f64 v[43:44], -v[27:28], v[43:44], v[100:101]
	v_fma_f64 v[39:40], -v[31:32], v[39:40], v[63:64]
	ds_read_b128 v[104:107], v77 offset:672
	ds_read_b128 v[108:111], v77 offset:688
	v_fma_f64 v[48:49], -v[19:20], v[92:93], v[102:103]
	v_fma_f64 v[59:60], -v[71:72], v[82:83], v[59:60]
	ds_read_b128 v[100:103], v77 offset:3712
	v_fma_f64 v[55:56], -v[17:18], v[73:74], v[55:56]
	v_fma_f64 v[73:74], -v[29:30], v[124:125], v[43:44]
	ds_read_b128 v[80:83], v77 offset:3728
	s_waitcnt lgkmcnt(1)
	v_fma_f64 v[63:64], -v[33:34], v[100:101], v[39:40]
	v_fma_f64 v[43:44], -v[21:22], v[37:38], v[48:49]
	;; [unrolled: 1-line block ×3, first 2 shown]
	ds_read_b128 v[37:40], v77 offset:2704
	v_fma_f64 v[59:60], -v[13:14], v[120:121], v[55:56]
	ds_read2_b64 v[112:115], v77 offset0:243 offset1:244
	ds_read_b128 v[116:119], v77 offset:2720
	v_fma_f64 v[104:105], -v[69:70], v[90:91], v[61:62]
	v_fma_f64 v[63:64], -v[35:36], v[50:51], v[63:64]
	s_waitcnt lgkmcnt(2)
	v_fma_f64 v[37:38], -v[23:24], v[37:38], v[43:44]
	v_fma_f64 v[48:49], -v[41:42], v[57:58], v[48:49]
	v_mov_b32_e32 v43, 0xf88
	ds_read2_b64 v[55:58], v77 offset0:245 offset1:246
	s_waitcnt lgkmcnt(2)
	v_fma_f64 v[59:60], -v[15:16], v[112:113], v[59:60]
	ds_read_b128 v[120:123], v77 offset:1184
	ds_read2_b64 v[124:127], v52 offset1:1
	ds_read2_b64 v[128:131], v43 offset1:1
	v_mov_b32_e32 v52, 0xb98
	v_fma_f64 v[37:38], -v[27:28], v[45:46], v[37:38]
	s_waitcnt lgkmcnt(2)
	v_fma_f64 v[88:89], -v[25:26], v[120:121], v[48:49]
	ds_read_b128 v[43:46], v77 offset:3216
	ds_read_b128 v[132:135], v77 offset:1200
	s_waitcnt lgkmcnt(3)
	v_fma_f64 v[73:74], -v[31:32], v[124:125], v[73:74]
	v_fma_f64 v[100:101], -v[19:20], v[94:95], v[59:60]
	ds_read_b128 v[59:62], v77 offset:1696
	ds_read_b128 v[48:51], v77 offset:3232
	s_waitcnt lgkmcnt(3)
	v_fma_f64 v[37:38], -v[29:30], v[43:44], v[37:38]
	v_mov_b32_e32 v43, 0x998
	ds_read2_b64 v[92:95], v43 offset1:1
	v_fma_f64 v[43:44], -v[17:18], v[75:76], v[88:89]
	v_fma_f64 v[120:121], -v[33:34], v[102:103], v[73:74]
	ds_read2_b64 v[73:76], v77 offset0:53 offset1:54
	ds_read_b128 v[88:91], v77 offset:1712
	s_waitcnt lgkmcnt(2)
	v_fma_f64 v[92:93], -v[21:22], v[92:93], v[100:101]
	v_fma_f64 v[148:149], -v[31:32], v[126:127], v[37:38]
	ds_read2_b64 v[100:103], v77 offset0:55 offset1:56
	ds_read_b128 v[124:127], v77 offset:4224
	ds_read_b128 v[136:139], v77 offset:4240
	v_fma_f64 v[37:38], -v[13:14], v[59:60], v[43:44]
	s_waitcnt lgkmcnt(4)
	v_fma_f64 v[43:44], -v[71:72], v[73:74], v[104:105]
	ds_read2_b64 v[140:143], v52 offset1:1
	ds_read_b128 v[144:147], v77 offset:2224
	v_fma_f64 v[39:40], -v[23:24], v[39:40], v[92:93]
	v_fma_f64 v[80:81], -v[33:34], v[80:81], v[148:149]
	;; [unrolled: 1-line block ×4, first 2 shown]
	ds_read_b128 v[104:107], v77 offset:2208
	s_waitcnt lgkmcnt(4)
	v_mul_f64 v[37:38], v[124:125], v[63:64]
	s_waitcnt lgkmcnt(2)
	v_fma_f64 v[39:40], -v[27:28], v[140:141], v[39:40]
	v_fma_f64 v[63:64], -v[35:36], v[128:129], v[120:121]
	v_mov_b32_e32 v52, 0xd98
	ds_read2_b64 v[112:115], v52 offset1:1
	s_waitcnt lgkmcnt(1)
	v_fma_f64 v[59:60], -v[19:20], v[104:105], v[59:60]
	v_fma_f64 v[73:74], -v[41:42], v[84:85], v[43:44]
	v_mov_b32_e32 v43, 0x1188
	v_fma_f64 v[80:81], -v[35:36], v[130:131], v[80:81]
	v_fma_f64 v[39:40], -v[29:30], v[45:46], v[39:40]
	v_fma_f64 v[63:64], -v[37:38], v[126:127], v[63:64]
	ds_read2_b64 v[43:46], v43 offset1:1
	v_mov_b32_e32 v52, 0xf98
	v_fma_f64 v[59:60], -v[21:22], v[94:95], v[59:60]
	v_fma_f64 v[73:74], -v[25:26], v[122:123], v[73:74]
	ds_read2_b64 v[92:95], v77 offset0:181 offset1:182
	ds_read2_b64 v[120:123], v47 offset0:192 offset1:224
	;; [unrolled: 1-line block ×3, first 2 shown]
	s_waitcnt lgkmcnt(4)
	v_fma_f64 v[84:85], -v[31:32], v[112:113], v[39:40]
	s_waitcnt lgkmcnt(3)
	v_mul_f64 v[39:40], v[43:44], v[63:64]
	v_fma_f64 v[63:64], -v[37:38], v[136:137], v[80:81]
	v_fma_f64 v[43:44], -v[23:24], v[116:117], v[59:60]
	s_waitcnt lgkmcnt(2)
	v_fma_f64 v[59:60], -v[17:18], v[92:93], v[73:74]
	s_waitcnt lgkmcnt(1)
	v_fma_f64 v[73:74], -v[69:70], v[96:97], v[120:121]
	v_fma_f64 v[84:85], -v[33:34], v[82:83], v[84:85]
	ds_read2_b64 v[80:83], v52 offset1:1
	v_fma_f64 v[63:64], -v[39:40], v[45:46], v[63:64]
	v_mov_b32_e32 v52, 0x1198
	v_fma_f64 v[43:44], -v[27:28], v[142:143], v[43:44]
	v_fma_f64 v[92:93], -v[13:14], v[61:62], v[59:60]
	v_fma_f64 v[73:74], -v[71:72], v[75:76], v[73:74]
	ds_read2_b64 v[59:62], v52 offset1:1
	s_waitcnt lgkmcnt(1)
	v_fma_f64 v[75:76], -v[35:36], v[80:81], v[84:85]
	v_fma_f64 v[48:49], -v[29:30], v[48:49], v[43:44]
	;; [unrolled: 1-line block ×3, first 2 shown]
	ds_read_b128 v[43:46], v77 offset:4752
	v_fma_f64 v[80:81], -v[53:54], v[108:109], v[73:74]
	v_fma_f64 v[92:93], -v[37:38], v[138:139], v[75:76]
	ds_read_b128 v[73:76], v77 offset:4768
	s_waitcnt lgkmcnt(1)
	v_mul_f64 v[43:44], v[43:44], v[63:64]
	v_fma_f64 v[48:49], -v[31:32], v[114:115], v[48:49]
	ds_read_b128 v[112:115], v77 offset:3744
	v_fma_f64 v[55:56], -v[19:20], v[106:107], v[55:56]
	v_fma_f64 v[63:64], -v[41:42], v[86:87], v[80:81]
	;; [unrolled: 1-line block ×3, first 2 shown]
	v_mov_b32_e32 v52, 0x9a8
	ds_read2_b64 v[84:87], v52 offset1:1
	ds_read_b128 v[104:107], v77 offset:3760
	s_waitcnt lgkmcnt(2)
	v_fma_f64 v[48:49], -v[33:34], v[112:113], v[48:49]
	v_mov_b32_e32 v52, 0x1398
	ds_read2_b64 v[128:131], v52 offset1:1
	s_waitcnt lgkmcnt(2)
	v_fma_f64 v[55:56], -v[21:22], v[84:85], v[55:56]
	v_fma_f64 v[45:46], -v[43:44], v[45:46], v[59:60]
	;; [unrolled: 1-line block ×5, first 2 shown]
	ds_read_b128 v[80:83], v77 offset:4256
	v_mov_b32_e32 v52, 0xba8
	v_fma_f64 v[55:56], -v[23:24], v[118:119], v[55:56]
	s_waitcnt lgkmcnt(1)
	v_mul_f64 v[45:46], v[128:129], v[45:46]
	v_fma_f64 v[59:60], -v[71:72], v[100:101], v[59:60]
	v_fma_f64 v[63:64], -v[17:18], v[94:95], v[63:64]
	ds_read2_b64 v[92:95], v52 offset1:1
	ds_read_b128 v[96:99], v77 offset:4272
	s_waitcnt lgkmcnt(2)
	v_fma_f64 v[80:81], -v[37:38], v[80:81], v[48:49]
	v_mov_b32_e32 v48, 0xda8
	ds_read2_b64 v[116:119], v48 offset1:1
	s_waitcnt lgkmcnt(2)
	v_fma_f64 v[55:56], -v[27:28], v[92:93], v[55:56]
	v_fma_f64 v[84:85], -v[53:54], v[110:111], v[59:60]
	;; [unrolled: 1-line block ×4, first 2 shown]
	ds_read2_b64 v[59:62], v77 offset0:119 offset1:120
	v_add_u32_e32 v48, 0x1800, v79
	ds_read2_b64 v[120:123], v48 offset1:32
	v_fma_f64 v[88:89], -v[29:30], v[50:51], v[55:56]
	s_waitcnt lgkmcnt(1)
	v_fma_f64 v[59:60], -v[41:42], v[59:60], v[84:85]
	v_fma_f64 v[63:64], -v[15:16], v[57:58], v[63:64]
	ds_read_b128 v[49:52], v77 offset:192
	ds_read2_b64 v[55:58], v77 offset0:121 offset1:122
	v_fma_f64 v[73:74], -v[43:44], v[73:74], v[80:81]
	ds_read_b128 v[108:111], v77 offset:208
	s_waitcnt lgkmcnt(2)
	v_fma_f64 v[49:50], -v[69:70], v[49:50], v[120:121]
	v_fma_f64 v[80:81], -v[31:32], v[116:117], v[88:89]
	;; [unrolled: 1-line block ×4, first 2 shown]
	v_mov_b32_e32 v88, 0xfa8
	v_fma_f64 v[73:74], -v[45:46], v[130:131], v[73:74]
	v_fma_f64 v[49:50], -v[71:72], v[102:103], v[49:50]
	;; [unrolled: 1-line block ×5, first 2 shown]
	ds_read_b128 v[84:87], v77 offset:704
	ds_read_b128 v[100:103], v77 offset:2736
	ds_read2_b64 v[132:135], v88 offset1:1
	v_mov_b32_e32 v88, 0x11a8
	ds_read_b128 v[112:115], v77 offset:720
	ds_read_b128 v[128:131], v77 offset:2752
	s_waitcnt lgkmcnt(4)
	v_fma_f64 v[49:50], -v[53:54], v[84:85], v[49:50]
	v_fma_f64 v[84:85], -v[13:14], v[90:91], v[59:60]
	ds_read2_b64 v[88:91], v88 offset1:1
	ds_read2_b64 v[136:139], v77 offset0:247 offset1:248
	s_waitcnt lgkmcnt(5)
	v_fma_f64 v[63:64], -v[23:24], v[100:101], v[63:64]
	v_mov_b32_e32 v100, 0x9b8
	s_waitcnt lgkmcnt(4)
	v_fma_f64 v[80:81], -v[35:36], v[132:133], v[80:81]
	v_fma_f64 v[132:133], -v[69:70], v[51:52], v[122:123]
	;; [unrolled: 1-line block ×3, first 2 shown]
	s_waitcnt lgkmcnt(0)
	v_fma_f64 v[84:85], -v[15:16], v[136:137], v[84:85]
	v_fma_f64 v[63:64], -v[27:28], v[94:95], v[63:64]
	ds_read_b128 v[59:62], v77 offset:1216
	ds_read2_b64 v[92:95], v77 offset0:249 offset1:250
	ds_read_b128 v[140:143], v77 offset:3248
	ds_read_b128 v[148:151], v77 offset:1232
	;; [unrolled: 1-line block ×3, first 2 shown]
	s_waitcnt lgkmcnt(4)
	v_fma_f64 v[49:50], -v[25:26], v[59:60], v[49:50]
	v_fma_f64 v[84:85], -v[19:20], v[146:147], v[84:85]
	ds_read2_b64 v[144:147], v100 offset1:1
	s_waitcnt lgkmcnt(3)
	v_fma_f64 v[63:64], -v[29:30], v[140:141], v[63:64]
	v_fma_f64 v[59:60], -v[37:38], v[82:83], v[80:81]
	ds_read_b128 v[80:83], v77 offset:3264
	s_waitcnt lgkmcnt(2)
	v_mul_f64 v[168:169], v[152:153], v[73:74]
	v_fma_f64 v[100:101], -v[17:18], v[126:127], v[49:50]
	s_waitcnt lgkmcnt(1)
	v_fma_f64 v[84:85], -v[21:22], v[144:145], v[84:85]
	v_mov_b32_e32 v49, 0xbb8
	ds_read_b128 v[124:127], v77 offset:1728
	ds_read2_b64 v[49:52], v49 offset1:1
	ds_read2_b64 v[120:123], v77 offset0:57 offset1:58
	ds_read_b128 v[156:159], v77 offset:1744
	v_fma_f64 v[63:64], -v[31:32], v[118:119], v[63:64]
	v_fma_f64 v[59:60], -v[39:40], v[88:89], v[59:60]
	s_waitcnt lgkmcnt(3)
	v_fma_f64 v[124:125], -v[13:14], v[124:125], v[100:101]
	s_waitcnt lgkmcnt(1)
	v_fma_f64 v[120:121], -v[71:72], v[120:121], v[132:133]
	v_fma_f64 v[84:85], -v[23:24], v[102:103], v[84:85]
	ds_read2_b64 v[116:119], v77 offset0:59 offset1:60
	ds_read_b128 v[100:103], v77 offset:4848
	v_fma_f64 v[63:64], -v[33:34], v[104:105], v[63:64]
	v_fma_f64 v[104:105], -v[43:44], v[75:76], v[59:60]
	;; [unrolled: 1-line block ×5, first 2 shown]
	ds_read_b128 v[136:139], v77 offset:2240
	v_mov_b32_e32 v120, 0x13a8
	ds_read_b128 v[73:76], v77 offset:2256
	v_fma_f64 v[63:64], -v[35:36], v[134:135], v[63:64]
	s_waitcnt lgkmcnt(1)
	v_fma_f64 v[59:60], -v[19:20], v[136:137], v[88:89]
	v_fma_f64 v[55:56], -v[41:42], v[55:56], v[86:87]
	;; [unrolled: 1-line block ×3, first 2 shown]
	v_mov_b32_e32 v88, 0x15a8
	ds_read2_b64 v[84:87], v120 offset1:1
	ds_read2_b64 v[132:135], v88 offset1:1
	v_mov_b32_e32 v120, 0xdb8
	ds_read2_b64 v[140:143], v120 offset1:1
	v_fma_f64 v[63:64], -v[37:38], v[96:97], v[63:64]
	v_fma_f64 v[88:89], -v[21:22], v[146:147], v[59:60]
	;; [unrolled: 1-line block ×3, first 2 shown]
	v_mov_b32_e32 v59, 0xfb8
	s_waitcnt lgkmcnt(0)
	v_fma_f64 v[49:50], -v[31:32], v[140:141], v[49:50]
	ds_read2_b64 v[59:62], v59 offset1:1
	ds_read2_b64 v[144:147], v77 offset0:185 offset1:186
	v_fma_f64 v[84:85], -v[45:46], v[84:85], v[104:105]
	ds_read2_b64 v[160:163], v48 offset0:64 offset1:96
	ds_read2_b64 v[164:167], v77 offset0:187 offset1:188
	v_fma_f64 v[96:97], -v[23:24], v[128:129], v[88:89]
	v_fma_f64 v[63:64], -v[39:40], v[90:91], v[63:64]
	s_waitcnt lgkmcnt(2)
	v_fma_f64 v[55:56], -v[17:18], v[144:145], v[55:56]
	v_fma_f64 v[104:105], -v[33:34], v[106:107], v[49:50]
	s_waitcnt lgkmcnt(1)
	v_fma_f64 v[106:107], -v[69:70], v[108:109], v[160:161]
	ds_read_b128 v[88:91], v77 offset:4784
	v_fma_f64 v[84:85], -v[168:169], v[154:155], v[84:85]
	v_fma_f64 v[96:97], -v[27:28], v[51:52], v[96:97]
	ds_read_b128 v[49:52], v77 offset:4800
	v_fma_f64 v[55:56], -v[13:14], v[126:127], v[55:56]
	v_fma_f64 v[59:60], -v[35:36], v[59:60], v[104:105]
	v_mul_f64 v[170:171], v[132:133], v[84:85]
	v_mov_b32_e32 v84, 0x11b8
	v_fma_f64 v[80:81], -v[29:30], v[80:81], v[96:97]
	v_fma_f64 v[55:56], -v[15:16], v[92:93], v[55:56]
	;; [unrolled: 1-line block ×3, first 2 shown]
	ds_read_b128 v[96:99], v77 offset:3776
	s_waitcnt lgkmcnt(2)
	v_fma_f64 v[63:64], -v[43:44], v[88:89], v[63:64]
	v_fma_f64 v[88:89], -v[71:72], v[122:123], v[106:107]
	;; [unrolled: 1-line block ×4, first 2 shown]
	v_mov_b32_e32 v55, 0x9c8
	v_fma_f64 v[63:64], -v[45:46], v[86:87], v[63:64]
	v_fma_f64 v[88:89], -v[53:54], v[112:113], v[88:89]
	ds_read2_b64 v[84:87], v84 offset1:1
	ds_read2_b64 v[104:107], v55 offset1:1
	ds_read_b128 v[120:123], v77 offset:3792
	s_waitcnt lgkmcnt(3)
	v_fma_f64 v[80:81], -v[33:34], v[96:97], v[80:81]
	v_mov_b32_e32 v55, 0xbc8
	ds_read_b128 v[124:127], v77 offset:5296
	ds_read_b128 v[140:143], v77 offset:4304
	s_waitcnt lgkmcnt(3)
	v_fma_f64 v[92:93], -v[21:22], v[104:105], v[92:93]
	v_fma_f64 v[88:89], -v[41:42], v[57:58], v[88:89]
	ds_read2_b64 v[55:58], v55 offset1:1
	v_fma_f64 v[84:85], -v[39:40], v[84:85], v[59:60]
	v_fma_f64 v[80:81], -v[35:36], v[61:62], v[80:81]
	ds_read_b128 v[59:62], v77 offset:4288
	s_waitcnt lgkmcnt(3)
	v_fma_f64 v[63:64], -v[168:169], v[124:125], v[63:64]
	v_mov_b32_e32 v96, 0x13b8
	v_fma_f64 v[92:93], -v[23:24], v[130:131], v[92:93]
	v_fma_f64 v[88:89], -v[25:26], v[148:149], v[88:89]
	ds_read2_b64 v[136:139], v96 offset1:1
	ds_read_b128 v[128:131], v77 offset:5312
	s_waitcnt lgkmcnt(2)
	v_fma_f64 v[59:60], -v[37:38], v[59:60], v[80:81]
	v_fma_f64 v[63:64], -v[170:171], v[134:135], v[63:64]
	v_fma_f64 v[55:56], -v[27:28], v[55:56], v[92:93]
	v_fma_f64 v[80:81], -v[17:18], v[146:147], v[88:89]
	v_fma_f64 v[88:89], -v[43:44], v[90:91], v[84:85]
	v_fma_f64 v[92:93], -v[69:70], v[110:111], v[162:163]
	v_fma_f64 v[59:60], -v[39:40], v[86:87], v[59:60]
	ds_read_b128 v[84:87], v77 offset:5808
	v_fma_f64 v[55:56], -v[29:30], v[82:83], v[55:56]
	v_fma_f64 v[90:91], -v[13:14], v[156:157], v[80:81]
	v_mov_b32_e32 v80, 0xdc8
	ds_read2_b64 v[80:83], v80 offset1:1
	v_fma_f64 v[49:50], -v[43:44], v[49:50], v[59:60]
	s_waitcnt lgkmcnt(3)
	v_fma_f64 v[96:97], -v[45:46], v[136:137], v[88:89]
	v_mov_b32_e32 v88, 0xfc8
	s_waitcnt lgkmcnt(1)
	v_mul_f64 v[172:173], v[84:85], v[63:64]
	s_waitcnt lgkmcnt(0)
	v_fma_f64 v[55:56], -v[31:32], v[80:81], v[55:56]
	v_fma_f64 v[59:60], -v[15:16], v[94:95], v[90:91]
	;; [unrolled: 1-line block ×3, first 2 shown]
	ds_read2_b64 v[88:91], v88 offset1:1
	ds_read_b128 v[92:95], v77 offset:5360
	v_fma_f64 v[63:64], -v[168:169], v[126:127], v[96:97]
	v_mov_b32_e32 v84, 0x15b8
	v_mov_b32_e32 v85, 0x17b8
	v_fma_f64 v[55:56], -v[33:34], v[98:99], v[55:56]
	v_fma_f64 v[59:60], -v[19:20], v[73:74], v[59:60]
	;; [unrolled: 1-line block ×3, first 2 shown]
	ds_read2_b64 v[96:99], v77 offset0:123 offset1:124
	ds_read2_b64 v[108:111], v84 offset1:1
	ds_read2_b64 v[112:115], v85 offset1:1
	v_fma_f64 v[49:50], -v[45:46], v[138:139], v[49:50]
	s_waitcnt lgkmcnt(1)
	v_fma_f64 v[63:64], -v[170:171], v[108:109], v[63:64]
	v_fma_f64 v[55:56], -v[35:36], v[88:89], v[55:56]
	;; [unrolled: 1-line block ×4, first 2 shown]
	ds_read_b128 v[104:107], v77 offset:2768
	ds_read2_b64 v[124:127], v77 offset0:125 offset1:126
	v_fma_f64 v[49:50], -v[168:169], v[128:129], v[49:50]
	ds_read_b128 v[132:135], v77 offset:2784
	v_mov_b32_e32 v96, 0x13c8
	v_fma_f64 v[63:64], -v[172:173], v[86:87], v[63:64]
	v_fma_f64 v[80:81], -v[37:38], v[61:62], v[55:56]
	s_waitcnt lgkmcnt(2)
	v_fma_f64 v[59:60], -v[23:24], v[104:105], v[59:60]
	v_fma_f64 v[73:74], -v[25:26], v[150:151], v[73:74]
	ds_read_b128 v[84:87], v77 offset:5824
	v_fma_f64 v[49:50], -v[170:171], v[110:111], v[49:50]
	v_mov_b32_e32 v104, 0xbd8
	v_fma_f64 v[88:89], -v[27:28], v[57:58], v[59:60]
	v_fma_f64 v[73:74], -v[17:18], v[164:165], v[73:74]
	v_mov_b32_e32 v59, 0x11c8
	ds_read2_b64 v[59:62], v59 offset1:1
	v_mul_f64 v[164:165], v[112:113], v[63:64]
	ds_read_b128 v[55:58], v77 offset:3280
	ds_read2_b64 v[108:111], v96 offset1:1
	ds_read_b128 v[136:139], v77 offset:3296
	ds_read2_b64 v[148:151], v77 offset0:251 offset1:252
	s_waitcnt lgkmcnt(4)
	v_fma_f64 v[59:60], -v[39:40], v[59:60], v[80:81]
	v_fma_f64 v[63:64], -v[13:14], v[158:159], v[73:74]
	;; [unrolled: 1-line block ×3, first 2 shown]
	s_waitcnt lgkmcnt(3)
	v_fma_f64 v[55:56], -v[29:30], v[55:56], v[88:89]
	ds_read_b128 v[144:147], v77 offset:5840
	v_fma_f64 v[59:60], -v[43:44], v[51:52], v[59:60]
	ds_read2_b64 v[49:52], v77 offset0:253 offset1:254
	s_waitcnt lgkmcnt(2)
	v_fma_f64 v[63:64], -v[15:16], v[148:149], v[63:64]
	v_fma_f64 v[84:85], -v[164:165], v[114:115], v[73:74]
	v_mov_b32_e32 v73, 0x9d8
	v_fma_f64 v[55:56], -v[31:32], v[82:83], v[55:56]
	ds_read2_b64 v[80:83], v48 offset0:128 offset1:160
	ds_read2_b64 v[152:155], v48 offset0:192 offset1:224
	ds_read_b128 v[112:115], v77 offset:6336
	ds_read_b128 v[156:159], v77 offset:224
	v_fma_f64 v[59:60], -v[45:46], v[108:109], v[59:60]
	v_fma_f64 v[63:64], -v[19:20], v[75:76], v[63:64]
	ds_read2_b64 v[73:76], v73 offset1:1
	ds_read_b128 v[160:163], v77 offset:240
	s_waitcnt lgkmcnt(3)
	v_mul_f64 v[112:113], v[112:113], v[84:85]
	v_fma_f64 v[55:56], -v[33:34], v[120:121], v[55:56]
	s_waitcnt lgkmcnt(2)
	v_fma_f64 v[80:81], -v[69:70], v[156:157], v[80:81]
	v_fma_f64 v[84:85], -v[69:70], v[158:159], v[82:83]
	s_waitcnt lgkmcnt(0)
	v_fma_f64 v[120:121], -v[69:70], v[160:161], v[152:153]
	v_mov_b32_e32 v148, 0x17c8
	v_fma_f64 v[63:64], -v[21:22], v[73:74], v[63:64]
	v_fma_f64 v[73:74], -v[168:169], v[130:131], v[59:60]
	v_mov_b32_e32 v59, 0x15c8
	v_fma_f64 v[55:56], -v[35:36], v[90:91], v[55:56]
	ds_read2_b64 v[128:131], v59 offset1:1
	v_fma_f64 v[84:85], -v[71:72], v[65:66], v[84:85]
	ds_read_b128 v[88:91], v77 offset:6352
	v_fma_f64 v[67:68], -v[71:72], v[67:68], v[120:121]
	v_fma_f64 v[63:64], -v[23:24], v[106:107], v[63:64]
	ds_read2_b64 v[104:107], v104 offset1:1
	v_fma_f64 v[120:121], -v[69:70], v[162:163], v[154:155]
	v_fma_f64 v[55:56], -v[37:38], v[140:141], v[55:56]
	s_waitcnt lgkmcnt(0)
	v_fma_f64 v[104:105], -v[27:28], v[104:105], v[63:64]
	ds_read_b128 v[63:66], v77 offset:4816
	v_fma_f64 v[59:60], -v[71:72], v[118:119], v[80:81]
	ds_read_b128 v[116:119], v77 offset:736
	;; [unrolled: 2-line block ×3, first 2 shown]
	v_fma_f64 v[73:74], -v[170:171], v[128:129], v[73:74]
	s_waitcnt lgkmcnt(1)
	v_fma_f64 v[84:85], -v[53:54], v[118:119], v[84:85]
	v_fma_f64 v[104:105], -v[29:30], v[57:58], v[104:105]
	;; [unrolled: 1-line block ×3, first 2 shown]
	v_mov_b32_e32 v59, 0xdd8
	ds_read2_b64 v[59:62], v59 offset1:1
	v_fma_f64 v[63:64], -v[43:44], v[63:64], v[55:56]
	s_waitcnt lgkmcnt(1)
	v_fma_f64 v[67:68], -v[53:54], v[80:81], v[67:68]
	v_fma_f64 v[84:85], -v[41:42], v[124:125], v[84:85]
	s_waitcnt lgkmcnt(0)
	v_fma_f64 v[59:60], -v[31:32], v[59:60], v[104:105]
	v_fma_f64 v[108:109], -v[41:42], v[98:99], v[96:97]
	ds_read_b128 v[96:99], v77 offset:1248
	ds_read_b128 v[156:159], v77 offset:4832
	;; [unrolled: 1-line block ×3, first 2 shown]
	ds_read2_b64 v[116:119], v148 offset1:1
	v_fma_f64 v[63:64], -v[45:46], v[110:111], v[63:64]
	v_fma_f64 v[67:68], -v[41:42], v[126:127], v[67:68]
	s_waitcnt lgkmcnt(3)
	v_fma_f64 v[80:81], -v[25:26], v[98:99], v[84:85]
	v_fma_f64 v[59:60], -v[33:34], v[122:123], v[59:60]
	;; [unrolled: 1-line block ×3, first 2 shown]
	ds_read2_b64 v[108:111], v77 offset0:63 offset1:127
	ds_read_b128 v[152:155], v77 offset:1760
	ds_read_b128 v[160:163], v77 offset:5328
	s_waitcnt lgkmcnt(2)
	v_fma_f64 v[84:85], -v[71:72], v[108:109], v[120:121]
	v_fma_f64 v[1:2], -v[17:18], v[1:2], v[80:81]
	;; [unrolled: 1-line block ×4, first 2 shown]
	v_mov_b32_e32 v108, 0xfd8
	v_mov_b32_e32 v80, 0x11d8
	ds_read_b128 v[96:99], v77 offset:1776
	ds_read2_b64 v[120:123], v108 offset1:1
	v_fma_f64 v[84:85], -v[53:54], v[82:83], v[84:85]
	ds_read2_b64 v[80:83], v80 offset1:1
	ds_read_b128 v[124:127], v77 offset:2272
	s_waitcnt lgkmcnt(5)
	v_fma_f64 v[1:2], -v[13:14], v[154:155], v[1:2]
	v_fma_f64 v[104:105], -v[13:14], v[152:153], v[104:105]
	s_waitcnt lgkmcnt(2)
	v_fma_f64 v[59:60], -v[35:36], v[120:121], v[59:60]
	v_fma_f64 v[55:56], -v[17:18], v[3:4], v[55:56]
	;; [unrolled: 1-line block ×4, first 2 shown]
	ds_read_b128 v[108:111], v77 offset:2288
	v_fma_f64 v[49:50], -v[15:16], v[49:50], v[1:2]
	v_fma_f64 v[104:105], -v[15:16], v[150:151], v[104:105]
	ds_read2_b64 v[1:4], v77 offset0:191 offset1:255
	v_fma_f64 v[59:60], -v[37:38], v[142:143], v[59:60]
	v_fma_f64 v[63:64], -v[170:171], v[130:131], v[63:64]
	ds_read_b128 v[148:151], v77 offset:5344
	v_fma_f64 v[57:58], -v[25:26], v[57:58], v[67:68]
	v_fma_f64 v[67:68], -v[172:173], v[86:87], v[73:74]
	s_waitcnt lgkmcnt(3)
	v_fma_f64 v[49:50], -v[19:20], v[126:127], v[49:50]
	v_fma_f64 v[84:85], -v[19:20], v[124:125], v[104:105]
	;; [unrolled: 1-line block ×4, first 2 shown]
	s_waitcnt lgkmcnt(1)
	v_fma_f64 v[1:2], -v[17:18], v[1:2], v[57:58]
	v_fma_f64 v[67:68], -v[164:165], v[116:117], v[67:68]
	v_mov_b32_e32 v116, 0x19c8
	v_fma_f64 v[73:74], -v[21:22], v[75:76], v[84:85]
	v_fma_f64 v[75:76], -v[13:14], v[96:97], v[55:56]
	v_mov_b32_e32 v55, 0x9e8
	ds_read2_b64 v[55:58], v55 offset1:1
	v_fma_f64 v[96:97], -v[43:44], v[65:66], v[59:60]
	v_fma_f64 v[1:2], -v[13:14], v[98:99], v[1:2]
	;; [unrolled: 1-line block ×6, first 2 shown]
	s_waitcnt lgkmcnt(0)
	v_fma_f64 v[55:56], -v[21:22], v[55:56], v[49:50]
	v_mov_b32_e32 v49, 0x13d8
	v_mov_b32_e32 v84, 0x15d8
	ds_read2_b64 v[84:87], v84 offset1:1
	v_fma_f64 v[59:60], -v[27:28], v[106:107], v[73:74]
	v_fma_f64 v[63:64], -v[19:20], v[108:109], v[51:52]
	v_fma_f64 v[73:74], -v[15:16], v[3:4], v[1:2]
	v_fma_f64 v[65:66], -v[23:24], v[134:135], v[55:56]
	v_mov_b32_e32 v1, 0xbe8
	ds_read2_b64 v[49:52], v49 offset1:1
	ds_read2_b64 v[1:4], v1 offset1:1
	v_add_u32_e64 v108, s8, 0
	v_fma_f64 v[59:60], -v[29:30], v[136:137], v[59:60]
	v_fma_f64 v[75:76], -v[21:22], v[57:58], v[63:64]
	v_fma_f64 v[73:74], -v[19:20], v[110:111], v[73:74]
	s_waitcnt lgkmcnt(0)
	v_fma_f64 v[1:2], -v[27:28], v[1:2], v[65:66]
	ds_read2st64_b64 v[63:66], v108 offset0:4 offset1:5
	v_mov_b32_e32 v55, 0xde8
	ds_read2_b64 v[55:58], v55 offset1:1
	v_fma_f64 v[49:50], -v[45:46], v[49:50], v[96:97]
	v_fma_f64 v[98:99], -v[31:32], v[61:62], v[59:60]
	;; [unrolled: 1-line block ×3, first 2 shown]
	ds_read2st64_b64 v[59:62], v108 offset0:6 offset1:7
	s_waitcnt lgkmcnt(2)
	v_fma_f64 v[63:64], -v[21:22], v[63:64], v[73:74]
	ds_read_b128 v[73:76], v77 offset:3808
	v_fma_f64 v[104:105], -v[29:30], v[138:139], v[1:2]
	s_mov_b32 s8, 32
	v_fma_f64 v[49:50], -v[168:169], v[162:163], v[49:50]
	v_fma_f64 v[96:97], -v[27:28], v[3:4], v[5:6]
	s_waitcnt lgkmcnt(0)
	v_fma_f64 v[73:74], -v[33:34], v[73:74], v[98:99]
	v_fma_f64 v[63:64], -v[23:24], v[7:8], v[63:64]
	ds_read_b128 v[1:4], v77 offset:3824
	v_fma_f64 v[55:56], -v[31:32], v[55:56], v[104:105]
	ds_read2_b64 v[5:8], v116 offset1:1
	v_fma_f64 v[49:50], -v[170:171], v[84:85], v[49:50]
	v_fma_f64 v[9:10], -v[29:30], v[9:10], v[96:97]
	v_fma_f64 v[96:97], -v[35:36], v[122:123], v[73:74]
	v_fma_f64 v[98:99], -v[27:28], v[65:66], v[63:64]
	ds_read_b128 v[63:66], v77 offset:4320
	v_fma_f64 v[104:105], -v[33:34], v[75:76], v[55:56]
	v_mov_b32_e32 v55, 0xfe8
	ds_read2_b64 v[73:76], v55 offset1:1
	s_waitcnt lgkmcnt(2)
	v_mul_f64 v[67:68], v[5:6], v[67:68]
	v_fma_f64 v[106:107], -v[31:32], v[57:58], v[9:10]
	s_waitcnt lgkmcnt(1)
	v_fma_f64 v[63:64], -v[37:38], v[63:64], v[96:97]
	v_fma_f64 v[96:97], -v[29:30], v[11:12], v[98:99]
	v_mov_b32_e32 v9, 0x11e8
	ds_read2_b64 v[9:12], v9 offset1:1
	s_waitcnt lgkmcnt(1)
	v_fma_f64 v[73:74], -v[35:36], v[73:74], v[104:105]
	ds_read_b128 v[55:58], v77 offset:4336
	v_fma_f64 v[1:2], -v[33:34], v[1:2], v[106:107]
	v_fma_f64 v[5:6], -v[39:40], v[82:83], v[63:64]
	;; [unrolled: 1-line block ×10, first 2 shown]
	s_waitcnt lgkmcnt(1)
	v_fma_f64 v[9:10], -v[39:40], v[9:10], v[65:66]
	v_mov_b32_e32 v7, 0x17d8
	v_mov_b32_e32 v8, 0x19d8
	s_waitcnt lgkmcnt(0)
	v_fma_f64 v[55:56], -v[37:38], v[55:56], v[1:2]
	v_fma_f64 v[63:64], -v[45:46], v[51:52], v[5:6]
	;; [unrolled: 1-line block ×3, first 2 shown]
	ds_read2_b64 v[1:4], v7 offset1:1
	ds_read2_b64 v[5:8], v8 offset1:1
	v_fma_f64 v[65:66], -v[43:44], v[158:159], v[9:10]
	v_mov_b32_e32 v9, 0x13e8
	ds_read2_b64 v[49:52], v9 offset1:1
	v_fma_f64 v[73:74], -v[39:40], v[11:12], v[55:56]
	v_fma_f64 v[63:64], -v[168:169], v[148:149], v[63:64]
	;; [unrolled: 1-line block ×3, first 2 shown]
	ds_read2st64_b64 v[55:58], v108 offset0:8 offset1:9
	s_waitcnt lgkmcnt(3)
	v_fma_f64 v[1:2], -v[164:165], v[1:2], v[59:60]
	ds_read2st64_b64 v[59:62], v108 offset0:10 offset1:11
	v_fma_f64 v[80:81], -v[43:44], v[100:101], v[73:74]
	v_fma_f64 v[82:83], -v[170:171], v[86:87], v[63:64]
	s_waitcnt lgkmcnt(1)
	v_fma_f64 v[55:56], -v[39:40], v[55:56], v[75:76]
	ds_read_b128 v[73:76], v77 offset:6864
	v_fma_f64 v[49:50], -v[45:46], v[49:50], v[65:66]
	ds_read_b128 v[63:66], v77 offset:5856
	v_fma_f64 v[1:2], -v[112:113], v[90:91], v[1:2]
	v_mov_b32_e32 v9, 0x15e8
	v_fma_f64 v[88:89], -v[45:46], v[51:52], v[80:81]
	s_waitcnt lgkmcnt(1)
	v_mul_f64 v[73:74], v[73:74], v[84:85]
	s_waitcnt lgkmcnt(0)
	v_fma_f64 v[63:64], -v[172:173], v[63:64], v[82:83]
	ds_read_b128 v[80:83], v77 offset:6880
	v_fma_f64 v[86:87], -v[168:169], v[150:151], v[49:50]
	v_fma_f64 v[55:56], -v[43:44], v[102:103], v[55:56]
	;; [unrolled: 1-line block ×3, first 2 shown]
	ds_read2_b64 v[9:12], v9 offset1:1
	v_fma_f64 v[84:85], -v[168:169], v[92:93], v[88:89]
	ds_read_b128 v[49:52], v77 offset:5872
	v_fma_f64 v[63:64], -v[164:165], v[3:4], v[63:64]
	ds_read_b128 v[1:4], v77 offset:6368
	v_fma_f64 v[75:76], -v[73:74], v[75:76], v[5:6]
	v_mov_b32_e32 v5, 0x1bd8
	s_waitcnt lgkmcnt(0)
	v_fma_f64 v[1:2], -v[112:113], v[1:2], v[63:64]
	v_mov_b32_e32 v63, 0x19e8
	v_fma_f64 v[1:2], -v[67:68], v[7:8], v[1:2]
	ds_read2_b64 v[5:8], v5 offset1:1
	v_fma_f64 v[9:10], -v[170:171], v[9:10], v[86:87]
	v_fma_f64 v[86:87], -v[45:46], v[57:58], v[55:56]
	v_fma_f64 v[84:85], -v[170:171], v[11:12], v[84:85]
	s_waitcnt lgkmcnt(0)
	v_mul_f64 v[75:76], v[5:6], v[75:76]
	v_fma_f64 v[1:2], -v[73:74], v[80:81], v[1:2]
	v_fma_f64 v[88:89], -v[172:173], v[65:66], v[9:10]
	;; [unrolled: 1-line block ×3, first 2 shown]
	v_mov_b32_e32 v9, 0x17e8
	ds_read2_b64 v[55:58], v9 offset1:1
	v_fma_f64 v[49:50], -v[172:173], v[49:50], v[84:85]
	ds_read_b128 v[9:12], v77 offset:6384
	ds_read2_b64 v[63:66], v63 offset1:1
	s_waitcnt lgkmcnt(2)
	v_fma_f64 v[55:56], -v[164:165], v[55:56], v[88:89]
	v_fma_f64 v[59:60], -v[170:171], v[59:60], v[86:87]
	;; [unrolled: 1-line block ×7, first 2 shown]
	v_mov_b32_e32 v5, 0x1be8
	ds_read2_b64 v[5:8], v5 offset1:1
	s_waitcnt lgkmcnt(1)
	v_fma_f64 v[51:52], -v[67:68], v[63:64], v[3:4]
	ds_read_b128 v[1:4], v77 offset:7392
	v_fma_f64 v[9:10], -v[112:113], v[9:10], v[49:50]
	v_fma_f64 v[63:64], -v[112:113], v[11:12], v[55:56]
	;; [unrolled: 1-line block ×3, first 2 shown]
	ds_read_b128 v[49:52], v77 offset:6896
	v_fma_f64 v[61:62], -v[67:68], v[65:66], v[9:10]
	s_waitcnt lgkmcnt(1)
	v_mul_f64 v[65:66], v[1:2], v[57:58]
	v_mov_b32_e32 v1, 0x1de8
	ds_read2st64_b64 v[9:12], v108 offset0:12 offset1:13
	ds_read2_b64 v[55:58], v1 offset1:1
	ds_write2_b64 v79, v[69:70], v[71:72] offset1:32
	v_fma_f64 v[1:2], -v[75:76], v[5:6], v[59:60]
	s_waitcnt lgkmcnt(2)
	v_fma_f64 v[9:10], -v[67:68], v[9:10], v[63:64]
	v_fma_f64 v[5:6], -v[73:74], v[49:50], v[61:62]
	ds_read2st64_b64 v[59:62], v108 offset0:14 offset1:15
	v_fma_f64 v[49:50], -v[65:66], v[3:4], v[1:2]
	v_fma_f64 v[9:10], -v[73:74], v[51:52], v[9:10]
	;; [unrolled: 1-line block ×3, first 2 shown]
	ds_read_b128 v[1:4], v77 offset:7408
	ds_read_b128 v[5:8], v77 offset:7920
	ds_write2_b64 v79, v[53:54], v[41:42] offset0:64 offset1:96
	ds_write2_b64 v79, v[25:26], v[17:18] offset0:128 offset1:160
	;; [unrolled: 1-line block ×3, first 2 shown]
	ds_write2_b64 v78, v[19:20], v[21:22] offset1:32
	ds_write2_b64 v78, v[23:24], v[27:28] offset0:64 offset1:96
	ds_write2_b64 v78, v[29:30], v[31:32] offset0:128 offset1:160
	;; [unrolled: 1-line block ×3, first 2 shown]
	s_waitcnt lgkmcnt(11)
	v_mul_f64 v[49:50], v[55:56], v[49:50]
	v_fma_f64 v[9:10], -v[75:76], v[11:12], v[9:10]
	s_waitcnt lgkmcnt(8)
	v_fma_f64 v[1:2], -v[65:66], v[1:2], v[63:64]
	v_fma_f64 v[3:4], -v[65:66], v[3:4], v[9:10]
	;; [unrolled: 1-line block ×4, first 2 shown]
	s_waitcnt lgkmcnt(7)
	v_mul_f64 v[1:2], v[5:6], v[1:2]
	v_fma_f64 v[3:4], -v[1:2], v[7:8], v[3:4]
	v_mul_f64 v[3:4], v[61:62], v[3:4]
	ds_write2_b64 v47, v[37:38], v[39:40] offset1:32
	ds_write2_b64 v47, v[43:44], v[45:46] offset0:64 offset1:96
	ds_write2_b64 v47, v[168:169], v[170:171] offset0:128 offset1:160
	;; [unrolled: 1-line block ×3, first 2 shown]
	ds_write2_b64 v48, v[112:113], v[67:68] offset1:32
	ds_write2_b64 v48, v[73:74], v[75:76] offset0:64 offset1:96
	ds_write2_b64 v48, v[65:66], v[49:50] offset0:128 offset1:160
	;; [unrolled: 1-line block ×3, first 2 shown]
.LBB104_39:
	s_cmp_lt_i32 s8, s22
	s_cbranch_scc0 .LBB104_50
; %bb.40:
	s_or_b32 s10, s8, 27
	s_cmp_ge_u32 s10, s22
	s_cbranch_scc1 .LBB104_45
; %bb.41:
	s_lshl_b32 s11, s8, 8
	v_add_u32_e32 v82, s11, v79
	v_add_u32_e32 v1, 0x800, v82
	ds_read2_b64 v[49:52], v82 offset1:32
	ds_read2_b64 v[45:48], v82 offset0:64 offset1:96
	ds_read2_b64 v[41:44], v82 offset0:128 offset1:160
	;; [unrolled: 1-line block ×3, first 2 shown]
	ds_read2_b64 v[33:36], v1 offset1:32
	ds_read2_b64 v[29:32], v1 offset0:64 offset1:96
	ds_read2_b64 v[25:28], v1 offset0:128 offset1:160
	;; [unrolled: 1-line block ×3, first 2 shown]
	v_add_u32_e32 v1, 0x1000, v82
	ds_read2_b64 v[17:20], v1 offset1:32
	ds_read2_b64 v[13:16], v1 offset0:64 offset1:96
	ds_read2_b64 v[9:12], v1 offset0:128 offset1:160
	ds_read2_b64 v[5:8], v1 offset0:192 offset1:224
	v_add_u32_e32 v1, 0x1800, v82
	s_lshl_b32 s12, s10, 8
	ds_read2_b64 v[1:4], v1 offset1:32
	v_add_u32_e32 v80, s12, v79
	ds_read_b64 v[63:64], v82 offset:6656
	ds_read_b64 v[61:62], v80
	s_andn2_b64 vcc, exec, s[4:5]
	s_lshl_b32 s4, s8, 3
	s_cbranch_vccnz .LBB104_44
; %bb.42:
	v_mov_b32_e32 v53, 0x2000
	v_lshl_or_b32 v53, v0, 3, v53
	s_mov_b32 s5, s4
	s_mov_b32 s12, s8
.LBB104_43:                             ; =>This Inner Loop Header: Depth=1
	v_mov_b32_e32 v60, s5
	ds_read_b64 v[58:59], v53
	ds_read_b128 v[54:57], v60
	ds_read_b128 v[65:68], v60 offset:16
	ds_read_b128 v[69:72], v60 offset:32
	;; [unrolled: 1-line block ×13, first 2 shown]
	s_add_i32 s12, s12, -1
	s_addk_i32 s5, 0x100
	s_cmp_lg_u32 s12, 0
	s_waitcnt lgkmcnt(13)
	v_fma_f64 v[49:50], -v[58:59], v[54:55], v[49:50]
	v_fma_f64 v[51:52], -v[58:59], v[56:57], v[51:52]
	s_waitcnt lgkmcnt(12)
	v_fma_f64 v[45:46], -v[58:59], v[65:66], v[45:46]
	v_fma_f64 v[47:48], -v[58:59], v[67:68], v[47:48]
	;; [unrolled: 3-line block ×14, first 2 shown]
	v_add_u32_e32 v53, 0x100, v53
	s_cbranch_scc1 .LBB104_43
.LBB104_44:
	s_add_i32 s12, s4, s11
	v_mov_b32_e32 v81, s12
	ds_read_b128 v[53:56], v81
	ds_read_b128 v[57:60], v81 offset:16
	s_or_b32 s17, s11, 0x100
	v_add_u32_e32 v89, s17, v79
	s_add_i32 s17, s4, s17
	s_waitcnt lgkmcnt(1)
	v_mul_f64 v[65:66], v[53:54], v[49:50]
	v_mov_b32_e32 v83, s17
	s_or_b32 s18, s11, 0x200
	s_add_i32 s21, s4, s18
	v_mov_b32_e32 v85, s21
	s_or_b32 s19, s11, 0x300
	s_add_i32 s23, s4, s19
	v_mov_b32_e32 v84, s23
	v_fma_f64 v[67:68], -v[65:66], v[55:56], v[51:52]
	ds_read2_b64 v[49:52], v81 offset0:33 offset1:34
	ds_read_b128 v[69:72], v81 offset:32
	s_waitcnt lgkmcnt(2)
	v_fma_f64 v[45:46], -v[65:66], v[57:58], v[45:46]
	v_fma_f64 v[73:74], -v[65:66], v[59:60], v[47:48]
	ds_read_b128 v[53:56], v81 offset:528
	ds_read2_b64 v[57:60], v83 offset0:3 offset1:4
	s_waitcnt lgkmcnt(2)
	v_fma_f64 v[41:42], -v[65:66], v[69:70], v[41:42]
	v_mul_f64 v[67:68], v[49:50], v[67:68]
	s_or_b32 s20, s11, 0x400
	v_add_u32_e32 v88, s19, v79
	s_add_i32 s19, s4, s20
	v_mov_b32_e32 v191, s19
	s_or_b32 s14, s11, 0x500
	s_add_i32 s17, s4, s14
	v_mov_b32_e32 v151, s17
	v_fma_f64 v[75:76], -v[67:68], v[51:52], v[45:46]
	s_waitcnt lgkmcnt(0)
	v_fma_f64 v[57:58], -v[67:68], v[57:58], v[73:74]
	v_fma_f64 v[73:74], -v[67:68], v[59:60], v[41:42]
	ds_read_b128 v[49:52], v81 offset:48
	ds_read2_b64 v[45:48], v83 offset0:5 offset1:6
	s_or_b32 s15, s11, 0x600
	v_add_u32_e32 v87, s18, v79
	s_add_i32 s18, s4, s15
	s_waitcnt lgkmcnt(1)
	v_fma_f64 v[37:38], -v[65:66], v[49:50], v[37:38]
	v_mul_f64 v[69:70], v[53:54], v[75:76]
	v_fma_f64 v[75:76], -v[65:66], v[71:72], v[43:44]
	v_mov_b32_e32 v152, s18
	s_or_b32 s16, s11, 0x700
	s_add_i32 s19, s4, s16
	s_add_i32 s17, s12, 0x948
	s_or_b32 s13, s11, 0x800
	s_waitcnt lgkmcnt(0)
	v_fma_f64 v[102:103], -v[67:68], v[47:48], v[37:38]
	v_fma_f64 v[71:72], -v[69:70], v[55:56], v[57:58]
	ds_read2_b64 v[53:56], v81 offset0:99 offset1:100
	ds_read_b128 v[41:44], v81 offset:1056
	ds_read_b128 v[57:60], v85 offset:32
	v_fma_f64 v[49:50], -v[67:68], v[45:46], v[75:76]
	v_fma_f64 v[75:76], -v[65:66], v[51:52], v[39:40]
	ds_read_b64 v[77:78], v83 offset:216
	v_add_u32_e32 v86, s20, v79
	s_waitcnt lgkmcnt(1)
	v_fma_f64 v[57:58], -v[69:70], v[57:58], v[73:74]
	s_or_b32 s18, s11, 0x900
	v_mul_f64 v[45:46], v[53:54], v[71:72]
	ds_read_b128 v[71:74], v81 offset:64
	ds_read_b128 v[90:93], v81 offset:80
	;; [unrolled: 1-line block ×4, first 2 shown]
	v_fma_f64 v[59:60], -v[69:70], v[59:60], v[49:50]
	s_waitcnt lgkmcnt(3)
	v_fma_f64 v[71:72], -v[65:66], v[71:72], v[33:34]
	v_fma_f64 v[35:36], -v[65:66], v[73:74], v[35:36]
	s_waitcnt lgkmcnt(2)
	v_fma_f64 v[90:91], -v[65:66], v[90:91], v[29:30]
	v_fma_f64 v[31:32], -v[65:66], v[92:93], v[31:32]
	s_add_i32 s20, s12, 0xb58
	v_fma_f64 v[104:105], -v[45:46], v[55:56], v[57:58]
	ds_read2_b64 v[47:50], v83 offset0:7 offset1:8
	ds_read2_b64 v[51:54], v83 offset0:9 offset1:10
	;; [unrolled: 1-line block ×3, first 2 shown]
	ds_read_b128 v[37:40], v85 offset:208
	s_addk_i32 s12, 0xd68
	s_waitcnt lgkmcnt(3)
	v_fma_f64 v[47:48], -v[67:68], v[47:48], v[75:76]
	v_fma_f64 v[75:76], -v[69:70], v[94:95], v[102:103]
	s_waitcnt lgkmcnt(1)
	v_fma_f64 v[55:56], -v[45:46], v[55:56], v[59:60]
	v_fma_f64 v[59:60], -v[67:68], v[49:50], v[71:72]
	;; [unrolled: 1-line block ×3, first 2 shown]
	v_mul_f64 v[33:34], v[41:42], v[104:105]
	ds_read2_b64 v[102:105], v81 offset0:165 offset1:166
	ds_read_b128 v[106:109], v81 offset:1584
	s_or_b32 s5, s8, 28
	v_fma_f64 v[94:95], -v[69:70], v[96:97], v[47:48]
	v_fma_f64 v[75:76], -v[45:46], v[57:58], v[75:76]
	;; [unrolled: 1-line block ×4, first 2 shown]
	ds_read2_b64 v[47:50], v84 offset0:7 offset1:8
	ds_read2_b64 v[55:58], v84 offset0:9 offset1:10
	ds_read_b128 v[71:74], v191 offset:48
	ds_read_b64 v[41:42], v84 offset:216
	s_waitcnt lgkmcnt(3)
	v_fma_f64 v[47:48], -v[45:46], v[47:48], v[94:95]
	ds_read_b128 v[94:97], v191 offset:64
	s_waitcnt lgkmcnt(2)
	v_fma_f64 v[71:72], -v[33:34], v[71:72], v[75:76]
	v_mul_f64 v[35:36], v[102:103], v[43:44]
	v_fma_f64 v[43:44], -v[69:70], v[100:101], v[51:52]
	v_fma_f64 v[51:52], -v[45:46], v[49:50], v[59:60]
	v_fma_f64 v[59:60], -v[33:34], v[73:74], v[47:48]
	v_fma_f64 v[75:76], -v[35:36], v[104:105], v[71:72]
	ds_read2_b64 v[47:50], v151 offset0:7 offset1:8
	ds_read2_b64 v[71:74], v151 offset0:9 offset1:10
	ds_read_b128 v[98:101], v191 offset:80
	v_fma_f64 v[55:56], -v[45:46], v[55:56], v[43:44]
	s_waitcnt lgkmcnt(3)
	v_fma_f64 v[51:52], -v[33:34], v[94:95], v[51:52]
	s_waitcnt lgkmcnt(2)
	v_fma_f64 v[47:48], -v[35:36], v[47:48], v[59:60]
	v_fma_f64 v[59:60], -v[67:68], v[53:54], v[90:91]
	ds_read2_b64 v[102:105], v81 offset0:231 offset1:232
	ds_read_b128 v[110:113], v81 offset:2112
	ds_read2_b64 v[114:117], v83 offset0:11 offset1:12
	v_mul_f64 v[29:30], v[106:107], v[75:76]
	v_mov_b32_e32 v43, s19
	v_fma_f64 v[55:56], -v[33:34], v[96:97], v[55:56]
	v_fma_f64 v[75:76], -v[35:36], v[49:50], v[51:52]
	s_waitcnt lgkmcnt(0)
	v_fma_f64 v[31:32], -v[67:68], v[114:115], v[31:32]
	v_mov_b32_e32 v44, s17
	s_add_i32 s17, s4, s13
	s_or_b32 s19, s11, 0xa00
	v_fma_f64 v[90:91], -v[29:30], v[108:109], v[47:48]
	ds_read_b128 v[47:50], v85 offset:80
	ds_read_b128 v[51:54], v85 offset:96
	;; [unrolled: 1-line block ×3, first 2 shown]
	ds_read_b64 v[167:168], v151 offset:216
	v_add_u32_e32 v202, s19, v79
	s_waitcnt lgkmcnt(3)
	v_fma_f64 v[47:48], -v[69:70], v[47:48], v[59:60]
	v_fma_f64 v[59:60], -v[35:36], v[71:72], v[55:56]
	s_waitcnt lgkmcnt(1)
	v_fma_f64 v[71:72], -v[29:30], v[94:95], v[75:76]
	v_fma_f64 v[31:32], -v[69:70], v[49:50], v[31:32]
	v_mul_f64 v[75:76], v[102:103], v[90:91]
	ds_read_b128 v[90:93], v81 offset:96
	ds_read_b128 v[106:109], v81 offset:112
	ds_read2_b64 v[118:121], v83 offset0:13 offset1:14
	ds_read2_b64 v[122:125], v43 offset0:9 offset1:10
	v_fma_f64 v[47:48], -v[45:46], v[57:58], v[47:48]
	s_waitcnt lgkmcnt(3)
	v_fma_f64 v[25:26], -v[65:66], v[90:91], v[25:26]
	v_fma_f64 v[59:60], -v[29:30], v[96:97], v[59:60]
	ds_read_b128 v[55:58], v152 offset:80
	s_waitcnt lgkmcnt(3)
	v_fma_f64 v[21:22], -v[65:66], v[106:107], v[21:22]
	v_fma_f64 v[71:72], -v[75:76], v[104:105], v[71:72]
	ds_read2_b64 v[94:97], v84 offset0:11 offset1:12
	ds_read2_b64 v[102:105], v84 offset0:13 offset1:14
	v_fma_f64 v[106:107], -v[65:66], v[108:109], v[23:24]
	v_fma_f64 v[90:91], -v[33:34], v[98:99], v[47:48]
	;; [unrolled: 1-line block ×3, first 2 shown]
	s_waitcnt lgkmcnt(1)
	v_fma_f64 v[31:32], -v[45:46], v[94:95], v[31:32]
	ds_read_b128 v[47:50], v152 offset:208
	v_fma_f64 v[59:60], -v[75:76], v[122:123], v[59:60]
	v_mul_f64 v[169:170], v[110:111], v[71:72]
	ds_write_b64 v82, v[65:66]
	ds_write_b64 v89, v[67:68]
	;; [unrolled: 1-line block ×4, first 2 shown]
	v_fma_f64 v[89:90], -v[35:36], v[73:74], v[90:91]
	v_fma_f64 v[51:52], -v[69:70], v[51:52], v[25:26]
	;; [unrolled: 1-line block ×3, first 2 shown]
	ds_read2_b64 v[98:101], v44 offset1:1
	v_fma_f64 v[110:111], -v[65:66], v[92:93], v[27:28]
	v_fma_f64 v[59:60], -v[169:170], v[112:113], v[59:60]
	v_mov_b32_e32 v44, s17
	ds_read2_b64 v[25:28], v151 offset0:13 offset1:14
	v_fma_f64 v[55:56], -v[29:30], v[55:56], v[89:90]
	ds_read2_b64 v[87:90], v151 offset0:11 offset1:12
	v_fma_f64 v[51:52], -v[45:46], v[96:97], v[51:52]
	ds_read_b128 v[71:74], v152 offset:96
	v_fma_f64 v[118:119], -v[67:68], v[118:119], v[110:111]
	s_waitcnt lgkmcnt(3)
	v_mul_f64 v[59:60], v[98:99], v[59:60]
	s_waitcnt lgkmcnt(1)
	v_fma_f64 v[31:32], -v[35:36], v[87:88], v[31:32]
	ds_read_b128 v[91:94], v44 offset:80
	ds_read_b128 v[95:98], v191 offset:96
	v_fma_f64 v[87:88], -v[75:76], v[124:125], v[55:56]
	v_fma_f64 v[21:22], -v[67:68], v[120:121], v[21:22]
	s_add_i32 s17, s4, s18
	v_mov_b32_e32 v192, s17
	s_waitcnt lgkmcnt(0)
	v_fma_f64 v[95:96], -v[33:34], v[95:96], v[51:52]
	s_add_i32 s17, s4, s19
	v_fma_f64 v[31:32], -v[29:30], v[57:58], v[31:32]
	ds_read2_b64 v[55:58], v43 offset0:11 offset1:12
	ds_read_b128 v[110:113], v191 offset:112
	v_fma_f64 v[87:88], -v[169:170], v[91:92], v[87:88]
	v_fma_f64 v[91:92], -v[69:70], v[53:54], v[118:119]
	ds_write_b64 v86, v[33:34]
	ds_read_b128 v[114:117], v44 offset:96
	ds_read2_b64 v[51:54], v43 offset0:13 offset1:14
	v_mov_b32_e32 v193, s17
	s_waitcnt lgkmcnt(4)
	v_fma_f64 v[31:32], -v[75:76], v[55:56], v[31:32]
	v_fma_f64 v[55:56], -v[35:36], v[89:90], v[95:96]
	;; [unrolled: 1-line block ×4, first 2 shown]
	ds_read_b128 v[86:89], v81 offset:2640
	ds_read_b128 v[99:102], v81 offset:3168
	s_or_b32 s17, s11, 0xb00
	v_add_u32_e32 v82, s14, v79
	v_fma_f64 v[31:32], -v[169:170], v[93:94], v[31:32]
	v_fma_f64 v[55:56], -v[29:30], v[71:72], v[55:56]
	ds_read2_b64 v[90:93], v192 offset0:11 offset1:12
	s_waitcnt lgkmcnt(2)
	v_mul_f64 v[171:172], v[86:87], v[95:96]
	v_fma_f64 v[71:72], -v[33:34], v[97:98], v[118:119]
	ds_read_b128 v[118:121], v85 offset:112
	ds_read_b128 v[94:97], v44 offset:208
	s_or_b32 s14, s11, 0xc00
	s_waitcnt lgkmcnt(2)
	v_fma_f64 v[31:32], -v[59:60], v[90:91], v[31:32]
	v_fma_f64 v[86:87], -v[75:76], v[57:58], v[55:56]
	s_waitcnt lgkmcnt(1)
	v_fma_f64 v[90:91], -v[69:70], v[118:119], v[21:22]
	ds_read_b128 v[55:58], v85 offset:128
	ds_read2_b64 v[21:24], v83 offset0:15 offset1:16
	v_fma_f64 v[25:26], -v[35:36], v[25:26], v[71:72]
	v_mov_b32_e32 v71, s20
	s_add_i32 s20, s4, s17
	v_fma_f64 v[31:32], -v[171:172], v[88:89], v[31:32]
	v_fma_f64 v[108:109], -v[169:170], v[114:115], v[86:87]
	;; [unrolled: 1-line block ×3, first 2 shown]
	s_waitcnt lgkmcnt(0)
	v_fma_f64 v[21:22], -v[67:68], v[21:22], v[106:107]
	v_mov_b32_e32 v194, s20
	v_fma_f64 v[25:26], -v[29:30], v[73:74], v[25:26]
	ds_read2_b64 v[71:74], v71 offset1:1
	ds_read2_b64 v[86:89], v83 offset0:17 offset1:18
	s_add_i32 s20, s4, s14
	v_mov_b32_e32 v195, s20
	v_fma_f64 v[107:108], -v[59:60], v[92:93], v[108:109]
	ds_read_b128 v[90:93], v193 offset:96
	v_fma_f64 v[114:115], -v[33:34], v[110:111], v[103:104]
	v_fma_f64 v[21:22], -v[69:70], v[120:121], v[21:22]
	s_waitcnt lgkmcnt(2)
	v_mul_f64 v[173:174], v[71:72], v[31:32]
	ds_read_b128 v[103:106], v193 offset:112
	v_fma_f64 v[25:26], -v[75:76], v[51:52], v[25:26]
	s_waitcnt lgkmcnt(1)
	v_fma_f64 v[31:32], -v[171:172], v[90:91], v[107:108]
	ds_read2_b64 v[107:110], v84 offset0:15 offset1:16
	v_fma_f64 v[51:52], -v[35:36], v[27:28], v[114:115]
	s_waitcnt lgkmcnt(0)
	v_fma_f64 v[21:22], -v[45:46], v[107:108], v[21:22]
	v_fma_f64 v[71:72], -v[169:170], v[116:117], v[25:26]
	ds_read_b128 v[25:28], v152 offset:112
	ds_read2_b64 v[114:117], v84 offset0:17 offset1:18
	ds_read_b128 v[118:121], v81 offset:128
	ds_read2_b64 v[122:125], v192 offset0:13 offset1:14
	ds_read_b128 v[126:129], v152 offset:128
	ds_read_b128 v[130:133], v81 offset:144
	ds_read2_b64 v[138:141], v151 offset0:15 offset1:16
	s_waitcnt lgkmcnt(6)
	v_fma_f64 v[25:26], -v[29:30], v[25:26], v[51:52]
	s_waitcnt lgkmcnt(4)
	v_fma_f64 v[17:18], -v[65:66], v[118:119], v[17:18]
	v_fma_f64 v[90:91], -v[33:34], v[112:113], v[21:22]
	s_waitcnt lgkmcnt(3)
	v_fma_f64 v[71:72], -v[59:60], v[122:123], v[71:72]
	v_fma_f64 v[31:32], -v[173:174], v[73:74], v[31:32]
	ds_read2_b64 v[134:137], v192 offset0:15 offset1:16
	s_waitcnt lgkmcnt(2)
	v_fma_f64 v[13:14], -v[65:66], v[130:131], v[13:14]
	v_fma_f64 v[25:26], -v[75:76], v[53:54], v[25:26]
	;; [unrolled: 1-line block ×3, first 2 shown]
	s_waitcnt lgkmcnt(1)
	v_fma_f64 v[107:108], -v[35:36], v[138:139], v[90:91]
	ds_read_b128 v[51:54], v44 offset:112
	v_fma_f64 v[111:112], -v[171:172], v[92:93], v[71:72]
	ds_read_b128 v[71:74], v44 offset:128
	ds_read2_b64 v[21:24], v151 offset0:17 offset1:18
	ds_read2_b64 v[90:93], v194 offset0:13 offset1:14
	s_waitcnt lgkmcnt(3)
	v_fma_f64 v[51:52], -v[169:170], v[51:52], v[25:26]
	v_fma_f64 v[17:18], -v[69:70], v[55:56], v[17:18]
	v_fma_f64 v[55:56], -v[29:30], v[27:28], v[107:108]
	ds_read2_b64 v[25:28], v43 offset0:15 offset1:16
	ds_read2_b64 v[142:145], v194 offset0:15 offset1:16
	v_mul_f64 v[175:176], v[99:100], v[31:32]
	s_waitcnt lgkmcnt(2)
	v_fma_f64 v[31:32], -v[173:174], v[90:91], v[111:112]
	v_fma_f64 v[90:91], -v[65:66], v[120:121], v[19:20]
	ds_read_b128 v[146:149], v191 offset:144
	v_fma_f64 v[51:52], -v[59:60], v[124:125], v[51:52]
	v_fma_f64 v[17:18], -v[45:46], v[109:110], v[17:18]
	s_waitcnt lgkmcnt(2)
	v_fma_f64 v[25:26], -v[75:76], v[25:26], v[55:56]
	ds_read_b128 v[122:125], v191 offset:128
	v_fma_f64 v[13:14], -v[67:68], v[88:89], v[13:14]
	v_fma_f64 v[31:32], -v[175:176], v[101:102], v[31:32]
	;; [unrolled: 1-line block ×3, first 2 shown]
	ds_write_b64 v82, v[35:36]
	v_fma_f64 v[51:52], -v[171:172], v[103:104], v[51:52]
	s_waitcnt lgkmcnt(1)
	v_fma_f64 v[55:56], -v[33:34], v[122:123], v[17:18]
	v_fma_f64 v[25:26], -v[169:170], v[53:54], v[25:26]
	v_mov_b32_e32 v17, s12
	ds_read2_b64 v[17:20], v17 offset1:1
	s_or_b32 s12, s11, 0xd00
	ds_read2_b64 v[107:110], v43 offset0:17 offset1:18
	s_or_b32 s11, s11, 0xe00
	v_fma_f64 v[98:99], -v[173:174], v[92:93], v[51:52]
	v_fma_f64 v[55:56], -v[35:36], v[140:141], v[55:56]
	;; [unrolled: 1-line block ×3, first 2 shown]
	ds_read_b128 v[51:54], v195 offset:112
	ds_read_b128 v[90:93], v195 offset:128
	s_waitcnt lgkmcnt(3)
	v_mul_f64 v[177:178], v[17:18], v[31:32]
	s_waitcnt lgkmcnt(1)
	v_fma_f64 v[31:32], -v[175:176], v[51:52], v[98:99]
	v_fma_f64 v[51:52], -v[69:70], v[57:58], v[86:87]
	;; [unrolled: 1-line block ×4, first 2 shown]
	v_add_u32_e32 v55, s15, v79
	s_add_i32 s15, s4, s12
	ds_write_b64 v55, v[29:30]
	v_add_u32_e32 v55, s16, v79
	v_fma_f64 v[31:32], -v[177:178], v[19:20], v[31:32]
	v_fma_f64 v[51:52], -v[45:46], v[114:115], v[51:52]
	;; [unrolled: 1-line block ×4, first 2 shown]
	ds_read_b128 v[17:20], v81 offset:3696
	v_mov_b32_e32 v196, s15
	ds_write_b64 v55, v[75:76]
	s_or_b32 s16, s8, 15
	s_mul_i32 s20, s16, 0x108
	s_waitcnt lgkmcnt(1)
	v_mul_f64 v[179:180], v[17:18], v[31:32]
	v_fma_f64 v[17:18], -v[175:176], v[53:54], v[25:26]
	v_fma_f64 v[31:32], -v[33:34], v[124:125], v[51:52]
	;; [unrolled: 1-line block ×3, first 2 shown]
	ds_read2_b64 v[25:28], v196 offset0:15 offset1:16
	s_add_i32 s15, s4, s11
	v_mov_b32_e32 v82, s20
	v_mov_b32_e32 v197, s15
	s_or_b32 s20, s8, 16
	s_waitcnt lgkmcnt(0)
	v_fma_f64 v[17:18], -v[177:178], v[25:26], v[17:18]
	v_fma_f64 v[21:22], -v[35:36], v[21:22], v[31:32]
	;; [unrolled: 1-line block ×3, first 2 shown]
	ds_read_b128 v[51:54], v85 offset:144
	ds_read_b128 v[55:58], v195 offset:208
	;; [unrolled: 1-line block ×5, first 2 shown]
	s_waitcnt lgkmcnt(4)
	v_fma_f64 v[13:14], -v[69:70], v[51:52], v[13:14]
	v_fma_f64 v[31:32], -v[179:180], v[19:20], v[17:18]
	;; [unrolled: 1-line block ×4, first 2 shown]
	s_waitcnt lgkmcnt(2)
	v_fma_f64 v[25:26], -v[171:172], v[86:87], v[71:72]
	s_mul_i32 s21, s20, 0x108
	s_lshl_b32 s15, s16, 8
	s_add_i32 s16, s4, s15
	v_fma_f64 v[51:52], -v[45:46], v[116:117], v[13:14]
	ds_read2_b64 v[13:16], v83 offset0:19 offset1:20
	v_fma_f64 v[71:72], -v[75:76], v[107:108], v[17:18]
	ds_read2_b64 v[17:20], v83 offset0:21 offset1:22
	v_fma_f64 v[25:26], -v[173:174], v[144:145], v[25:26]
	ds_read2_b64 v[111:114], v82 offset1:1
	ds_read_b128 v[115:118], v197 offset:128
	s_waitcnt lgkmcnt(3)
	v_fma_f64 v[13:14], -v[67:68], v[13:14], v[21:22]
	v_mov_b32_e32 v198, s16
	v_fma_f64 v[21:22], -v[33:34], v[146:147], v[51:52]
	s_waitcnt lgkmcnt(1)
	v_mul_f64 v[181:182], v[111:112], v[31:32]
	v_fma_f64 v[86:87], -v[169:170], v[73:74], v[71:72]
	ds_read_b128 v[71:74], v81 offset:160
	v_fma_f64 v[25:26], -v[175:176], v[90:91], v[25:26]
	s_lshl_b32 s16, s20, 8
	v_fma_f64 v[13:14], -v[69:70], v[53:54], v[13:14]
	s_add_i32 s20, s4, s16
	s_waitcnt lgkmcnt(0)
	v_fma_f64 v[9:10], -v[65:66], v[71:72], v[9:10]
	v_fma_f64 v[90:91], -v[35:36], v[23:24], v[21:22]
	ds_read2_b64 v[21:24], v84 offset0:19 offset1:20
	ds_read_b128 v[51:54], v81 offset:176
	ds_read_b128 v[119:122], v152 offset:144
	ds_read2_b64 v[123:126], v192 offset0:17 offset1:18
	ds_read2_b64 v[127:130], v84 offset0:21 offset1:22
	ds_read_b128 v[131:134], v152 offset:160
	ds_read2_b64 v[135:138], v192 offset0:19 offset1:20
	s_waitcnt lgkmcnt(6)
	v_fma_f64 v[13:14], -v[45:46], v[21:22], v[13:14]
	s_waitcnt lgkmcnt(3)
	v_fma_f64 v[71:72], -v[59:60], v[123:124], v[86:87]
	v_fma_f64 v[9:10], -v[67:68], v[15:16], v[9:10]
	;; [unrolled: 1-line block ×4, first 2 shown]
	v_mov_b32_e32 v199, s20
	v_fma_f64 v[5:6], -v[65:66], v[51:52], v[5:6]
	s_or_b32 s20, s8, 18
	v_fma_f64 v[90:91], -v[33:34], v[148:149], v[13:14]
	ds_read2_b64 v[13:16], v151 offset0:19 offset1:20
	v_fma_f64 v[9:10], -v[69:70], v[98:99], v[9:10]
	v_fma_f64 v[21:22], -v[75:76], v[109:110], v[21:22]
	;; [unrolled: 1-line block ×3, first 2 shown]
	ds_read_b128 v[25:28], v44 offset:144
	ds_read2_b64 v[86:89], v194 offset0:17 offset1:18
	ds_read2_b64 v[106:109], v151 offset0:21 offset1:22
	ds_read_b128 v[143:146], v191 offset:160
	ds_read_b128 v[139:142], v44 offset:160
	s_waitcnt lgkmcnt(5)
	v_fma_f64 v[13:14], -v[35:36], v[13:14], v[90:91]
	v_fma_f64 v[31:32], -v[179:180], v[115:116], v[31:32]
	;; [unrolled: 1-line block ×3, first 2 shown]
	s_waitcnt lgkmcnt(4)
	v_fma_f64 v[25:26], -v[169:170], v[25:26], v[21:22]
	s_waitcnt lgkmcnt(3)
	v_fma_f64 v[71:72], -v[173:174], v[86:87], v[71:72]
	ds_read2_b64 v[21:24], v194 offset0:19 offset1:20
	v_fma_f64 v[5:6], -v[67:68], v[19:20], v[5:6]
	v_fma_f64 v[13:14], -v[29:30], v[121:122], v[13:14]
	ds_read_b128 v[119:122], v191 offset:176
	s_waitcnt lgkmcnt(3)
	v_fma_f64 v[9:10], -v[33:34], v[143:144], v[9:10]
	v_fma_f64 v[25:26], -v[59:60], v[125:126], v[25:26]
	ds_read2_b64 v[123:126], v43 offset0:19 offset1:20
	v_fma_f64 v[71:72], -v[175:176], v[92:93], v[71:72]
	v_fma_f64 v[31:32], -v[181:182], v[113:114], v[31:32]
	ds_read2_b64 v[90:93], v196 offset0:17 offset1:18
	ds_read2_b64 v[110:113], v43 offset0:21 offset1:22
	s_waitcnt lgkmcnt(2)
	v_fma_f64 v[86:87], -v[75:76], v[123:124], v[13:14]
	v_fma_f64 v[9:10], -v[35:36], v[15:16], v[9:10]
	;; [unrolled: 1-line block ×3, first 2 shown]
	v_mov_b32_e32 v25, s21
	s_waitcnt lgkmcnt(1)
	v_fma_f64 v[71:72], -v[177:178], v[90:91], v[71:72]
	ds_read2_b64 v[13:16], v196 offset0:19 offset1:20
	s_or_b32 s21, s8, 17
	s_mul_i32 s23, s21, 0x108
	v_fma_f64 v[90:91], -v[169:170], v[27:28], v[86:87]
	v_fma_f64 v[9:10], -v[29:30], v[131:132], v[9:10]
	ds_read_b128 v[25:28], v25
	v_fma_f64 v[98:99], -v[173:174], v[88:89], v[98:99]
	v_fma_f64 v[71:72], -v[179:180], v[117:118], v[71:72]
	ds_read_b128 v[86:89], v195 offset:144
	ds_read2_b64 v[114:117], v198 offset0:17 offset1:18
	v_mov_b32_e32 v82, s23
	s_waitcnt lgkmcnt(2)
	v_mul_f64 v[183:184], v[25:26], v[31:32]
	v_fma_f64 v[90:91], -v[59:60], v[135:136], v[90:91]
	v_fma_f64 v[102:103], -v[75:76], v[125:126], v[9:10]
	;; [unrolled: 1-line block ×3, first 2 shown]
	s_waitcnt lgkmcnt(1)
	v_fma_f64 v[86:87], -v[175:176], v[86:87], v[98:99]
	ds_read_b128 v[123:126], v195 offset:160
	s_waitcnt lgkmcnt(1)
	v_fma_f64 v[31:32], -v[181:182], v[114:115], v[71:72]
	ds_read_b128 v[71:74], v197 offset:144
	ds_read_b128 v[147:150], v197 offset:208
	v_fma_f64 v[90:91], -v[171:172], v[104:105], v[90:91]
	v_fma_f64 v[98:99], -v[169:170], v[139:140], v[102:103]
	;; [unrolled: 1-line block ×4, first 2 shown]
	ds_read2_b64 v[9:12], v198 offset0:19 offset1:20
	v_fma_f64 v[31:32], -v[183:184], v[27:28], v[31:32]
	ds_read_b128 v[25:28], v197 offset:160
	v_fma_f64 v[21:22], -v[173:174], v[21:22], v[90:91]
	v_fma_f64 v[98:99], -v[59:60], v[137:138], v[98:99]
	;; [unrolled: 1-line block ×3, first 2 shown]
	ds_read_b128 v[90:93], v193 offset:160
	s_waitcnt lgkmcnt(4)
	v_fma_f64 v[71:72], -v[179:180], v[71:72], v[86:87]
	v_fma_f64 v[21:22], -v[175:176], v[88:89], v[21:22]
	ds_read_b128 v[86:89], v193 offset:176
	s_waitcnt lgkmcnt(1)
	v_fma_f64 v[90:91], -v[171:172], v[90:91], v[98:99]
	v_fma_f64 v[17:18], -v[45:46], v[127:128], v[17:18]
	;; [unrolled: 1-line block ×3, first 2 shown]
	ds_read2_b64 v[98:101], v82 offset1:1
	ds_read_b128 v[102:105], v199 offset:144
	v_fma_f64 v[13:14], -v[177:178], v[13:14], v[21:22]
	s_waitcnt lgkmcnt(1)
	v_mul_f64 v[185:186], v[98:99], v[31:32]
	v_fma_f64 v[21:22], -v[173:174], v[23:24], v[90:91]
	v_fma_f64 v[17:18], -v[33:34], v[145:146], v[17:18]
	v_add_u32_e32 v23, s13, v79
	ds_write_b64 v23, v[169:170]
	s_waitcnt lgkmcnt(1)
	v_fma_f64 v[23:24], -v[183:184], v[102:103], v[71:72]
	v_add_u32_e32 v31, s18, v79
	v_fma_f64 v[13:14], -v[179:180], v[73:74], v[13:14]
	ds_write_b64 v31, v[59:60]
	v_fma_f64 v[21:22], -v[175:176], v[123:124], v[21:22]
	v_fma_f64 v[17:18], -v[35:36], v[106:107], v[17:18]
	s_lshl_b32 s13, s21, 8
	s_mul_i32 s21, s20, 0x108
	v_fma_f64 v[31:32], -v[185:186], v[100:101], v[23:24]
	s_add_i32 s18, s4, s13
	v_fma_f64 v[9:10], -v[181:182], v[9:10], v[13:14]
	v_mov_b32_e32 v13, s21
	v_fma_f64 v[21:22], -v[177:178], v[15:16], v[21:22]
	v_fma_f64 v[23:24], -v[29:30], v[133:134], v[17:18]
	ds_read_b128 v[13:16], v13
	ds_read_b128 v[17:20], v85 offset:176
	v_mov_b32_e32 v200, s18
	s_or_b32 s21, s8, 19
	v_fma_f64 v[9:10], -v[183:184], v[104:105], v[9:10]
	s_waitcnt lgkmcnt(1)
	v_mul_f64 v[187:188], v[13:14], v[31:32]
	v_fma_f64 v[25:26], -v[179:180], v[25:26], v[21:22]
	v_fma_f64 v[51:52], -v[75:76], v[110:111], v[23:24]
	s_waitcnt lgkmcnt(0)
	v_fma_f64 v[5:6], -v[69:70], v[17:18], v[5:6]
	ds_read2_b64 v[21:24], v200 offset0:19 offset1:20
	ds_read_b128 v[71:74], v85 offset:192
	s_lshl_b32 s18, s20, 8
	s_mul_i32 s23, s21, 0x108
	s_add_i32 s20, s4, s18
	s_waitcnt lgkmcnt(1)
	v_fma_f64 v[17:18], -v[185:186], v[21:22], v[9:10]
	v_fma_f64 v[13:14], -v[181:182], v[11:12], v[25:26]
	v_fma_f64 v[21:22], -v[169:170], v[141:142], v[51:52]
	v_fma_f64 v[5:6], -v[45:46], v[129:130], v[5:6]
	ds_read_b128 v[9:12], v199 offset:160
	ds_read2_b64 v[98:101], v192 offset0:21 offset1:22
	ds_read_b128 v[102:105], v199 offset:176
	ds_read2_b64 v[114:117], v192 offset0:23 offset1:24
	v_mov_b32_e32 v201, s20
	v_fma_f64 v[17:18], -v[187:188], v[15:16], v[17:18]
	s_waitcnt lgkmcnt(3)
	v_fma_f64 v[9:10], -v[183:184], v[9:10], v[13:14]
	s_waitcnt lgkmcnt(2)
	v_fma_f64 v[13:14], -v[59:60], v[98:99], v[21:22]
	v_fma_f64 v[5:6], -v[33:34], v[119:120], v[5:6]
	;; [unrolled: 1-line block ×3, first 2 shown]
	v_mov_b32_e32 v15, s23
	s_or_b32 s20, s8, 20
	s_lshl_b32 s19, s21, 8
	s_mul_i32 s21, s20, 0x108
	v_fma_f64 v[9:10], -v[185:186], v[23:24], v[9:10]
	v_fma_f64 v[25:26], -v[171:172], v[92:93], v[13:14]
	;; [unrolled: 1-line block ×3, first 2 shown]
	ds_read2_b64 v[13:16], v15 offset1:1
	ds_read_b128 v[21:24], v201 offset:160
	ds_read2_b64 v[90:93], v194 offset0:21 offset1:22
	ds_read_b128 v[5:8], v152 offset:176
	ds_read2_b64 v[51:54], v83 offset0:23 offset1:24
	ds_read2_b64 v[106:109], v194 offset0:23 offset1:24
	ds_read_b128 v[127:130], v152 offset:192
	ds_read2_b64 v[131:134], v83 offset0:25 offset1:26
	s_waitcnt lgkmcnt(7)
	v_mul_f64 v[189:190], v[13:14], v[17:18]
	s_waitcnt lgkmcnt(5)
	v_fma_f64 v[25:26], -v[173:174], v[90:91], v[25:26]
	s_waitcnt lgkmcnt(4)
	v_fma_f64 v[5:6], -v[29:30], v[5:6], v[31:32]
	;; [unrolled: 2-line block ×3, first 2 shown]
	v_fma_f64 v[9:10], -v[187:188], v[21:22], v[9:10]
	s_or_b32 s23, s8, 21
	s_lshl_b32 s20, s20, 8
	s_mul_i32 s24, s23, 0x108
	v_fma_f64 v[13:14], -v[175:176], v[125:126], v[25:26]
	v_fma_f64 v[5:6], -v[75:76], v[112:113], v[5:6]
	;; [unrolled: 1-line block ×3, first 2 shown]
	ds_read2_b64 v[110:113], v196 offset0:21 offset1:22
	ds_read_b128 v[17:20], v44 offset:176
	ds_read2_b64 v[123:126], v84 offset0:23 offset1:24
	ds_read2_b64 v[135:138], v196 offset0:23 offset1:24
	v_mov_b32_e32 v25, s21
	ds_read_b128 v[139:142], v44 offset:192
	ds_read2_b64 v[82:85], v84 offset0:25 offset1:26
	s_waitcnt lgkmcnt(5)
	v_fma_f64 v[13:14], -v[177:178], v[110:111], v[13:14]
	s_waitcnt lgkmcnt(4)
	v_fma_f64 v[5:6], -v[169:170], v[17:18], v[5:6]
	;; [unrolled: 2-line block ×3, first 2 shown]
	v_fma_f64 v[21:22], -v[189:190], v[15:16], v[9:10]
	s_add_i32 s21, s4, s19
	v_fma_f64 v[9:10], -v[179:180], v[27:28], v[13:14]
	v_fma_f64 v[5:6], -v[59:60], v[100:101], v[5:6]
	;; [unrolled: 1-line block ×3, first 2 shown]
	ds_read2_b64 v[13:16], v198 offset0:21 offset1:22
	ds_read_b128 v[25:28], v25
	ds_read2_b64 v[98:101], v151 offset0:23 offset1:24
	ds_read2_b64 v[118:121], v198 offset0:23 offset1:24
	ds_read_b128 v[143:146], v81 offset:192
	ds_read_b128 v[155:158], v81 offset:208
	ds_read2_b64 v[151:154], v151 offset0:25 offset1:26
	ds_read2_b64 v[159:162], v200 offset0:21 offset1:22
	s_waitcnt lgkmcnt(7)
	v_fma_f64 v[9:10], -v[181:182], v[13:14], v[9:10]
	s_waitcnt lgkmcnt(5)
	v_fma_f64 v[13:14], -v[35:36], v[98:99], v[17:18]
	;; [unrolled: 2-line block ×3, first 2 shown]
	v_fma_f64 v[5:6], -v[171:172], v[86:87], v[5:6]
	v_mul_f64 v[86:87], v[25:26], v[21:22]
	s_waitcnt lgkmcnt(2)
	v_fma_f64 v[63:64], -v[65:66], v[155:156], v[63:64]
	v_mov_b32_e32 v81, s21
	s_add_i32 s21, s4, s20
	v_fma_f64 v[17:18], -v[183:184], v[11:12], v[9:10]
	v_fma_f64 v[13:14], -v[29:30], v[7:8], v[13:14]
	;; [unrolled: 1-line block ×4, first 2 shown]
	ds_read_b128 v[9:12], v201 offset:208
	ds_read2_b64 v[5:8], v43 offset0:23 offset1:24
	ds_read2_b64 v[51:54], v200 offset0:23 offset1:24
	ds_read_b128 v[90:93], v195 offset:176
	ds_read2_b64 v[163:166], v43 offset0:25 offset1:26
	v_fma_f64 v[63:64], -v[67:68], v[133:134], v[63:64]
	s_waitcnt lgkmcnt(5)
	v_fma_f64 v[17:18], -v[185:186], v[159:160], v[17:18]
	s_waitcnt lgkmcnt(3)
	v_fma_f64 v[5:6], -v[75:76], v[5:6], v[13:14]
	v_fma_f64 v[13:14], -v[65:66], v[145:146], v[3:4]
	;; [unrolled: 1-line block ×3, first 2 shown]
	s_waitcnt lgkmcnt(1)
	v_fma_f64 v[21:22], -v[175:176], v[90:91], v[21:22]
	ds_read_b128 v[1:4], v195 offset:192
	v_fma_f64 v[37:38], -v[69:70], v[37:38], v[63:64]
	v_fma_f64 v[31:32], -v[187:188], v[23:24], v[17:18]
	;; [unrolled: 1-line block ×6, first 2 shown]
	ds_read_b128 v[21:24], v191 offset:192
	ds_read2_b64 v[17:20], v81 offset0:21 offset1:22
	ds_read2_b64 v[131:134], v81 offset0:23 offset1:24
	ds_read_b128 v[110:113], v197 offset:176
	ds_read_b128 v[122:125], v197 offset:192
	v_fma_f64 v[13:14], -v[69:70], v[73:74], v[13:14]
	ds_read_b128 v[71:74], v191 offset:208
	s_waitcnt lgkmcnt(5)
	v_fma_f64 v[21:22], -v[33:34], v[21:22], v[25:26]
	v_fma_f64 v[5:6], -v[59:60], v[114:115], v[5:6]
	s_waitcnt lgkmcnt(4)
	v_fma_f64 v[17:18], -v[189:190], v[17:18], v[31:32]
	v_fma_f64 v[31:32], -v[65:66], v[157:158], v[61:62]
	s_waitcnt lgkmcnt(2)
	v_fma_f64 v[25:26], -v[179:180], v[110:111], v[90:91]
	v_mov_b32_e32 v65, s24
	v_fma_f64 v[13:14], -v[45:46], v[82:83], v[13:14]
	s_or_b32 s24, s8, 22
	v_fma_f64 v[21:22], -v[35:36], v[100:101], v[21:22]
	v_fma_f64 v[5:6], -v[171:172], v[88:89], v[5:6]
	v_fma_f64 v[17:18], -v[86:87], v[27:28], v[17:18]
	s_mul_i32 s25, s24, 0x108
	v_fma_f64 v[15:16], -v[181:182], v[15:16], v[25:26]
	v_fma_f64 v[25:26], -v[45:46], v[84:85], v[37:38]
	;; [unrolled: 1-line block ×6, first 2 shown]
	v_mov_b32_e32 v67, s21
	s_lshl_b32 s21, s23, 8
	v_fma_f64 v[15:16], -v[183:184], v[102:103], v[15:16]
	s_waitcnt lgkmcnt(0)
	v_fma_f64 v[25:26], -v[33:34], v[71:72], v[25:26]
	v_fma_f64 v[13:14], -v[35:36], v[151:152], v[13:14]
	v_fma_f64 v[23:24], -v[69:70], v[39:40], v[23:24]
	v_fma_f64 v[21:22], -v[75:76], v[7:8], v[21:22]
	v_fma_f64 v[27:28], -v[175:176], v[92:93], v[5:6]
	ds_read_b128 v[5:8], v201 offset:176
	s_add_i32 s23, s4, s21
	v_fma_f64 v[31:32], -v[185:186], v[161:162], v[15:16]
	v_fma_f64 v[25:26], -v[35:36], v[153:154], v[25:26]
	v_fma_f64 v[37:38], -v[29:30], v[129:130], v[13:14]
	v_fma_f64 v[39:40], -v[45:46], v[41:42], v[23:24]
	v_fma_f64 v[21:22], -v[169:170], v[139:140], v[21:22]
	v_fma_f64 v[27:28], -v[177:178], v[135:136], v[27:28]
	ds_read_b128 v[13:16], v201 offset:192
	s_waitcnt lgkmcnt(1)
	v_fma_f64 v[5:6], -v[187:188], v[5:6], v[31:32]
	v_fma_f64 v[63:64], -v[29:30], v[47:48], v[25:26]
	v_fma_f64 v[37:38], -v[75:76], v[163:164], v[37:38]
	v_fma_f64 v[61:62], -v[33:34], v[73:74], v[39:40]
	v_fma_f64 v[44:45], -v[59:60], v[116:117], v[21:22]
	v_fma_f64 v[41:42], -v[179:180], v[112:113], v[27:28]
	ds_read_b128 v[21:24], v193 offset:192
	ds_read2_b64 v[25:28], v65 offset1:1
	ds_read_b128 v[31:34], v67 offset:176
	v_fma_f64 v[5:6], -v[189:190], v[19:20], v[5:6]
	v_fma_f64 v[65:66], -v[169:170], v[141:142], v[37:38]
	;; [unrolled: 1-line block ×3, first 2 shown]
	s_waitcnt lgkmcnt(2)
	v_fma_f64 v[21:22], -v[171:172], v[21:22], v[44:45]
	ds_read_b128 v[37:40], v193 offset:208
	ds_read2_b64 v[44:47], v192 offset0:25 offset1:26
	v_fma_f64 v[41:42], -v[181:182], v[118:119], v[41:42]
	v_fma_f64 v[61:62], -v[75:76], v[165:166], v[63:64]
	s_waitcnt lgkmcnt(3)
	v_mul_f64 v[63:64], v[25:26], v[17:18]
	ds_read_b64 v[25:26], v192 offset:216
	s_waitcnt lgkmcnt(1)
	v_fma_f64 v[17:18], -v[59:60], v[44:45], v[65:66]
	v_fma_f64 v[21:22], -v[173:174], v[108:109], v[21:22]
	;; [unrolled: 1-line block ×3, first 2 shown]
	ds_read_b64 v[43:44], v43 offset:216
	v_fma_f64 v[35:36], -v[183:184], v[104:105], v[41:42]
	v_fma_f64 v[41:42], -v[169:170], v[94:95], v[61:62]
	;; [unrolled: 1-line block ×5, first 2 shown]
	s_waitcnt lgkmcnt(0)
	v_fma_f64 v[21:22], -v[75:76], v[43:44], v[29:30]
	ds_read2_b64 v[17:20], v194 offset0:25 offset1:26
	v_fma_f64 v[31:32], -v[185:186], v[51:52], v[35:36]
	v_fma_f64 v[29:30], -v[59:60], v[46:47], v[41:42]
	ds_read_b64 v[35:36], v194 offset:216
	v_fma_f64 v[41:42], -v[63:64], v[27:28], v[5:6]
	s_waitcnt lgkmcnt(1)
	v_fma_f64 v[17:18], -v[173:174], v[17:18], v[23:24]
	v_fma_f64 v[1:2], -v[177:178], v[137:138], v[1:2]
	;; [unrolled: 1-line block ×3, first 2 shown]
	v_mov_b32_e32 v43, s25
	v_fma_f64 v[7:8], -v[187:188], v[7:8], v[31:32]
	v_fma_f64 v[5:6], -v[171:172], v[37:38], v[29:30]
	ds_read_b64 v[29:30], v196 offset:216
	v_mov_b32_e32 v44, s23
	v_fma_f64 v[17:18], -v[175:176], v[3:4], v[17:18]
	v_fma_f64 v[23:24], -v[179:180], v[122:123], v[1:2]
	;; [unrolled: 1-line block ×3, first 2 shown]
	ds_read2_b64 v[1:4], v196 offset0:25 offset1:26
	v_fma_f64 v[25:26], -v[189:190], v[131:132], v[7:8]
	v_fma_f64 v[19:20], -v[173:174], v[19:20], v[5:6]
	ds_read_b128 v[5:8], v199 offset:192
	s_waitcnt lgkmcnt(1)
	v_fma_f64 v[1:2], -v[177:178], v[1:2], v[17:18]
	v_fma_f64 v[23:24], -v[181:182], v[120:121], v[23:24]
	;; [unrolled: 1-line block ×5, first 2 shown]
	ds_read_b128 v[17:20], v199 offset:208
	v_fma_f64 v[33:34], -v[179:180], v[124:125], v[1:2]
	s_waitcnt lgkmcnt(1)
	v_fma_f64 v[5:6], -v[183:184], v[5:6], v[23:24]
	v_fma_f64 v[35:36], -v[173:174], v[35:36], v[21:22]
	ds_read2_b64 v[21:24], v198 offset0:25 offset1:26
	v_fma_f64 v[37:38], -v[177:178], v[3:4], v[27:28]
	ds_read_b128 v[1:4], v43
	ds_read2_b64 v[25:28], v44 offset0:23 offset1:24
	ds_read_b64 v[39:40], v198 offset:216
	v_add_u32_e32 v43, s17, v79
	s_waitcnt lgkmcnt(3)
	v_fma_f64 v[21:22], -v[181:182], v[21:22], v[33:34]
	v_fma_f64 v[5:6], -v[185:186], v[53:54], v[5:6]
	;; [unrolled: 1-line block ×3, first 2 shown]
	s_lshl_b32 s17, s24, 8
	s_or_b32 s24, s8, 23
	v_fma_f64 v[35:36], -v[179:180], v[147:148], v[37:38]
	s_waitcnt lgkmcnt(2)
	v_mul_f64 v[37:38], v[1:2], v[41:42]
	s_waitcnt lgkmcnt(1)
	v_fma_f64 v[1:2], -v[63:64], v[25:26], v[31:32]
	v_fma_f64 v[21:22], -v[183:184], v[7:8], v[21:22]
	v_fma_f64 v[13:14], -v[187:188], v[13:14], v[5:6]
	v_fma_f64 v[25:26], -v[177:178], v[29:30], v[33:34]
	ds_read2_b64 v[5:8], v200 offset0:25 offset1:26
	ds_read_b64 v[29:30], v200 offset:216
	v_fma_f64 v[23:24], -v[181:182], v[23:24], v[35:36]
	s_mul_i32 s25, s24, 0x108
	v_fma_f64 v[31:32], -v[37:38], v[3:4], v[1:2]
	s_waitcnt lgkmcnt(1)
	v_fma_f64 v[5:6], -v[185:186], v[5:6], v[21:22]
	ds_read_b128 v[1:4], v67 offset:192
	v_fma_f64 v[21:22], -v[179:180], v[149:150], v[25:26]
	v_fma_f64 v[25:26], -v[189:190], v[133:134], v[13:14]
	ds_write_b64 v202, v[171:172]
	v_fma_f64 v[17:18], -v[183:184], v[17:18], v[23:24]
	s_add_i32 s23, s4, s17
	v_fma_f64 v[33:34], -v[187:188], v[15:16], v[5:6]
	ds_read_b128 v[13:16], v67 offset:208
	v_fma_f64 v[35:36], -v[181:182], v[39:40], v[21:22]
	s_waitcnt lgkmcnt(2)
	v_fma_f64 v[1:2], -v[86:87], v[1:2], v[25:26]
	ds_read2_b64 v[21:24], v81 offset0:25 offset1:26
	v_fma_f64 v[17:18], -v[185:186], v[7:8], v[17:18]
	v_mov_b32_e32 v5, s25
	ds_read2_b64 v[5:8], v5 offset1:1
	ds_read_b64 v[25:26], v81 offset:216
	s_or_b32 s25, s8, 24
	s_waitcnt lgkmcnt(2)
	v_fma_f64 v[21:22], -v[189:190], v[21:22], v[33:34]
	v_fma_f64 v[33:34], -v[183:184], v[19:20], v[35:36]
	;; [unrolled: 1-line block ×3, first 2 shown]
	v_mov_b32_e32 v35, s23
	v_fma_f64 v[9:10], -v[187:188], v[9:10], v[17:18]
	ds_read_b128 v[17:20], v35 offset:192
	s_waitcnt lgkmcnt(2)
	v_mul_f64 v[27:28], v[5:6], v[31:32]
	s_lshl_b32 s23, s24, 8
	v_fma_f64 v[5:6], -v[86:87], v[3:4], v[21:22]
	v_fma_f64 v[21:22], -v[185:186], v[29:30], v[33:34]
	s_add_i32 s24, s4, s23
	s_mul_i32 s26, s25, 0x108
	v_fma_f64 v[9:10], -v[189:190], v[23:24], v[9:10]
	ds_read_b64 v[23:24], v44 offset:216
	s_waitcnt lgkmcnt(1)
	v_fma_f64 v[17:18], -v[37:38], v[17:18], v[1:2]
	ds_read2_b64 v[1:4], v44 offset0:25 offset1:26
	ds_write_b64 v43, v[173:174]
	v_fma_f64 v[11:12], -v[187:188], v[11:12], v[21:22]
	s_waitcnt lgkmcnt(1)
	v_fma_f64 v[1:2], -v[63:64], v[1:2], v[5:6]
	v_fma_f64 v[13:14], -v[86:87], v[13:14], v[9:10]
	;; [unrolled: 1-line block ×3, first 2 shown]
	v_mov_b32_e32 v5, s26
	ds_read_b128 v[5:8], v5
	v_fma_f64 v[21:22], -v[189:190], v[25:26], v[11:12]
	v_mov_b32_e32 v25, s24
	ds_read2_b64 v[9:12], v25 offset0:25 offset1:26
	v_fma_f64 v[19:20], -v[37:38], v[19:20], v[1:2]
	v_fma_f64 v[13:14], -v[63:64], v[3:4], v[13:14]
	s_waitcnt lgkmcnt(1)
	v_mul_f64 v[17:18], v[5:6], v[17:18]
	ds_read_b128 v[1:4], v35 offset:208
	ds_read_b64 v[25:26], v25 offset:216
	s_or_b32 s24, s8, 25
	s_or_b32 s8, s8, 26
	s_waitcnt lgkmcnt(2)
	v_fma_f64 v[5:6], -v[27:28], v[9:10], v[19:20]
	v_fma_f64 v[9:10], -v[86:87], v[15:16], v[21:22]
	v_add_u32_e32 v15, s14, v79
	ds_write_b64 v15, v[175:176]
	s_waitcnt lgkmcnt(2)
	v_fma_f64 v[1:2], -v[37:38], v[1:2], v[13:14]
	v_add_u32_e32 v19, s12, v79
	s_lshl_b32 s12, s25, 8
	s_add_i32 s14, s4, s12
	v_fma_f64 v[13:14], -v[17:18], v[7:8], v[5:6]
	v_fma_f64 v[15:16], -v[63:64], v[23:24], v[9:10]
	s_mul_i32 s25, s24, 0x108
	v_mov_b32_e32 v5, s25
	v_fma_f64 v[1:2], -v[27:28], v[11:12], v[1:2]
	v_mov_b32_e32 v9, s14
	ds_read2_b64 v[5:8], v5 offset1:1
	ds_read_b128 v[9:12], v9 offset:208
	s_mul_i32 s14, s8, 0x108
	ds_write_b64 v19, v[177:178]
	v_fma_f64 v[3:4], -v[37:38], v[3:4], v[15:16]
	s_waitcnt lgkmcnt(2)
	v_mul_f64 v[5:6], v[5:6], v[13:14]
	v_add_u32_e32 v15, s11, v79
	s_waitcnt lgkmcnt(1)
	v_fma_f64 v[1:2], -v[17:18], v[9:10], v[1:2]
	v_add_u32_e32 v9, s15, v79
	ds_write_b64 v9, v[181:182]
	s_lshl_b32 s11, s24, 8
	s_add_i32 s4, s4, s11
	v_fma_f64 v[3:4], -v[27:28], v[25:26], v[3:4]
	ds_write_b64 v15, v[179:180]
	v_add_u32_e32 v13, s16, v79
	v_fma_f64 v[7:8], -v[5:6], v[7:8], v[1:2]
	v_mov_b32_e32 v1, s14
	v_fma_f64 v[9:10], -v[17:18], v[11:12], v[3:4]
	v_mov_b32_e32 v11, s4
	ds_read_b128 v[1:4], v1
	ds_read_b64 v[11:12], v11 offset:216
	s_mul_i32 s4, s10, 0x108
	ds_write_b64 v13, v[183:184]
	v_add_u32_e32 v13, s13, v79
	s_waitcnt lgkmcnt(2)
	v_mul_f64 v[1:2], v[1:2], v[7:8]
	ds_write_b64 v13, v[185:186]
	s_waitcnt lgkmcnt(2)
	v_fma_f64 v[7:8], -v[5:6], v[11:12], v[9:10]
	v_add_u32_e32 v9, s18, v79
	ds_write_b64 v9, v[187:188]
	v_add_u32_e32 v9, s19, v79
	ds_write_b64 v9, v[189:190]
	;; [unrolled: 2-line block ×3, first 2 shown]
	v_add_u32_e32 v9, s21, v79
	v_fma_f64 v[3:4], -v[1:2], v[3:4], v[7:8]
	v_mov_b32_e32 v7, s4
	ds_read_b64 v[7:8], v7
	ds_write_b64 v9, v[63:64]
	v_add_u32_e32 v9, s17, v79
	ds_write_b64 v9, v[37:38]
	v_add_u32_e32 v9, s23, v79
	ds_write_b64 v9, v[27:28]
	s_waitcnt lgkmcnt(3)
	v_mul_f64 v[3:4], v[7:8], v[3:4]
	v_add_u32_e32 v7, s12, v79
	ds_write_b64 v7, v[17:18]
	v_add_u32_e32 v7, s11, v79
	ds_write_b64 v7, v[5:6]
	v_lshl_add_u32 v5, s8, 8, v79
	s_mov_b32 s8, s5
	ds_write_b64 v5, v[1:2]
	ds_write_b64 v80, v[3:4]
.LBB104_45:
	s_cmp_ge_i32 s8, s22
	s_cbranch_scc1 .LBB104_50
; %bb.46:
	v_mov_b32_e32 v1, 0x2000
	s_lshl_b32 s4, s8, 3
	v_lshl_or_b32 v3, v0, 3, v1
	s_branch .LBB104_48
.LBB104_47:                             ;   in Loop: Header=BB104_48 Depth=1
	s_lshl_b32 s10, s8, 3
	s_add_i32 s5, s10, s5
	v_mov_b32_e32 v5, s5
	ds_read_b64 v[5:6], v5
	s_add_i32 s8, s8, 1
	s_add_i32 s4, s4, 8
	s_cmp_ge_i32 s8, s22
	s_waitcnt lgkmcnt(0)
	v_mul_f64 v[1:2], v[5:6], v[1:2]
	ds_write_b64 v4, v[1:2]
	s_cbranch_scc1 .LBB104_50
.LBB104_48:                             ; =>This Loop Header: Depth=1
                                        ;     Child Loop BB104_49 Depth 2
	s_lshl_b32 s5, s8, 8
	v_add_u32_e32 v4, s5, v79
	ds_read_b64 v[1:2], v4
	s_cmp_eq_u32 s8, 0
	v_mov_b32_e32 v5, v3
	s_mov_b32 s10, s4
	s_mov_b32 s11, s8
	s_cbranch_scc1 .LBB104_47
.LBB104_49:                             ;   Parent Loop BB104_48 Depth=1
                                        ; =>  This Inner Loop Header: Depth=2
	v_mov_b32_e32 v8, s10
	ds_read_b64 v[6:7], v5
	ds_read_b64 v[8:9], v8
	s_add_i32 s11, s11, -1
	s_addk_i32 s10, 0x100
	s_cmp_lg_u32 s11, 0
	v_add_u32_e32 v5, 0x100, v5
	s_waitcnt lgkmcnt(0)
	v_fma_f64 v[1:2], -v[6:7], v[8:9], v[1:2]
	s_cbranch_scc1 .LBB104_49
	s_branch .LBB104_47
.LBB104_50:
	s_waitcnt lgkmcnt(0)
	; wave barrier
	s_and_saveexec_b64 s[4:5], s[0:1]
	s_cbranch_execz .LBB104_54
; %bb.51:
	s_andn2_b64 vcc, exec, s[2:3]
	s_cbranch_vccnz .LBB104_54
; %bb.52:
	v_mad_i64_i32 v[1:2], s[0:1], s9, v0, 0
	v_mov_b32_e32 v3, s7
	v_lshlrev_b64 v[1:2], 3, v[1:2]
	v_add_co_u32_e32 v1, vcc, s6, v1
	v_addc_co_u32_e32 v2, vcc, v3, v2, vcc
	v_mov_b32_e32 v3, 0x2000
	v_lshl_or_b32 v0, v0, 3, v3
.LBB104_53:                             ; =>This Inner Loop Header: Depth=1
	ds_read_b64 v[3:4], v0
	s_add_i32 s22, s22, -1
	v_add_u32_e32 v0, 0x100, v0
	s_cmp_lg_u32 s22, 0
	s_waitcnt lgkmcnt(0)
	global_store_dwordx2 v[1:2], v[3:4], off
	v_add_co_u32_e32 v1, vcc, 8, v1
	v_addc_co_u32_e32 v2, vcc, 0, v2, vcc
	s_cbranch_scc1 .LBB104_53
.LBB104_54:
	s_endpgm
	.section	.rodata,"a",@progbits
	.p2align	6, 0x0
	.amdhsa_kernel _ZL38rocblas_trsm_small_left_device_sharedBILi32ELi32ELb1EddPKdPdEv13rocblas_fill_18rocblas_operation_17rocblas_diagonal_iiT3_T4_lilT5_lili
		.amdhsa_group_segment_fixed_size 16384
		.amdhsa_private_segment_fixed_size 0
		.amdhsa_kernarg_size 360
		.amdhsa_user_sgpr_count 6
		.amdhsa_user_sgpr_private_segment_buffer 1
		.amdhsa_user_sgpr_dispatch_ptr 0
		.amdhsa_user_sgpr_queue_ptr 0
		.amdhsa_user_sgpr_kernarg_segment_ptr 1
		.amdhsa_user_sgpr_dispatch_id 0
		.amdhsa_user_sgpr_flat_scratch_init 0
		.amdhsa_user_sgpr_private_segment_size 0
		.amdhsa_uses_dynamic_stack 0
		.amdhsa_system_sgpr_private_segment_wavefront_offset 0
		.amdhsa_system_sgpr_workgroup_id_x 1
		.amdhsa_system_sgpr_workgroup_id_y 0
		.amdhsa_system_sgpr_workgroup_id_z 1
		.amdhsa_system_sgpr_workgroup_info 0
		.amdhsa_system_vgpr_workitem_id 0
		.amdhsa_next_free_vgpr 203
		.amdhsa_next_free_sgpr 98
		.amdhsa_reserve_vcc 1
		.amdhsa_reserve_flat_scratch 0
		.amdhsa_float_round_mode_32 0
		.amdhsa_float_round_mode_16_64 0
		.amdhsa_float_denorm_mode_32 3
		.amdhsa_float_denorm_mode_16_64 3
		.amdhsa_dx10_clamp 1
		.amdhsa_ieee_mode 1
		.amdhsa_fp16_overflow 0
		.amdhsa_exception_fp_ieee_invalid_op 0
		.amdhsa_exception_fp_denorm_src 0
		.amdhsa_exception_fp_ieee_div_zero 0
		.amdhsa_exception_fp_ieee_overflow 0
		.amdhsa_exception_fp_ieee_underflow 0
		.amdhsa_exception_fp_ieee_inexact 0
		.amdhsa_exception_int_div_zero 0
	.end_amdhsa_kernel
	.section	.text._ZL38rocblas_trsm_small_left_device_sharedBILi32ELi32ELb1EddPKdPdEv13rocblas_fill_18rocblas_operation_17rocblas_diagonal_iiT3_T4_lilT5_lili,"axG",@progbits,_ZL38rocblas_trsm_small_left_device_sharedBILi32ELi32ELb1EddPKdPdEv13rocblas_fill_18rocblas_operation_17rocblas_diagonal_iiT3_T4_lilT5_lili,comdat
.Lfunc_end104:
	.size	_ZL38rocblas_trsm_small_left_device_sharedBILi32ELi32ELb1EddPKdPdEv13rocblas_fill_18rocblas_operation_17rocblas_diagonal_iiT3_T4_lilT5_lili, .Lfunc_end104-_ZL38rocblas_trsm_small_left_device_sharedBILi32ELi32ELb1EddPKdPdEv13rocblas_fill_18rocblas_operation_17rocblas_diagonal_iiT3_T4_lilT5_lili
                                        ; -- End function
	.set _ZL38rocblas_trsm_small_left_device_sharedBILi32ELi32ELb1EddPKdPdEv13rocblas_fill_18rocblas_operation_17rocblas_diagonal_iiT3_T4_lilT5_lili.num_vgpr, 203
	.set _ZL38rocblas_trsm_small_left_device_sharedBILi32ELi32ELb1EddPKdPdEv13rocblas_fill_18rocblas_operation_17rocblas_diagonal_iiT3_T4_lilT5_lili.num_agpr, 0
	.set _ZL38rocblas_trsm_small_left_device_sharedBILi32ELi32ELb1EddPKdPdEv13rocblas_fill_18rocblas_operation_17rocblas_diagonal_iiT3_T4_lilT5_lili.numbered_sgpr, 48
	.set _ZL38rocblas_trsm_small_left_device_sharedBILi32ELi32ELb1EddPKdPdEv13rocblas_fill_18rocblas_operation_17rocblas_diagonal_iiT3_T4_lilT5_lili.num_named_barrier, 0
	.set _ZL38rocblas_trsm_small_left_device_sharedBILi32ELi32ELb1EddPKdPdEv13rocblas_fill_18rocblas_operation_17rocblas_diagonal_iiT3_T4_lilT5_lili.private_seg_size, 0
	.set _ZL38rocblas_trsm_small_left_device_sharedBILi32ELi32ELb1EddPKdPdEv13rocblas_fill_18rocblas_operation_17rocblas_diagonal_iiT3_T4_lilT5_lili.uses_vcc, 1
	.set _ZL38rocblas_trsm_small_left_device_sharedBILi32ELi32ELb1EddPKdPdEv13rocblas_fill_18rocblas_operation_17rocblas_diagonal_iiT3_T4_lilT5_lili.uses_flat_scratch, 0
	.set _ZL38rocblas_trsm_small_left_device_sharedBILi32ELi32ELb1EddPKdPdEv13rocblas_fill_18rocblas_operation_17rocblas_diagonal_iiT3_T4_lilT5_lili.has_dyn_sized_stack, 0
	.set _ZL38rocblas_trsm_small_left_device_sharedBILi32ELi32ELb1EddPKdPdEv13rocblas_fill_18rocblas_operation_17rocblas_diagonal_iiT3_T4_lilT5_lili.has_recursion, 0
	.set _ZL38rocblas_trsm_small_left_device_sharedBILi32ELi32ELb1EddPKdPdEv13rocblas_fill_18rocblas_operation_17rocblas_diagonal_iiT3_T4_lilT5_lili.has_indirect_call, 0
	.section	.AMDGPU.csdata,"",@progbits
; Kernel info:
; codeLenInByte = 33384
; TotalNumSgprs: 52
; NumVgprs: 203
; ScratchSize: 0
; MemoryBound: 0
; FloatMode: 240
; IeeeMode: 1
; LDSByteSize: 16384 bytes/workgroup (compile time only)
; SGPRBlocks: 12
; VGPRBlocks: 50
; NumSGPRsForWavesPerEU: 102
; NumVGPRsForWavesPerEU: 203
; Occupancy: 1
; WaveLimiterHint : 0
; COMPUTE_PGM_RSRC2:SCRATCH_EN: 0
; COMPUTE_PGM_RSRC2:USER_SGPR: 6
; COMPUTE_PGM_RSRC2:TRAP_HANDLER: 0
; COMPUTE_PGM_RSRC2:TGID_X_EN: 1
; COMPUTE_PGM_RSRC2:TGID_Y_EN: 0
; COMPUTE_PGM_RSRC2:TGID_Z_EN: 1
; COMPUTE_PGM_RSRC2:TIDIG_COMP_CNT: 0
	.section	.text._ZL30rocblas_trsm_small_left_deviceILi32ELi32ELb1EddPKdPdEv13rocblas_fill_18rocblas_operation_17rocblas_diagonal_iiT3_T4_lilT5_lili,"axG",@progbits,_ZL30rocblas_trsm_small_left_deviceILi32ELi32ELb1EddPKdPdEv13rocblas_fill_18rocblas_operation_17rocblas_diagonal_iiT3_T4_lilT5_lili,comdat
	.globl	_ZL30rocblas_trsm_small_left_deviceILi32ELi32ELb1EddPKdPdEv13rocblas_fill_18rocblas_operation_17rocblas_diagonal_iiT3_T4_lilT5_lili ; -- Begin function _ZL30rocblas_trsm_small_left_deviceILi32ELi32ELb1EddPKdPdEv13rocblas_fill_18rocblas_operation_17rocblas_diagonal_iiT3_T4_lilT5_lili
	.p2align	8
	.type	_ZL30rocblas_trsm_small_left_deviceILi32ELi32ELb1EddPKdPdEv13rocblas_fill_18rocblas_operation_17rocblas_diagonal_iiT3_T4_lilT5_lili,@function
_ZL30rocblas_trsm_small_left_deviceILi32ELi32ELb1EddPKdPdEv13rocblas_fill_18rocblas_operation_17rocblas_diagonal_iiT3_T4_lilT5_lili: ; @_ZL30rocblas_trsm_small_left_deviceILi32ELi32ELb1EddPKdPdEv13rocblas_fill_18rocblas_operation_17rocblas_diagonal_iiT3_T4_lilT5_lili
; %bb.0:
	s_load_dwordx4 s[8:11], s[4:5], 0x4
	s_load_dwordx4 s[0:3], s[4:5], 0x18
	s_load_dwordx2 s[20:21], s[4:5], 0x28
	s_load_dwordx4 s[12:15], s[4:5], 0x38
	s_load_dwordx2 s[16:17], s[4:5], 0x48
	s_waitcnt lgkmcnt(0)
	s_min_i32 s33, s10, 32
	v_cmp_gt_i32_e32 vcc, s33, v0
	s_and_saveexec_b64 s[18:19], vcc
	s_cbranch_execz .LBB105_6
; %bb.1:
	s_load_dword s22, s[4:5], 0x30
	s_mul_i32 s13, s13, s7
	s_mul_hi_u32 s23, s12, s7
	s_mul_i32 s12, s12, s7
	s_add_i32 s13, s23, s13
	s_waitcnt lgkmcnt(0)
	s_ashr_i32 s23, s22, 31
	s_lshl_b64 s[12:13], s[12:13], 3
	s_add_u32 s12, s2, s12
	s_addc_u32 s13, s3, s13
	s_lshl_b64 s[2:3], s[20:21], 3
	s_add_u32 s2, s12, s2
	s_addc_u32 s3, s13, s3
	v_lshlrev_b32_e32 v3, 3, v0
	v_mov_b32_e32 v2, s3
	v_add_co_u32_e32 v1, vcc, s2, v3
	s_lshl_b64 s[2:3], s[22:23], 3
	v_addc_co_u32_e32 v2, vcc, 0, v2, vcc
	v_mov_b32_e32 v4, s3
	v_mov_b32_e32 v5, v3
	s_mov_b32 s3, s33
.LBB105_2:                              ; =>This Inner Loop Header: Depth=1
	global_load_dwordx2 v[6:7], v[1:2], off
	v_add_co_u32_e32 v1, vcc, s2, v1
	s_add_i32 s3, s3, -1
	v_addc_co_u32_e32 v2, vcc, v2, v4, vcc
	s_cmp_eq_u32 s3, 0
	s_waitcnt vmcnt(0)
	ds_write_b64 v5, v[6:7]
	v_add_u32_e32 v5, 0x100, v5
	s_cbranch_scc0 .LBB105_2
; %bb.3:
	v_lshlrev_b32_e32 v4, 8, v0
	v_mov_b32_e32 v1, 0
	s_cmpk_lg_i32 s9, 0x84
	v_mov_b32_e32 v2, 0x3ff00000
	v_add_u32_e32 v3, v3, v4
	s_cbranch_scc0 .LBB105_5
; %bb.4:
	ds_read_b64 v[1:2], v3
	s_waitcnt lgkmcnt(0)
	v_div_scale_f64 v[4:5], s[2:3], v[1:2], v[1:2], 1.0
	v_div_scale_f64 v[10:11], vcc, 1.0, v[1:2], 1.0
	v_rcp_f64_e32 v[6:7], v[4:5]
	v_fma_f64 v[8:9], -v[4:5], v[6:7], 1.0
	v_fma_f64 v[6:7], v[6:7], v[8:9], v[6:7]
	v_fma_f64 v[8:9], -v[4:5], v[6:7], 1.0
	v_fma_f64 v[6:7], v[6:7], v[8:9], v[6:7]
	v_mul_f64 v[8:9], v[10:11], v[6:7]
	v_fma_f64 v[4:5], -v[4:5], v[8:9], v[10:11]
	v_div_fmas_f64 v[4:5], v[4:5], v[6:7], v[8:9]
	v_div_fixup_f64 v[1:2], v[4:5], v[1:2], 1.0
.LBB105_5:
	ds_write_b64 v3, v[1:2]
.LBB105_6:
	s_or_b64 exec, exec, s[18:19]
	s_load_dword s2, s[4:5], 0x68
	s_waitcnt lgkmcnt(0)
	; wave barrier
	s_add_i32 s3, s2, -1
	s_lshl_b32 s2, s6, 5
	s_sub_i32 s9, s11, s2
	s_cmp_ge_u32 s6, s3
	s_cselect_b32 s3, s9, 32
	v_cmp_gt_i32_e32 vcc, s3, v0
	s_and_saveexec_b64 s[12:13], vcc
	s_cbranch_execz .LBB105_44
; %bb.7:
	s_load_dwordx2 s[12:13], s[4:5], 0x58
	s_load_dword s6, s[4:5], 0x50
	v_add_u32_e32 v0, s2, v0
	s_waitcnt lgkmcnt(0)
	s_mul_i32 s3, s13, s7
	s_mul_hi_u32 s4, s12, s7
	s_mul_i32 s2, s12, s7
	s_add_i32 s3, s4, s3
	s_lshl_b64 s[2:3], s[2:3], 3
	s_add_u32 s4, s14, s2
	s_addc_u32 s5, s15, s3
	v_mad_i64_i32 v[0:1], s[2:3], s6, v0, 0
	s_lshl_b64 s[2:3], s[16:17], 3
	s_add_u32 s2, s4, s2
	v_lshlrev_b64 v[0:1], 3, v[0:1]
	s_addc_u32 s3, s5, s3
	v_mov_b32_e32 v2, s3
	v_add_co_u32_e32 v106, vcc, s2, v0
	v_addc_co_u32_e32 v107, vcc, v2, v1, vcc
	s_cmpk_eq_i32 s8, 0x6f
	s_mov_b64 s[2:3], -1
	s_cbranch_scc1 .LBB105_30
; %bb.8:
	s_add_i32 s11, s33, -1
	s_cmp_gt_i32 s10, 31
	s_mov_b32 s2, s11
	s_cbranch_scc0 .LBB105_10
; %bb.9:
	global_load_dwordx4 v[0:3], v[106:107], off offset:240
	global_load_dwordx4 v[83:86], v[106:107], off offset:224
	;; [unrolled: 1-line block ×10, first 2 shown]
	s_movk_i32 s2, 0x1f8
	v_add_u32_e64 v82, s2, 0
	v_mov_b32_e32 v76, 0
	ds_read2st64_b64 v[91:94], v82 offset0:14 offset1:15
	ds_read_b128 v[95:98], v76 offset:7920
	ds_read_b128 v[48:51], v76 offset:7408
	;; [unrolled: 1-line block ×4, first 2 shown]
	ds_read2st64_b64 v[99:102], v82 offset0:12 offset1:13
	ds_read_b128 v[44:47], v76 offset:6384
	ds_read_b128 v[16:19], v76 offset:6368
	ds_read_b128 v[52:55], v76 offset:5872
	ds_read_b128 v[36:39], v76 offset:5856
	ds_read_b128 v[20:23], v76 offset:5808
	ds_read_b128 v[64:67], v76 offset:5360
	ds_read_b128 v[32:35], v76 offset:5280
	ds_read_b128 v[72:75], v76 offset:4848
	ds_read2st64_b64 v[108:111], v82 offset0:10 offset1:11
	ds_read2st64_b64 v[112:115], v82 offset0:8 offset1:9
	v_mov_b32_e32 v77, 0x1de8
	v_mov_b32_e32 v78, 0x1be8
	;; [unrolled: 1-line block ×13, first 2 shown]
	s_mov_b32 s2, -1
	s_waitcnt vmcnt(9)
	v_mul_f64 v[2:3], s[0:1], v[2:3]
	s_waitcnt lgkmcnt(14)
	v_mul_f64 v[2:3], v[93:94], v[2:3]
	v_mul_f64 v[93:94], v[2:3], v[97:98]
	;; [unrolled: 1-line block ×3, first 2 shown]
	s_waitcnt lgkmcnt(13)
	v_mul_f64 v[50:51], v[2:3], v[50:51]
	s_waitcnt lgkmcnt(10)
	v_mul_f64 v[97:98], v[2:3], v[101:102]
	v_mul_f64 v[42:43], v[2:3], v[42:43]
	;; [unrolled: 1-line block ×3, first 2 shown]
	s_waitcnt lgkmcnt(9)
	v_mul_f64 v[46:47], v[2:3], v[46:47]
	s_waitcnt lgkmcnt(7)
	v_mul_f64 v[54:55], v[2:3], v[54:55]
	v_fma_f64 v[0:1], s[0:1], v[0:1], -v[93:94]
	s_waitcnt lgkmcnt(1)
	v_mul_f64 v[93:94], v[2:3], v[110:111]
	s_waitcnt vmcnt(8)
	v_fma_f64 v[101:102], s[0:1], v[85:86], -v[91:92]
	v_mul_f64 v[91:92], v[2:3], v[108:109]
	v_mul_f64 v[66:67], v[2:3], v[66:67]
	v_fma_f64 v[50:51], s[0:1], v[83:84], -v[50:51]
	s_waitcnt vmcnt(7)
	v_fma_f64 v[97:98], s[0:1], v[89:90], -v[97:98]
	v_fma_f64 v[42:43], s[0:1], v[87:88], -v[42:43]
	ds_read_b128 v[83:86], v76 offset:4336
	ds_read_b128 v[87:90], v76 offset:4320
	s_waitcnt lgkmcnt(2)
	v_mul_f64 v[108:109], v[2:3], v[114:115]
	v_mul_f64 v[74:75], v[2:3], v[74:75]
	s_waitcnt vmcnt(6)
	v_fma_f64 v[99:100], s[0:1], v[70:71], -v[99:100]
	v_fma_f64 v[46:47], s[0:1], v[68:69], -v[46:47]
	ds_read2st64_b64 v[68:71], v82 offset0:6 offset1:7
	v_mul_f64 v[110:111], v[2:3], v[112:113]
	s_waitcnt lgkmcnt(2)
	v_mul_f64 v[85:86], v[2:3], v[85:86]
	s_waitcnt vmcnt(5)
	v_fma_f64 v[103:104], s[0:1], v[62:63], -v[93:94]
	v_fma_f64 v[62:63], s[0:1], v[60:61], -v[54:55]
	s_waitcnt vmcnt(4)
	v_fma_f64 v[112:113], s[0:1], v[58:59], -v[91:92]
	v_fma_f64 v[66:67], s[0:1], v[56:57], -v[66:67]
	ds_read_b128 v[54:57], v76 offset:3824
	ds_read_b128 v[58:61], v76 offset:3808
	ds_read2st64_b64 v[91:94], v82 offset0:4 offset1:5
	v_mul_f64 v[0:1], v[95:96], v[0:1]
	s_waitcnt vmcnt(3)
	v_fma_f64 v[95:96], s[0:1], v[10:11], -v[108:109]
	v_fma_f64 v[74:75], s[0:1], v[8:9], -v[74:75]
	s_waitcnt lgkmcnt(3)
	v_mul_f64 v[8:9], v[2:3], v[70:71]
	s_waitcnt lgkmcnt(2)
	v_mul_f64 v[10:11], v[2:3], v[56:57]
	s_waitcnt vmcnt(2)
	v_fma_f64 v[56:57], s[0:1], v[6:7], -v[110:111]
	v_fma_f64 v[85:86], s[0:1], v[4:5], -v[85:86]
	ds_read2_b64 v[4:7], v77 offset1:1
	v_fma_f64 v[114:115], -v[0:1], v[40:41], v[42:43]
	v_fma_f64 v[110:111], -v[0:1], v[48:49], v[50:51]
	v_mov_b32_e32 v70, 0x17d8
	s_waitcnt vmcnt(1)
	v_fma_f64 v[108:109], s[0:1], v[14:15], -v[8:9]
	v_fma_f64 v[116:117], s[0:1], v[12:13], -v[10:11]
	ds_read2_b64 v[8:11], v78 offset1:1
	s_waitcnt lgkmcnt(1)
	v_fma_f64 v[6:7], -v[0:1], v[6:7], v[101:102]
	ds_read2_b64 v[12:15], v79 offset1:1
	ds_read2_b64 v[40:43], v80 offset1:1
	v_mov_b32_e32 v71, 0x15e8
	v_fma_f64 v[101:102], -v[0:1], v[44:45], v[46:47]
	s_waitcnt lgkmcnt(2)
	v_fma_f64 v[10:11], -v[0:1], v[10:11], v[97:98]
	ds_read2_b64 v[44:47], v81 offset1:1
	ds_read2_b64 v[48:51], v70 offset1:1
	s_waitcnt lgkmcnt(2)
	v_fma_f64 v[42:43], -v[0:1], v[42:43], v[99:100]
	v_mov_b32_e32 v82, 0x15d8
	v_mul_f64 v[6:7], v[4:5], v[6:7]
	v_fma_f64 v[52:53], -v[0:1], v[52:53], v[62:63]
	v_fma_f64 v[118:119], -v[0:1], v[64:65], v[66:67]
	;; [unrolled: 1-line block ×3, first 2 shown]
	ds_read2_b64 v[62:65], v71 offset1:1
	ds_read2_b64 v[70:73], v82 offset1:1
	s_waitcnt lgkmcnt(3)
	v_fma_f64 v[4:5], -v[0:1], v[46:47], v[103:104]
	v_fma_f64 v[99:100], -v[0:1], v[83:84], v[85:86]
	ds_read2_b64 v[77:80], v105 offset1:1
	ds_read2_b64 v[81:84], v120 offset1:1
	v_fma_f64 v[30:31], -v[6:7], v[30:31], v[110:111]
	s_waitcnt lgkmcnt(3)
	v_fma_f64 v[64:65], -v[0:1], v[64:65], v[112:113]
	v_fma_f64 v[66:67], -v[6:7], v[8:9], v[10:11]
	;; [unrolled: 1-line block ×3, first 2 shown]
	ds_read2_b64 v[40:43], v121 offset1:1
	ds_read2_b64 v[8:11], v122 offset1:1
	s_waitcnt lgkmcnt(2)
	v_fma_f64 v[83:84], -v[0:1], v[83:84], v[95:96]
	v_fma_f64 v[110:111], -v[6:7], v[44:45], v[4:5]
	global_load_dwordx4 v[44:47], v[106:107], off offset:80
	v_mul_f64 v[4:5], v[28:29], v[30:31]
	s_waitcnt lgkmcnt(0)
	v_fma_f64 v[10:11], -v[0:1], v[10:11], v[56:57]
	v_fma_f64 v[56:57], -v[6:7], v[62:63], v[64:65]
	ds_read_b128 v[28:31], v76 offset:6864
	ds_read_b128 v[62:65], v76 offset:6880
	v_mov_b32_e32 v85, 0xfe8
	v_fma_f64 v[112:113], -v[6:7], v[81:82], v[83:84]
	ds_read2_b64 v[81:84], v85 offset1:1
	v_fma_f64 v[18:19], -v[6:7], v[18:19], v[101:102]
	s_waitcnt lgkmcnt(1)
	v_fma_f64 v[85:86], -v[6:7], v[64:65], v[114:115]
	v_fma_f64 v[114:115], -v[6:7], v[8:9], v[10:11]
	;; [unrolled: 1-line block ×3, first 2 shown]
	s_waitcnt lgkmcnt(0)
	v_fma_f64 v[14:15], -v[0:1], v[83:84], v[108:109]
	v_mov_b32_e32 v105, 0x19d8
	ds_read_b128 v[95:98], v76 offset:5328
	v_mov_b32_e32 v120, 0x19c8
	v_mov_b32_e32 v64, 0xfd8
	v_fma_f64 v[62:63], -v[4:5], v[62:63], v[85:86]
	ds_read_b128 v[83:86], v76 offset:5344
	v_mul_f64 v[10:11], v[12:13], v[8:9]
	v_fma_f64 v[8:9], -v[6:7], v[38:39], v[52:53]
	v_fma_f64 v[101:102], -v[6:7], v[81:82], v[14:15]
	ds_read2_b64 v[12:15], v105 offset1:1
	s_waitcnt lgkmcnt(1)
	v_fma_f64 v[38:39], -v[6:7], v[85:86], v[118:119]
	v_fma_f64 v[52:53], -v[4:5], v[16:17], v[18:19]
	ds_read2_b64 v[16:19], v120 offset1:1
	v_fma_f64 v[81:82], -v[4:5], v[50:51], v[110:111]
	v_fma_f64 v[30:31], -v[10:11], v[30:31], v[62:63]
	s_waitcnt lgkmcnt(1)
	v_fma_f64 v[14:15], -v[4:5], v[14:15], v[103:104]
	v_fma_f64 v[108:109], -v[4:5], v[36:37], v[8:9]
	;; [unrolled: 1-line block ×4, first 2 shown]
	ds_read_b128 v[36:39], v76 offset:4832
	v_mov_b32_e32 v85, 0x13d8
	v_mov_b32_e32 v83, 0x11d8
	v_mul_f64 v[8:9], v[28:29], v[30:31]
	ds_read_b128 v[28:31], v76 offset:4816
	s_waitcnt lgkmcnt(1)
	v_fma_f64 v[38:39], -v[6:7], v[38:39], v[74:75]
	v_fma_f64 v[74:75], -v[10:11], v[12:13], v[14:15]
	ds_read_b128 v[12:15], v76 offset:6352
	ds_read2_b64 v[64:67], v64 offset1:1
	v_fma_f64 v[103:104], -v[10:11], v[48:49], v[81:82]
	ds_read2_b64 v[81:84], v83 offset1:1
	v_mov_b32_e32 v86, 0x13c8
	v_fma_f64 v[99:100], -v[4:5], v[87:88], v[62:63]
	v_fma_f64 v[89:90], -v[4:5], v[36:37], v[38:39]
	ds_read_b128 v[36:39], v76 offset:6336
	s_waitcnt lgkmcnt(3)
	v_fma_f64 v[14:15], -v[10:11], v[14:15], v[52:53]
	v_fma_f64 v[18:19], -v[8:9], v[18:19], v[74:75]
	ds_read2_b64 v[50:53], v85 offset1:1
	v_mov_b32_e32 v62, 0x11c8
	v_fma_f64 v[48:49], -v[4:5], v[72:73], v[56:57]
	ds_read2_b64 v[72:75], v86 offset1:1
	ds_read2_b64 v[85:88], v62 offset1:1
	s_waitcnt lgkmcnt(5)
	v_fma_f64 v[56:57], -v[4:5], v[66:67], v[101:102]
	v_fma_f64 v[12:13], -v[8:9], v[12:13], v[14:15]
	v_mul_f64 v[14:15], v[16:17], v[18:19]
	s_waitcnt lgkmcnt(2)
	v_fma_f64 v[16:17], -v[4:5], v[52:53], v[112:113]
	v_fma_f64 v[18:19], -v[4:5], v[83:84], v[114:115]
	v_mov_b32_e32 v121, 0x17c8
	v_fma_f64 v[52:53], -v[10:11], v[70:71], v[48:49]
	v_mov_b32_e32 v122, 0x17b8
	v_fma_f64 v[56:57], -v[10:11], v[64:65], v[56:57]
	v_fma_f64 v[30:31], -v[10:11], v[30:31], v[89:90]
	;; [unrolled: 1-line block ×5, first 2 shown]
	ds_read_b128 v[16:19], v76 offset:5824
	ds_read_b128 v[48:51], v76 offset:5840
	ds_read2_b64 v[62:65], v121 offset1:1
	v_fma_f64 v[81:82], -v[10:11], v[97:98], v[118:119]
	v_mov_b32_e32 v105, 0x13b8
	v_mov_b32_e32 v120, 0x13a8
	s_waitcnt lgkmcnt(1)
	v_fma_f64 v[50:51], -v[10:11], v[50:51], v[108:109]
	v_mul_f64 v[12:13], v[36:37], v[12:13]
	ds_read2_b64 v[36:39], v122 offset1:1
	s_waitcnt lgkmcnt(1)
	v_fma_f64 v[64:65], -v[8:9], v[64:65], v[103:104]
	v_fma_f64 v[103:104], -v[8:9], v[28:29], v[30:31]
	;; [unrolled: 1-line block ×3, first 2 shown]
	ds_read_b128 v[81:84], v76 offset:4304
	ds_read_b128 v[28:31], v76 offset:4288
	v_fma_f64 v[89:90], -v[8:9], v[48:49], v[50:51]
	ds_read2_b64 v[48:51], v123 offset1:1
	v_fma_f64 v[66:67], -v[8:9], v[74:75], v[66:67]
	v_fma_f64 v[97:98], -v[14:15], v[62:63], v[64:65]
	ds_read2_b64 v[62:65], v124 offset1:1
	v_mov_b32_e32 v110, 0x11b8
	s_waitcnt lgkmcnt(1)
	v_fma_f64 v[50:51], -v[8:9], v[50:51], v[52:53]
	v_fma_f64 v[52:53], -v[10:11], v[83:84], v[99:100]
	;; [unrolled: 1-line block ×3, first 2 shown]
	v_mov_b32_e32 v111, 0x11a8
	v_fma_f64 v[66:67], -v[14:15], v[72:73], v[66:67]
	v_fma_f64 v[38:39], -v[12:13], v[38:39], v[97:98]
	ds_read_b128 v[95:98], v76 offset:5296
	v_mov_b32_e32 v112, 0x1198
	v_fma_f64 v[74:75], -v[14:15], v[48:49], v[50:51]
	ds_read_b128 v[48:51], v76 offset:5312
	v_fma_f64 v[16:17], -v[12:13], v[16:17], v[18:19]
	v_fma_f64 v[99:100], -v[8:9], v[81:82], v[52:53]
	v_mov_b32_e32 v114, 0xfc8
	v_mul_f64 v[18:19], v[36:37], v[38:39]
	s_waitcnt lgkmcnt(0)
	v_fma_f64 v[81:82], -v[14:15], v[50:51], v[101:102]
	ds_read_b128 v[36:39], v76 offset:4784
	ds_read_b128 v[50:53], v76 offset:4800
	v_fma_f64 v[64:65], -v[12:13], v[64:65], v[74:75]
	v_mov_b32_e32 v113, 0x1188
	v_mul_f64 v[118:119], v[2:3], v[68:69]
	v_fma_f64 v[30:31], -v[14:15], v[30:31], v[99:100]
	s_waitcnt lgkmcnt(0)
	v_fma_f64 v[52:53], -v[14:15], v[52:53], v[103:104]
	v_fma_f64 v[16:17], -v[18:19], v[22:23], v[16:17]
	;; [unrolled: 1-line block ×5, first 2 shown]
	ds_read2_b64 v[62:65], v105 offset1:1
	ds_read2_b64 v[70:73], v120 offset1:1
	ds_read_b128 v[81:84], v76 offset:4752
	ds_read_b128 v[87:90], v76 offset:4768
	s_waitcnt vmcnt(1)
	v_fma_f64 v[26:27], s[0:1], v[26:27], -v[118:119]
	v_fma_f64 v[52:53], -v[12:13], v[50:51], v[52:53]
	v_mul_f64 v[16:17], v[20:21], v[16:17]
	s_waitcnt lgkmcnt(3)
	v_fma_f64 v[64:65], -v[12:13], v[64:65], v[66:67]
	v_fma_f64 v[66:67], -v[14:15], v[85:86], v[22:23]
	;; [unrolled: 1-line block ×3, first 2 shown]
	ds_read2_b64 v[20:23], v110 offset1:1
	ds_read2_b64 v[48:51], v111 offset1:1
	v_mov_b32_e32 v115, 0xfb8
	v_mov_b32_e32 v108, 0xfa8
	v_fma_f64 v[38:39], -v[18:19], v[38:39], v[52:53]
	v_fma_f64 v[74:75], -v[16:17], v[79:80], v[74:75]
	;; [unrolled: 1-line block ×3, first 2 shown]
	s_waitcnt lgkmcnt(1)
	v_fma_f64 v[66:67], -v[12:13], v[22:23], v[66:67]
	v_fma_f64 v[85:86], -v[16:17], v[95:96], v[85:86]
	ds_read2_b64 v[62:65], v112 offset1:1
	ds_read2_b64 v[97:100], v113 offset1:1
	v_fma_f64 v[95:96], -v[12:13], v[28:29], v[30:31]
	v_mov_b32_e32 v122, 0xf98
	v_fma_f64 v[38:39], -v[16:17], v[36:37], v[38:39]
	v_mul_f64 v[22:23], v[77:78], v[74:75]
	v_fma_f64 v[52:53], -v[16:17], v[72:73], v[101:102]
	ds_read_b128 v[77:80], v76 offset:4224
	ds_read_b128 v[28:31], v76 offset:4240
	ds_read2_b64 v[72:75], v114 offset1:1
	v_fma_f64 v[120:121], -v[18:19], v[20:21], v[66:67]
	v_mov_b32_e32 v123, 0xdd8
	v_mov_b32_e32 v124, 0xdc8
	v_fma_f64 v[85:86], -v[22:23], v[34:35], v[85:86]
	v_fma_f64 v[70:71], -v[22:23], v[70:71], v[52:53]
	s_waitcnt lgkmcnt(0)
	v_fma_f64 v[56:57], -v[8:9], v[74:75], v[56:57]
	v_fma_f64 v[38:39], -v[22:23], v[89:90], v[38:39]
	v_fma_f64 v[50:51], -v[16:17], v[50:51], v[120:121]
	ds_read_b128 v[34:37], v76 offset:4256
	ds_read_b128 v[66:69], v76 offset:4272
	ds_read2_b64 v[101:104], v115 offset1:1
	ds_read2_b64 v[108:111], v108 offset1:1
	;; [unrolled: 1-line block ×3, first 2 shown]
	v_mul_f64 v[20:21], v[32:33], v[85:86]
	v_fma_f64 v[32:33], -v[0:1], v[54:55], v[116:117]
	v_fma_f64 v[56:57], -v[14:15], v[72:73], v[56:57]
	ds_read2_b64 v[52:55], v125 offset1:1
	ds_read2_b64 v[116:119], v123 offset1:1
	s_waitcnt lgkmcnt(5)
	v_fma_f64 v[72:73], -v[18:19], v[68:69], v[95:96]
	v_fma_f64 v[48:49], -v[22:23], v[48:49], v[50:51]
	v_mul_f64 v[74:75], v[2:3], v[93:94]
	s_waitcnt lgkmcnt(1)
	v_fma_f64 v[54:55], -v[0:1], v[54:55], v[26:27]
	v_fma_f64 v[42:43], -v[20:21], v[42:43], v[70:71]
	;; [unrolled: 1-line block ×5, first 2 shown]
	ds_read_b128 v[68:71], v76 offset:3312
	v_fma_f64 v[60:61], -v[16:17], v[66:67], v[72:73]
	s_waitcnt vmcnt(0)
	v_fma_f64 v[46:47], s[0:1], v[46:47], -v[74:75]
	v_fma_f64 v[52:53], -v[6:7], v[52:53], v[54:55]
	v_mul_f64 v[26:27], v[40:41], v[42:43]
	v_fma_f64 v[32:33], -v[4:5], v[58:59], v[32:33]
	v_fma_f64 v[54:55], -v[18:19], v[101:102], v[56:57]
	;; [unrolled: 1-line block ×3, first 2 shown]
	ds_read_b128 v[38:41], v76 offset:3792
	v_fma_f64 v[36:37], -v[22:23], v[36:37], v[60:61]
	s_waitcnt lgkmcnt(2)
	v_fma_f64 v[52:53], -v[4:5], v[118:119], v[52:53]
	v_fma_f64 v[58:59], -v[26:27], v[83:84], v[50:51]
	ds_read_b128 v[48:51], v76 offset:3776
	s_waitcnt lgkmcnt(2)
	v_mul_f64 v[42:43], v[2:3], v[70:71]
	s_waitcnt lgkmcnt(1)
	v_fma_f64 v[64:65], -v[10:11], v[40:41], v[32:33]
	v_fma_f64 v[54:55], -v[16:17], v[110:111], v[54:55]
	;; [unrolled: 1-line block ×4, first 2 shown]
	v_fma_f64 v[60:61], s[0:1], v[24:25], -v[42:43]
	v_mul_f64 v[24:25], v[81:82], v[58:59]
	ds_read2_b64 v[32:35], v124 offset1:1
	ds_read_b128 v[40:43], v76 offset:3296
	v_fma_f64 v[62:63], -v[8:9], v[38:39], v[64:65]
	v_fma_f64 v[64:65], -v[22:23], v[108:109], v[54:55]
	;; [unrolled: 1-line block ×3, first 2 shown]
	v_mov_b32_e32 v81, 0xf88
	v_fma_f64 v[58:59], -v[0:1], v[68:69], v[60:61]
	v_fma_f64 v[60:61], -v[10:11], v[116:117], v[52:53]
	ds_read2_b64 v[36:39], v126 offset1:1
	ds_read_b128 v[52:55], v76 offset:3280
	s_waitcnt lgkmcnt(4)
	v_fma_f64 v[50:51], -v[14:15], v[50:51], v[62:63]
	v_fma_f64 v[64:65], -v[20:21], v[114:115], v[64:65]
	;; [unrolled: 1-line block ×4, first 2 shown]
	s_waitcnt lgkmcnt(2)
	v_fma_f64 v[42:43], -v[6:7], v[42:43], v[58:59]
	v_fma_f64 v[34:35], -v[8:9], v[34:35], v[60:61]
	global_load_dwordx4 v[60:63], v[106:107], off offset:64
	v_fma_f64 v[70:71], -v[12:13], v[48:49], v[50:51]
	v_fma_f64 v[72:73], -v[26:27], v[112:113], v[64:65]
	ds_read_b128 v[48:51], v76 offset:3744
	v_mov_b32_e32 v64, 0xf78
	v_mul_f64 v[30:31], v[97:98], v[56:57]
	v_fma_f64 v[66:67], -v[4:5], v[40:41], v[42:43]
	v_fma_f64 v[68:69], -v[14:15], v[32:33], v[34:35]
	ds_read_b128 v[32:35], v76 offset:3760
	ds_read2_b64 v[40:43], v81 offset1:1
	ds_read_b128 v[56:59], v76 offset:3696
	s_waitcnt lgkmcnt(2)
	v_fma_f64 v[34:35], -v[18:19], v[34:35], v[70:71]
	v_fma_f64 v[54:55], -v[10:11], v[54:55], v[66:67]
	;; [unrolled: 1-line block ×3, first 2 shown]
	v_mov_b32_e32 v68, 0xbe8
	ds_read2_b64 v[64:67], v64 offset1:1
	ds_read2_b64 v[68:71], v68 offset1:1
	s_waitcnt lgkmcnt(3)
	v_fma_f64 v[42:43], -v[24:25], v[42:43], v[72:73]
	v_fma_f64 v[28:29], -v[30:31], v[79:80], v[28:29]
	;; [unrolled: 1-line block ×4, first 2 shown]
	ds_read_b128 v[32:35], v76 offset:3264
	s_waitcnt lgkmcnt(1)
	v_fma_f64 v[46:47], -v[0:1], v[70:71], v[46:47]
	v_fma_f64 v[79:80], -v[18:19], v[36:37], v[38:39]
	v_mov_b32_e32 v36, 0xda8
	ds_read2_b64 v[36:39], v36 offset1:1
	ds_read_b128 v[52:55], v76 offset:3248
	v_mov_b32_e32 v70, 0xd98
	v_fma_f64 v[50:51], -v[22:23], v[50:51], v[74:75]
	s_waitcnt lgkmcnt(2)
	v_fma_f64 v[34:35], -v[14:15], v[34:35], v[72:73]
	ds_read2_b64 v[70:73], v70 offset1:1
	v_fma_f64 v[46:47], -v[6:7], v[68:69], v[46:47]
	v_mov_b32_e32 v68, 0xbd8
	s_waitcnt lgkmcnt(2)
	v_fma_f64 v[38:39], -v[16:17], v[38:39], v[79:80]
	ds_read2_b64 v[79:82], v68 offset1:1
	v_mov_b32_e32 v74, 0xbc8
	ds_read2_b64 v[83:86], v74 offset1:1
	v_fma_f64 v[68:69], -v[12:13], v[32:33], v[34:35]
	ds_read_b128 v[32:35], v76 offset:2800
	s_waitcnt lgkmcnt(2)
	v_fma_f64 v[74:75], -v[4:5], v[81:82], v[46:47]
	v_fma_f64 v[50:51], -v[20:21], v[48:49], v[50:51]
	ds_read_b128 v[46:49], v76 offset:3712
	ds_read_b128 v[87:90], v76 offset:3728
	v_fma_f64 v[36:37], -v[22:23], v[36:37], v[38:39]
	s_waitcnt lgkmcnt(2)
	v_mul_f64 v[34:35], v[2:3], v[34:35]
	v_mul_f64 v[28:29], v[77:78], v[28:29]
	v_fma_f64 v[54:55], -v[18:19], v[54:55], v[68:69]
	v_fma_f64 v[68:69], -v[30:31], v[40:41], v[42:43]
	v_fma_f64 v[38:39], -v[10:11], v[79:80], v[74:75]
	s_waitcnt lgkmcnt(0)
	v_fma_f64 v[50:51], -v[26:27], v[89:90], v[50:51]
	global_load_dwordx4 v[40:43], v[106:107], off offset:48
	v_fma_f64 v[72:73], -v[20:21], v[72:73], v[36:37]
	v_fma_f64 v[44:45], s[0:1], v[44:45], -v[34:35]
	ds_read_b128 v[34:37], v76 offset:3232
	v_fma_f64 v[54:55], -v[16:17], v[52:53], v[54:55]
	v_fma_f64 v[81:82], -v[28:29], v[66:67], v[68:69]
	v_fma_f64 v[74:75], -v[8:9], v[85:86], v[38:39]
	v_fma_f64 v[85:86], -v[24:25], v[87:88], v[50:51]
	ds_read_b128 v[50:53], v76 offset:3216
	ds_read_b128 v[66:69], v76 offset:2768
	v_fma_f64 v[32:33], -v[0:1], v[32:33], v[44:45]
	s_waitcnt lgkmcnt(2)
	v_fma_f64 v[44:45], -v[22:23], v[36:37], v[54:55]
	ds_read_b128 v[36:39], v76 offset:2784
	v_fma_f64 v[74:75], -v[14:15], v[83:84], v[74:75]
	v_fma_f64 v[54:55], -v[26:27], v[70:71], v[72:73]
	v_mov_b32_e32 v70, 0xbb8
	ds_read2_b64 v[70:73], v70 offset1:1
	s_waitcnt lgkmcnt(1)
	v_fma_f64 v[38:39], -v[6:7], v[38:39], v[32:33]
	v_mov_b32_e32 v33, 0xba8
	v_fma_f64 v[44:45], -v[20:21], v[34:35], v[44:45]
	ds_read2_b64 v[77:80], v33 offset1:1
	s_waitcnt lgkmcnt(1)
	v_fma_f64 v[72:73], -v[12:13], v[72:73], v[74:75]
	v_mov_b32_e32 v32, 0xd88
	ds_read2_b64 v[32:35], v32 offset1:1
	v_fma_f64 v[48:49], -v[30:31], v[48:49], v[85:86]
	v_fma_f64 v[74:75], -v[4:5], v[36:37], v[38:39]
	v_mov_b32_e32 v36, 0xd78
	ds_read2_b64 v[36:39], v36 offset1:1
	s_waitcnt lgkmcnt(1)
	v_fma_f64 v[54:55], -v[24:25], v[34:35], v[54:55]
	v_fma_f64 v[52:53], -v[26:27], v[52:53], v[44:45]
	v_mul_f64 v[34:35], v[64:65], v[81:82]
	v_fma_f64 v[70:71], -v[18:19], v[70:71], v[72:73]
	v_mov_b32_e32 v44, 0xd68
	v_fma_f64 v[64:65], -v[10:11], v[68:69], v[74:75]
	v_fma_f64 v[68:69], -v[28:29], v[46:47], v[48:49]
	ds_read2_b64 v[44:47], v44 offset1:1
	v_fma_f64 v[32:33], -v[30:31], v[32:33], v[54:55]
	v_fma_f64 v[72:73], -v[24:25], v[50:51], v[52:53]
	ds_read_b128 v[48:51], v76 offset:3200
	v_fma_f64 v[70:71], -v[16:17], v[79:80], v[70:71]
	v_mul_f64 v[79:80], v[2:3], v[91:92]
	v_fma_f64 v[74:75], -v[8:9], v[66:67], v[64:65]
	ds_read_b128 v[52:55], v76 offset:2752
	ds_read_b128 v[64:67], v76 offset:2736
	v_fma_f64 v[58:59], -v[34:35], v[58:59], v[68:69]
	s_waitcnt lgkmcnt(2)
	v_fma_f64 v[85:86], -v[30:31], v[50:51], v[72:73]
	v_fma_f64 v[38:39], -v[28:29], v[38:39], v[32:33]
	;; [unrolled: 1-line block ×3, first 2 shown]
	s_waitcnt lgkmcnt(1)
	v_fma_f64 v[50:51], -v[14:15], v[54:55], v[74:75]
	v_mov_b32_e32 v54, 0xb98
	ds_read2_b64 v[68:71], v54 offset1:1
	s_waitcnt vmcnt(1)
	v_fma_f64 v[54:55], s[0:1], v[62:63], -v[79:80]
	v_mov_b32_e32 v63, 0x9e8
	v_mov_b32_e32 v62, 0xb88
	ds_read2_b64 v[72:75], v63 offset1:1
	ds_read2_b64 v[77:80], v62 offset1:1
	s_waitcnt lgkmcnt(2)
	v_fma_f64 v[70:71], -v[20:21], v[70:71], v[32:33]
	v_fma_f64 v[62:63], -v[12:13], v[52:53], v[50:51]
	ds_read_b128 v[50:53], v76 offset:3168
	v_mul_f64 v[32:33], v[56:57], v[58:59]
	s_waitcnt lgkmcnt(2)
	v_fma_f64 v[54:55], -v[0:1], v[74:75], v[54:55]
	v_fma_f64 v[74:75], -v[34:35], v[36:37], v[38:39]
	ds_read_b128 v[36:39], v76 offset:2288
	v_fma_f64 v[48:49], -v[28:29], v[48:49], v[85:86]
	v_fma_f64 v[85:86], -v[26:27], v[68:69], v[70:71]
	v_fma_f64 v[58:59], -v[18:19], v[66:67], v[62:63]
	ds_read_b128 v[81:84], v76 offset:3184
	s_waitcnt lgkmcnt(1)
	v_mul_f64 v[38:39], v[2:3], v[38:39]
	v_fma_f64 v[70:71], -v[6:7], v[72:73], v[54:55]
	v_mov_b32_e32 v54, 0x9d8
	ds_read2_b64 v[54:57], v54 offset1:1
	ds_read_b128 v[66:69], v76 offset:2272
	s_waitcnt lgkmcnt(2)
	v_fma_f64 v[83:84], -v[34:35], v[83:84], v[48:49]
	v_fma_f64 v[79:80], -v[24:25], v[79:80], v[85:86]
	;; [unrolled: 1-line block ×3, first 2 shown]
	v_mov_b32_e32 v58, 0x9c8
	ds_read2_b64 v[62:65], v58 offset1:1
	s_waitcnt lgkmcnt(2)
	v_fma_f64 v[91:92], -v[4:5], v[56:57], v[70:71]
	ds_read2_b64 v[56:59], v76 offset0:191 offset1:255
	ds_read_b128 v[70:73], v76 offset:2720
	v_fma_f64 v[38:39], s[0:1], v[60:61], -v[38:39]
	ds_read_b128 v[85:88], v76 offset:2704
	s_waitcnt lgkmcnt(2)
	v_mul_f64 v[93:94], v[2:3], v[58:59]
	s_waitcnt lgkmcnt(1)
	v_fma_f64 v[72:73], -v[22:23], v[72:73], v[89:90]
	v_fma_f64 v[89:90], -v[32:33], v[46:47], v[74:75]
	v_fma_f64 v[54:55], -v[10:11], v[54:55], v[91:92]
	v_mov_b32_e32 v46, 0xb78
	v_fma_f64 v[74:75], -v[0:1], v[36:37], v[38:39]
	ds_read2_b64 v[36:39], v76 offset0:253 offset1:254
	ds_read2_b64 v[46:49], v46 offset1:1
	s_waitcnt vmcnt(0)
	v_fma_f64 v[42:43], s[0:1], v[42:43], -v[93:94]
	v_fma_f64 v[72:73], -v[20:21], v[70:71], v[72:73]
	v_fma_f64 v[91:92], -v[30:31], v[77:78], v[79:80]
	;; [unrolled: 1-line block ×3, first 2 shown]
	global_load_dwordx4 v[58:61], v[106:107], off offset:32
	v_fma_f64 v[74:75], -v[6:7], v[68:69], v[74:75]
	ds_read2_b64 v[68:71], v76 offset0:251 offset1:252
	v_mul_f64 v[56:57], v[2:3], v[56:57]
	s_waitcnt lgkmcnt(2)
	v_fma_f64 v[38:39], -v[0:1], v[38:39], v[42:43]
	v_fma_f64 v[42:43], -v[26:27], v[87:88], v[72:73]
	v_mov_b32_e32 v72, 0x9a8
	v_fma_f64 v[54:55], -v[14:15], v[62:63], v[54:55]
	v_mov_b32_e32 v62, 0x9b8
	v_fma_f64 v[87:88], -v[4:5], v[66:67], v[74:75]
	ds_read2_b64 v[62:65], v62 offset1:1
	ds_read2_b64 v[72:75], v72 offset1:1
	v_fma_f64 v[93:94], -v[6:7], v[36:37], v[38:39]
	ds_read_b128 v[36:39], v76 offset:2256
	s_waitcnt lgkmcnt(4)
	v_fma_f64 v[48:49], -v[28:29], v[48:49], v[91:92]
	s_waitcnt lgkmcnt(2)
	v_fma_f64 v[54:55], -v[12:13], v[64:65], v[54:55]
	v_fma_f64 v[85:86], -v[24:25], v[85:86], v[42:43]
	v_mov_b32_e32 v64, 0xb68
	s_waitcnt lgkmcnt(0)
	v_fma_f64 v[87:88], -v[10:11], v[38:39], v[87:88]
	ds_read2_b64 v[64:67], v64 offset1:1
	ds_read_b128 v[77:80], v76 offset:2240
	v_fma_f64 v[70:71], -v[4:5], v[70:71], v[93:94]
	v_mul_f64 v[38:39], v[44:45], v[89:90]
	ds_read_b128 v[42:45], v76 offset:2688
	v_fma_f64 v[54:55], -v[18:19], v[62:63], v[54:55]
	v_fma_f64 v[62:63], -v[32:33], v[81:82], v[83:84]
	;; [unrolled: 1-line block ×4, first 2 shown]
	s_waitcnt lgkmcnt(0)
	v_fma_f64 v[83:84], -v[30:31], v[44:45], v[85:86]
	v_fma_f64 v[81:82], -v[10:11], v[68:69], v[70:71]
	ds_read2_b64 v[44:47], v76 offset0:249 offset1:250
	ds_read_b128 v[68:71], v76 offset:2672
	v_fma_f64 v[74:75], -v[16:17], v[74:75], v[54:55]
	v_fma_f64 v[62:63], -v[38:39], v[52:53], v[62:63]
	ds_read2_b64 v[52:55], v76 offset0:247 offset1:248
	v_fma_f64 v[36:37], -v[14:15], v[79:80], v[36:37]
	v_fma_f64 v[66:67], -v[32:33], v[66:67], v[48:49]
	s_waitcnt lgkmcnt(2)
	v_fma_f64 v[79:80], -v[8:9], v[46:47], v[81:82]
	v_mov_b32_e32 v81, 0x988
	v_fma_f64 v[93:94], -v[28:29], v[42:43], v[83:84]
	v_fma_f64 v[89:90], -v[22:23], v[72:73], v[74:75]
	v_mov_b32_e32 v72, 0x998
	ds_read_b128 v[46:49], v76 offset:2224
	v_fma_f64 v[36:37], -v[12:13], v[77:78], v[36:37]
	v_fma_f64 v[64:65], -v[38:39], v[64:65], v[66:67]
	;; [unrolled: 1-line block ×3, first 2 shown]
	ds_read_b128 v[42:45], v76 offset:1776
	ds_read2_b64 v[72:75], v72 offset1:1
	ds_read2_b64 v[77:80], v81 offset1:1
	ds_read_b128 v[81:84], v76 offset:2208
	ds_read_b128 v[85:88], v76 offset:1760
	s_waitcnt lgkmcnt(4)
	v_mul_f64 v[44:45], v[2:3], v[44:45]
	s_waitcnt lgkmcnt(3)
	v_fma_f64 v[74:75], -v[20:21], v[74:75], v[89:90]
	v_fma_f64 v[70:71], -v[34:35], v[70:71], v[93:94]
	v_fma_f64 v[48:49], -v[18:19], v[48:49], v[36:37]
	v_mov_b32_e32 v36, 0xb58
	v_fma_f64 v[54:55], -v[12:13], v[54:55], v[91:92]
	ds_read2_b64 v[89:92], v36 offset1:1
	v_fma_f64 v[40:41], s[0:1], v[40:41], -v[44:45]
	v_fma_f64 v[72:73], -v[26:27], v[72:73], v[74:75]
	v_fma_f64 v[52:53], -v[18:19], v[52:53], v[54:55]
	;; [unrolled: 1-line block ×4, first 2 shown]
	ds_read2_b64 v[40:43], v76 offset0:243 offset1:244
	v_mul_f64 v[36:37], v[50:51], v[62:63]
	v_fma_f64 v[62:63], -v[16:17], v[46:47], v[48:49]
	ds_read_b128 v[44:47], v76 offset:2656
	ds_read2_b64 v[48:51], v76 offset0:245 offset1:246
	s_waitcnt lgkmcnt(6)
	v_fma_f64 v[68:69], -v[24:25], v[79:80], v[72:73]
	s_waitcnt lgkmcnt(1)
	v_fma_f64 v[79:80], -v[38:39], v[46:47], v[54:55]
	v_fma_f64 v[54:55], -v[6:7], v[87:88], v[66:67]
	;; [unrolled: 1-line block ×3, first 2 shown]
	s_waitcnt lgkmcnt(0)
	v_fma_f64 v[70:71], -v[16:17], v[50:51], v[52:53]
	ds_read_b128 v[50:53], v76 offset:2192
	v_fma_f64 v[72:73], -v[30:31], v[77:78], v[68:69]
	v_mov_b32_e32 v46, 0x978
	v_fma_f64 v[74:75], -v[36:37], v[91:92], v[64:65]
	v_fma_f64 v[77:78], -v[4:5], v[85:86], v[54:55]
	;; [unrolled: 1-line block ×4, first 2 shown]
	ds_read2_b64 v[46:49], v46 offset1:1
	ds_read_b128 v[62:65], v76 offset:2176
	s_waitcnt vmcnt(0)
	v_fma_f64 v[56:57], s[0:1], v[60:61], -v[56:57]
	s_waitcnt lgkmcnt(1)
	v_fma_f64 v[48:49], -v[28:29], v[48:49], v[72:73]
	ds_read_b128 v[70:73], v76 offset:1728
	v_fma_f64 v[81:82], -v[26:27], v[52:53], v[66:67]
	ds_read_b128 v[52:55], v76 offset:1744
	v_fma_f64 v[83:84], -v[20:21], v[42:43], v[68:69]
	v_mul_f64 v[42:43], v[89:90], v[74:75]
	v_fma_f64 v[74:75], -v[36:37], v[44:45], v[79:80]
	v_mov_b32_e32 v66, 0x968
	v_fma_f64 v[85:86], -v[34:35], v[46:47], v[48:49]
	ds_read2_b64 v[44:47], v76 offset0:241 offset1:242
	v_fma_f64 v[50:51], -v[24:25], v[50:51], v[81:82]
	ds_read2_b64 v[66:69], v66 offset1:1
	v_fma_f64 v[40:41], -v[26:27], v[40:41], v[83:84]
	s_waitcnt lgkmcnt(0)
	v_fma_f64 v[68:69], -v[32:33], v[68:69], v[85:86]
	v_fma_f64 v[64:65], -v[30:31], v[64:65], v[50:51]
	ds_read2_b64 v[48:51], v76 offset0:239 offset1:240
	v_fma_f64 v[54:55], -v[10:11], v[54:55], v[77:78]
	v_fma_f64 v[40:41], -v[24:25], v[46:47], v[40:41]
	;; [unrolled: 1-line block ×5, first 2 shown]
	ds_read2_b64 v[52:55], v76 offset0:189 offset1:190
	ds_read_b128 v[77:80], v76 offset:2640
	global_load_dwordx4 v[81:84], v[106:107], off offset:16
	v_fma_f64 v[40:41], -v[30:31], v[44:45], v[40:41]
	s_waitcnt lgkmcnt(0)
	v_fma_f64 v[79:80], -v[42:43], v[79:80], v[74:75]
	v_fma_f64 v[60:61], -v[14:15], v[72:73], v[87:88]
	;; [unrolled: 1-line block ×3, first 2 shown]
	ds_read_b128 v[44:47], v76 offset:2144
	ds_read_b128 v[54:57], v76 offset:2160
	v_fma_f64 v[40:41], -v[28:29], v[50:51], v[40:41]
	s_waitcnt lgkmcnt(0)
	v_fma_f64 v[56:57], -v[34:35], v[56:57], v[64:65]
	v_fma_f64 v[74:75], -v[12:13], v[70:71], v[60:61]
	;; [unrolled: 1-line block ×3, first 2 shown]
	ds_read_b128 v[60:63], v76 offset:1712
	ds_read2_b64 v[64:67], v76 offset0:187 offset1:188
	ds_read_b128 v[68:71], v76 offset:1696
	v_fma_f64 v[40:41], -v[34:35], v[48:49], v[40:41]
	v_fma_f64 v[56:57], -v[32:33], v[54:55], v[56:57]
	s_waitcnt lgkmcnt(2)
	v_fma_f64 v[50:51], -v[18:19], v[62:63], v[74:75]
	s_waitcnt lgkmcnt(1)
	v_fma_f64 v[62:63], -v[4:5], v[66:67], v[52:53]
	v_mov_b32_e32 v52, 0x958
	v_mov_b32_e32 v66, 0x948
	ds_read2_b64 v[85:88], v52 offset1:1
	ds_read2_b64 v[72:75], v76 offset0:185 offset1:186
	v_fma_f64 v[46:47], -v[38:39], v[46:47], v[56:57]
	v_fma_f64 v[48:49], -v[16:17], v[60:61], v[50:51]
	;; [unrolled: 1-line block ×3, first 2 shown]
	ds_read2_b64 v[60:63], v66 offset1:1
	ds_read2_b64 v[52:55], v76 offset0:237 offset1:238
	ds_read2_b64 v[64:67], v76 offset0:235 offset1:236
	s_waitcnt lgkmcnt(4)
	v_fma_f64 v[87:88], -v[36:37], v[87:88], v[89:90]
	v_fma_f64 v[95:96], -v[36:37], v[44:45], v[46:47]
	s_waitcnt lgkmcnt(1)
	v_fma_f64 v[89:90], -v[32:33], v[54:55], v[40:41]
	v_fma_f64 v[70:71], -v[22:23], v[70:71], v[48:49]
	ds_read_b128 v[44:47], v76 offset:1264
	v_fma_f64 v[74:75], -v[8:9], v[74:75], v[91:92]
	global_load_dwordx4 v[48:51], v[106:107], off
	v_mul_f64 v[40:41], v[77:78], v[79:80]
	ds_read_b128 v[54:57], v76 offset:2128
	s_waitcnt lgkmcnt(1)
	v_mul_f64 v[46:47], v[2:3], v[46:47]
	v_fma_f64 v[52:53], -v[38:39], v[52:53], v[89:90]
	v_fma_f64 v[89:90], -v[20:21], v[68:69], v[70:71]
	;; [unrolled: 1-line block ×4, first 2 shown]
	ds_read_b128 v[68:71], v76 offset:1680
	ds_read2_b64 v[72:75], v76 offset0:183 offset1:184
	ds_read_b128 v[77:80], v76 offset:1248
	s_waitcnt lgkmcnt(3)
	v_fma_f64 v[56:57], -v[42:43], v[56:57], v[95:96]
	ds_read_b128 v[85:88], v76 offset:1664
	v_fma_f64 v[58:59], s[0:1], v[58:59], -v[46:47]
	v_fma_f64 v[52:53], -v[36:37], v[66:67], v[52:53]
	s_waitcnt lgkmcnt(3)
	v_fma_f64 v[70:71], -v[26:27], v[70:71], v[89:90]
	v_fma_f64 v[62:63], -v[40:41], v[62:63], v[93:94]
	s_waitcnt lgkmcnt(2)
	v_fma_f64 v[74:75], -v[12:13], v[74:75], v[97:98]
	ds_read2_b64 v[89:92], v76 offset0:181 offset1:182
	v_fma_f64 v[54:55], -v[40:41], v[54:55], v[56:57]
	v_fma_f64 v[44:45], -v[0:1], v[44:45], v[58:59]
	;; [unrolled: 1-line block ×4, first 2 shown]
	v_mul_f64 v[46:47], v[60:61], v[62:63]
	v_fma_f64 v[68:69], -v[18:19], v[72:73], v[74:75]
	ds_read_b128 v[56:59], v76 offset:2112
	ds_read2_b64 v[60:63], v76 offset0:233 offset1:234
	s_waitcnt lgkmcnt(4)
	v_fma_f64 v[44:45], -v[6:7], v[79:80], v[44:45]
	s_waitcnt lgkmcnt(3)
	v_fma_f64 v[66:67], -v[30:31], v[87:88], v[66:67]
	s_waitcnt lgkmcnt(1)
	v_fma_f64 v[58:59], -v[46:47], v[58:59], v[54:55]
	v_fma_f64 v[68:69], -v[16:17], v[91:92], v[68:69]
	ds_read2_b64 v[52:55], v76 offset0:231 offset1:232
	s_waitcnt lgkmcnt(1)
	v_fma_f64 v[74:75], -v[40:41], v[62:63], v[64:65]
	v_fma_f64 v[44:45], -v[4:5], v[77:78], v[44:45]
	;; [unrolled: 1-line block ×4, first 2 shown]
	ds_read2_b64 v[62:65], v76 offset0:63 offset1:127
	ds_read_b128 v[66:69], v76 offset:1648
	ds_read_b128 v[70:73], v76 offset:1632
	ds_read2_b64 v[77:80], v76 offset0:179 offset1:180
	ds_read_b128 v[85:88], v76 offset:1232
	v_fma_f64 v[60:61], -v[46:47], v[60:61], v[74:75]
	s_waitcnt lgkmcnt(4)
	v_mul_f64 v[64:65], v[2:3], v[64:65]
	v_mul_f64 v[108:109], v[2:3], v[62:63]
	s_waitcnt lgkmcnt(3)
	v_fma_f64 v[68:69], -v[34:35], v[68:69], v[91:92]
	s_waitcnt lgkmcnt(0)
	v_fma_f64 v[87:88], -v[10:11], v[87:88], v[44:45]
	v_fma_f64 v[79:80], -v[20:21], v[79:80], v[93:94]
	ds_read_b128 v[93:96], v76 offset:1216
	v_mul_f64 v[44:45], v[56:57], v[58:59]
	ds_read2_b64 v[89:92], v76 offset0:177 offset1:178
	s_waitcnt vmcnt(1)
	v_fma_f64 v[83:84], s[0:1], v[83:84], -v[64:65]
	v_fma_f64 v[74:75], -v[32:33], v[66:67], v[68:69]
	ds_read2_b64 v[64:67], v76 offset0:125 offset1:126
	v_fma_f64 v[97:98], -v[26:27], v[77:78], v[79:80]
	v_fma_f64 v[85:86], -v[8:9], v[85:86], v[87:88]
	ds_read_b128 v[56:59], v76 offset:1584
	ds_read2_b64 v[77:80], v76 offset0:123 offset1:124
	v_fma_f64 v[54:55], -v[44:45], v[54:55], v[60:61]
	s_waitcnt lgkmcnt(2)
	v_fma_f64 v[83:84], -v[0:1], v[66:67], v[83:84]
	ds_read_b128 v[66:69], v76 offset:752
	v_fma_f64 v[60:61], -v[38:39], v[72:73], v[74:75]
	ds_read_b128 v[72:75], v76 offset:736
	v_fma_f64 v[87:88], -v[24:25], v[91:92], v[97:98]
	v_fma_f64 v[91:92], -v[14:15], v[95:96], v[85:86]
	s_waitcnt lgkmcnt(1)
	v_mul_f64 v[99:100], v[2:3], v[68:69]
	v_mul_f64 v[52:53], v[52:53], v[54:55]
	v_fma_f64 v[64:65], -v[6:7], v[64:65], v[83:84]
	ds_read_b128 v[83:86], v76 offset:1600
	ds_read_b128 v[95:98], v76 offset:1616
	v_fma_f64 v[103:104], -v[36:37], v[70:71], v[60:61]
	ds_read2_b64 v[68:71], v76 offset0:175 offset1:176
	v_fma_f64 v[101:102], -v[30:31], v[89:90], v[87:88]
	v_fma_f64 v[91:92], -v[12:13], v[93:94], v[91:92]
	v_fma_f64 v[93:94], s[0:1], v[81:82], -v[99:100]
	ds_read_b128 v[87:90], v76 offset:1200
	ds_read2_b64 v[60:63], v76 offset0:173 offset1:174
	v_fma_f64 v[99:100], -v[4:5], v[79:80], v[64:65]
	ds_read_b128 v[79:82], v76 offset:1184
	s_waitcnt lgkmcnt(3)
	v_fma_f64 v[70:71], -v[28:29], v[70:71], v[101:102]
	s_waitcnt lgkmcnt(2)
	v_fma_f64 v[112:113], -v[18:19], v[89:90], v[91:92]
	v_fma_f64 v[93:94], -v[0:1], v[66:67], v[93:94]
	ds_read_b128 v[64:67], v76 offset:240
	s_waitcnt vmcnt(0)
	v_fma_f64 v[50:51], s[0:1], v[50:51], -v[108:109]
	v_fma_f64 v[77:78], -v[10:11], v[77:78], v[99:100]
	ds_read2_b64 v[89:92], v76 offset0:61 offset1:62
	ds_read_b128 v[99:102], v76 offset:224
	ds_read2_b64 v[108:111], v76 offset0:121 offset1:122
	s_waitcnt lgkmcnt(3)
	v_mul_f64 v[66:67], v[2:3], v[66:67]
	v_fma_f64 v[87:88], -v[16:17], v[87:88], v[112:113]
	v_fma_f64 v[74:75], -v[6:7], v[74:75], v[93:94]
	;; [unrolled: 1-line block ×3, first 2 shown]
	s_waitcnt lgkmcnt(2)
	v_fma_f64 v[91:92], -v[0:1], v[91:92], v[50:51]
	ds_read2_b64 v[112:115], v76 offset0:119 offset1:120
	v_fma_f64 v[103:104], -v[34:35], v[68:69], v[70:71]
	v_fma_f64 v[97:98], s[0:1], v[48:49], -v[66:67]
	ds_read_b128 v[48:51], v76 offset:720
	v_fma_f64 v[74:75], -v[4:5], v[72:73], v[74:75]
	v_fma_f64 v[81:82], -v[22:23], v[81:82], v[87:88]
	;; [unrolled: 1-line block ×3, first 2 shown]
	ds_read2_b64 v[66:69], v76 offset0:59 offset1:60
	ds_read_b128 v[70:73], v76 offset:704
	v_fma_f64 v[91:92], -v[0:1], v[64:65], v[97:98]
	s_waitcnt lgkmcnt(2)
	v_fma_f64 v[50:51], -v[10:11], v[50:51], v[74:75]
	v_fma_f64 v[74:75], -v[20:21], v[79:80], v[81:82]
	s_waitcnt lgkmcnt(1)
	v_fma_f64 v[68:69], -v[4:5], v[68:69], v[87:88]
	v_fma_f64 v[81:82], -v[32:33], v[62:63], v[103:104]
	ds_read_b128 v[62:65], v76 offset:1168
	v_fma_f64 v[103:104], -v[40:41], v[95:96], v[93:94]
	v_fma_f64 v[87:88], -v[6:7], v[101:102], v[91:92]
	;; [unrolled: 1-line block ×3, first 2 shown]
	ds_read_b128 v[48:51], v76 offset:1152
	v_fma_f64 v[77:78], -v[8:9], v[110:111], v[77:78]
	s_waitcnt lgkmcnt(1)
	v_fma_f64 v[74:75], -v[26:27], v[64:65], v[74:75]
	v_fma_f64 v[68:69], -v[10:11], v[66:67], v[68:69]
	ds_read_b128 v[64:67], v76 offset:208
	v_fma_f64 v[85:86], -v[46:47], v[85:86], v[103:104]
	v_fma_f64 v[89:90], -v[14:15], v[108:109], v[77:78]
	;; [unrolled: 1-line block ×4, first 2 shown]
	ds_read2_b64 v[77:80], v76 offset0:57 offset1:58
	v_fma_f64 v[54:55], -v[44:45], v[83:84], v[85:86]
	v_fma_f64 v[89:90], -v[12:13], v[114:115], v[89:90]
	s_waitcnt lgkmcnt(0)
	v_fma_f64 v[93:94], -v[8:9], v[79:80], v[68:69]
	v_fma_f64 v[95:96], -v[10:11], v[66:67], v[81:82]
	;; [unrolled: 1-line block ×6, first 2 shown]
	ds_read2_b64 v[60:63], v76 offset0:117 offset1:118
	ds_read_b128 v[72:75], v76 offset:192
	ds_read_b128 v[79:82], v76 offset:688
	v_fma_f64 v[77:78], -v[14:15], v[77:78], v[93:94]
	v_fma_f64 v[110:111], -v[8:9], v[64:65], v[95:96]
	ds_read2_b64 v[66:69], v76 offset0:115 offset1:116
	s_waitcnt lgkmcnt(3)
	v_fma_f64 v[97:98], -v[16:17], v[62:63], v[87:88]
	v_fma_f64 v[70:71], -v[12:13], v[70:71], v[89:90]
	;; [unrolled: 1-line block ×3, first 2 shown]
	ds_read_b128 v[62:65], v76 offset:672
	ds_read2_b64 v[87:90], v76 offset0:55 offset1:56
	ds_read2_b64 v[91:94], v76 offset0:53 offset1:54
	s_waitcnt lgkmcnt(5)
	v_fma_f64 v[74:75], -v[14:15], v[74:75], v[110:111]
	v_fma_f64 v[60:61], -v[22:23], v[60:61], v[97:98]
	s_waitcnt lgkmcnt(4)
	v_fma_f64 v[70:71], -v[18:19], v[81:82], v[70:71]
	s_waitcnt lgkmcnt(1)
	v_fma_f64 v[77:78], -v[12:13], v[89:90], v[77:78]
	v_fma_f64 v[81:82], -v[28:29], v[48:49], v[50:51]
	ds_read2_b64 v[95:98], v76 offset0:171 offset1:172
	ds_read2_b64 v[99:102], v76 offset0:169 offset1:170
	ds_read_b128 v[48:51], v76 offset:1136
	v_fma_f64 v[60:61], -v[20:21], v[68:69], v[60:61]
	v_fma_f64 v[79:80], -v[16:17], v[79:80], v[70:71]
	;; [unrolled: 1-line block ×3, first 2 shown]
	s_waitcnt lgkmcnt(0)
	v_fma_f64 v[50:51], -v[34:35], v[50:51], v[81:82]
	v_fma_f64 v[87:88], -v[12:13], v[72:73], v[74:75]
	ds_read_b128 v[72:75], v76 offset:176
	v_fma_f64 v[97:98], -v[36:37], v[97:98], v[108:109]
	ds_read_b128 v[68:71], v76 offset:1120
	v_fma_f64 v[60:61], -v[26:27], v[66:67], v[60:61]
	v_fma_f64 v[81:82], -v[22:23], v[64:65], v[79:80]
	ds_read2_b64 v[64:67], v76 offset0:113 offset1:114
	v_fma_f64 v[89:90], -v[16:17], v[93:94], v[77:78]
	v_fma_f64 v[93:94], -v[32:33], v[48:49], v[50:51]
	ds_read2_b64 v[48:51], v76 offset0:111 offset1:112
	ds_read_b128 v[77:80], v76 offset:160
	s_waitcnt lgkmcnt(4)
	v_fma_f64 v[74:75], -v[18:19], v[74:75], v[87:88]
	s_waitcnt lgkmcnt(2)
	v_fma_f64 v[66:67], -v[24:25], v[66:67], v[60:61]
	v_fma_f64 v[81:82], -v[20:21], v[62:63], v[81:82]
	ds_read_b128 v[60:63], v76 offset:656
	v_fma_f64 v[91:92], -v[22:23], v[91:92], v[89:90]
	ds_read_b128 v[87:90], v76 offset:640
	v_fma_f64 v[108:109], -v[16:17], v[72:73], v[74:75]
	v_fma_f64 v[66:67], -v[30:31], v[64:65], v[66:67]
	s_waitcnt lgkmcnt(1)
	v_fma_f64 v[81:82], -v[26:27], v[62:63], v[81:82]
	ds_read2_b64 v[72:75], v76 offset0:51 offset1:52
	ds_read2_b64 v[62:65], v76 offset0:49 offset1:50
	s_waitcnt lgkmcnt(1)
	v_fma_f64 v[74:75], -v[20:21], v[74:75], v[91:92]
	v_fma_f64 v[50:51], -v[28:29], v[50:51], v[66:67]
	;; [unrolled: 1-line block ×8, first 2 shown]
	ds_read2_b64 v[48:51], v76 offset0:109 offset1:110
	v_fma_f64 v[70:71], -v[38:39], v[70:71], v[93:94]
	v_fma_f64 v[77:78], -v[20:21], v[77:78], v[79:80]
	;; [unrolled: 1-line block ×3, first 2 shown]
	s_waitcnt lgkmcnt(1)
	v_fma_f64 v[64:65], -v[24:25], v[64:65], v[72:73]
	v_fma_f64 v[93:94], -v[28:29], v[87:88], v[60:61]
	s_waitcnt lgkmcnt(0)
	v_fma_f64 v[50:51], -v[32:33], v[50:51], v[89:90]
	v_fma_f64 v[101:102], -v[36:37], v[68:69], v[70:71]
	ds_read_b128 v[66:69], v76 offset:144
	ds_read_b128 v[70:73], v76 offset:128
	v_fma_f64 v[103:104], -v[30:31], v[62:63], v[64:65]
	v_fma_f64 v[74:75], -v[46:47], v[99:100], v[74:75]
	s_waitcnt lgkmcnt(1)
	v_fma_f64 v[68:69], -v[26:27], v[68:69], v[77:78]
	ds_read_b128 v[77:80], v76 offset:1088
	ds_read_b128 v[81:84], v76 offset:1104
	ds_read2_b64 v[85:88], v76 offset0:107 offset1:108
	ds_read_b128 v[89:92], v76 offset:624
	ds_read_b128 v[60:63], v76 offset:608
	v_fma_f64 v[48:49], -v[38:39], v[48:49], v[50:51]
	s_waitcnt lgkmcnt(3)
	v_fma_f64 v[83:84], -v[42:43], v[83:84], v[101:102]
	v_fma_f64 v[68:69], -v[24:25], v[66:67], v[68:69]
	ds_read2_b64 v[64:67], v76 offset0:47 offset1:48
	s_waitcnt lgkmcnt(2)
	v_fma_f64 v[108:109], -v[34:35], v[91:92], v[93:94]
	ds_read2_b64 v[91:94], v76 offset0:167 offset1:168
	ds_read2_b64 v[95:98], v76 offset0:45 offset1:46
	v_fma_f64 v[48:49], -v[36:37], v[87:88], v[48:49]
	s_waitcnt lgkmcnt(2)
	v_fma_f64 v[99:100], -v[28:29], v[66:67], v[103:104]
	s_waitcnt lgkmcnt(1)
	v_fma_f64 v[58:59], -v[44:45], v[93:94], v[74:75]
	v_fma_f64 v[72:73], -v[30:31], v[72:73], v[68:69]
	;; [unrolled: 1-line block ×4, first 2 shown]
	ds_read2_b64 v[66:69], v76 offset0:165 offset1:166
	v_fma_f64 v[48:49], -v[42:43], v[85:86], v[48:49]
	v_fma_f64 v[74:75], -v[34:35], v[64:65], v[99:100]
	;; [unrolled: 1-line block ×6, first 2 shown]
	ds_read_b128 v[62:65], v76 offset:112
	v_mul_f64 v[50:51], v[56:57], v[54:55]
	ds_read_b128 v[54:57], v76 offset:96
	s_waitcnt lgkmcnt(3)
	v_fma_f64 v[74:75], -v[32:33], v[97:98], v[74:75]
	s_waitcnt lgkmcnt(1)
	v_fma_f64 v[64:65], -v[34:35], v[64:65], v[70:71]
	v_fma_f64 v[77:78], -v[44:45], v[77:78], v[93:94]
	;; [unrolled: 1-line block ×3, first 2 shown]
	ds_read2_b64 v[58:61], v76 offset0:105 offset1:106
	ds_read2_b64 v[70:73], v76 offset0:103 offset1:104
	ds_read_b128 v[79:82], v76 offset:592
	ds_read_b128 v[83:86], v76 offset:576
	v_fma_f64 v[74:75], -v[38:39], v[95:96], v[74:75]
	s_waitcnt lgkmcnt(3)
	v_fma_f64 v[48:49], -v[40:41], v[60:61], v[48:49]
	v_fma_f64 v[95:96], -v[32:33], v[62:63], v[64:65]
	ds_read2_b64 v[62:65], v76 offset0:43 offset1:44
	s_waitcnt lgkmcnt(2)
	v_fma_f64 v[60:61], -v[42:43], v[81:82], v[87:88]
	ds_read2_b64 v[87:90], v76 offset0:41 offset1:42
	v_fma_f64 v[68:69], -v[50:51], v[68:69], v[91:92]
	s_waitcnt lgkmcnt(1)
	v_fma_f64 v[64:65], -v[36:37], v[64:65], v[74:75]
	v_fma_f64 v[48:49], -v[46:47], v[58:59], v[48:49]
	;; [unrolled: 1-line block ×3, first 2 shown]
	ds_read_b128 v[56:59], v76 offset:1072
	v_fma_f64 v[79:80], -v[40:41], v[79:80], v[60:61]
	v_fma_f64 v[64:65], -v[42:43], v[62:63], v[64:65]
	;; [unrolled: 1-line block ×4, first 2 shown]
	s_waitcnt lgkmcnt(0)
	v_fma_f64 v[74:75], -v[52:53], v[58:59], v[77:78]
	ds_read_b128 v[58:61], v76 offset:80
	v_mul_f64 v[62:63], v[66:67], v[68:69]
	v_fma_f64 v[72:73], -v[46:47], v[85:86], v[79:80]
	v_fma_f64 v[77:78], -v[40:41], v[89:90], v[64:65]
	ds_read_b128 v[64:67], v76 offset:64
	s_waitcnt lgkmcnt(1)
	v_fma_f64 v[60:61], -v[42:43], v[60:61], v[54:55]
	v_fma_f64 v[79:80], -v[50:51], v[56:57], v[74:75]
	ds_read_b128 v[54:57], v76 offset:1056
	v_fma_f64 v[48:49], -v[52:53], v[70:71], v[48:49]
	v_fma_f64 v[81:82], -v[44:45], v[83:84], v[72:73]
	ds_read2_b64 v[68:71], v76 offset0:101 offset1:102
	ds_read_b128 v[72:75], v76 offset:560
	v_fma_f64 v[85:86], -v[46:47], v[87:88], v[77:78]
	v_fma_f64 v[60:61], -v[40:41], v[58:59], v[60:61]
	s_waitcnt lgkmcnt(2)
	v_fma_f64 v[87:88], -v[62:63], v[56:57], v[79:80]
	ds_read2_b64 v[56:59], v76 offset0:39 offset1:40
	ds_read2_b64 v[77:80], v76 offset0:99 offset1:100
	s_waitcnt lgkmcnt(3)
	v_fma_f64 v[48:49], -v[50:51], v[70:71], v[48:49]
	s_waitcnt lgkmcnt(2)
	v_fma_f64 v[70:71], -v[52:53], v[74:75], v[81:82]
	ds_read2_b64 v[81:84], v76 offset0:37 offset1:38
	s_waitcnt lgkmcnt(2)
	v_fma_f64 v[58:59], -v[44:45], v[58:59], v[85:86]
	v_fma_f64 v[74:75], -v[46:47], v[66:67], v[60:61]
	v_mul_f64 v[60:61], v[54:55], v[87:88]
	v_fma_f64 v[48:49], -v[62:63], v[68:69], v[48:49]
	v_fma_f64 v[70:71], -v[50:51], v[72:73], v[70:71]
	ds_read_b128 v[66:69], v76 offset:544
	v_fma_f64 v[58:59], -v[52:53], v[56:57], v[58:59]
	v_fma_f64 v[64:65], -v[44:45], v[64:65], v[74:75]
	ds_read_b128 v[54:57], v76 offset:48
	s_waitcnt lgkmcnt(3)
	v_fma_f64 v[48:49], -v[60:61], v[79:80], v[48:49]
	s_waitcnt lgkmcnt(1)
	v_fma_f64 v[68:69], -v[62:63], v[68:69], v[70:71]
	v_fma_f64 v[58:59], -v[50:51], v[83:84], v[58:59]
	s_waitcnt lgkmcnt(0)
	v_fma_f64 v[70:71], -v[52:53], v[56:57], v[64:65]
	v_mul_f64 v[56:57], v[77:78], v[48:49]
	v_fma_f64 v[48:49], -v[60:61], v[66:67], v[68:69]
	ds_read_b128 v[64:67], v76 offset:528
	v_fma_f64 v[58:59], -v[62:63], v[81:82], v[58:59]
	v_fma_f64 v[54:55], -v[50:51], v[54:55], v[70:71]
	ds_read2_b64 v[68:71], v76 offset0:35 offset1:36
	ds_read_b128 v[72:75], v76 offset:32
	ds_read2_b64 v[77:80], v76 offset0:33 offset1:34
	global_store_dwordx4 v[106:107], v[0:3], off offset:240
	s_waitcnt lgkmcnt(3)
	v_fma_f64 v[48:49], -v[56:57], v[66:67], v[48:49]
	s_waitcnt lgkmcnt(2)
	v_fma_f64 v[58:59], -v[60:61], v[70:71], v[58:59]
	;; [unrolled: 2-line block ×3, first 2 shown]
	v_mul_f64 v[54:55], v[64:65], v[48:49]
	v_fma_f64 v[48:49], -v[56:57], v[68:69], v[58:59]
	v_fma_f64 v[58:59], -v[60:61], v[72:73], v[66:67]
	ds_read_b128 v[64:67], v76 offset:16
	ds_read_b128 v[68:71], v76
	global_store_dwordx4 v[106:107], v[4:7], off offset:224
	global_store_dwordx4 v[106:107], v[8:11], off offset:208
	global_store_dwordx4 v[106:107], v[12:15], off offset:192
	global_store_dwordx4 v[106:107], v[16:19], off offset:176
	global_store_dwordx4 v[106:107], v[20:23], off offset:160
	global_store_dwordx4 v[106:107], v[24:27], off offset:144
	global_store_dwordx4 v[106:107], v[28:31], off offset:128
	s_waitcnt lgkmcnt(2)
	v_fma_f64 v[48:49], -v[54:55], v[79:80], v[48:49]
	s_waitcnt lgkmcnt(1)
	v_fma_f64 v[58:59], -v[56:57], v[66:67], v[58:59]
	v_mul_f64 v[66:67], v[77:78], v[48:49]
	v_fma_f64 v[48:49], -v[54:55], v[64:65], v[58:59]
	s_waitcnt lgkmcnt(0)
	v_fma_f64 v[0:1], -v[66:67], v[70:71], v[48:49]
	v_mul_f64 v[64:65], v[68:69], v[0:1]
	global_store_dwordx4 v[106:107], v[32:35], off offset:112
	global_store_dwordx4 v[106:107], v[36:39], off offset:96
	;; [unrolled: 1-line block ×7, first 2 shown]
	global_store_dwordx4 v[106:107], v[64:67], off
.LBB105_10:
	s_cmp_gt_i32 s2, -1
	s_cbranch_scc0 .LBB105_29
; %bb.11:
	s_cmp_lt_u32 s2, 27
	s_cbranch_scc1 .LBB105_16
; %bb.12:
	s_mov_b32 s5, 0
	s_mov_b32 s3, s5
	s_lshl_b64 s[6:7], s[2:3], 3
	v_mov_b32_e32 v0, s7
	v_add_co_u32_e32 v32, vcc, s6, v106
	v_addc_co_u32_e32 v33, vcc, v107, v0, vcc
	global_load_dwordx4 v[0:3], v[32:33], off offset:-8
	global_load_dwordx4 v[4:7], v[32:33], off offset:-24
	;; [unrolled: 1-line block ×14, first 2 shown]
	s_cmp_le_i32 s11, s2
	s_waitcnt vmcnt(13)
	v_mul_f64 v[8:9], s[0:1], v[2:3]
	v_mul_f64 v[56:57], s[0:1], v[0:1]
	s_waitcnt vmcnt(12)
	v_mul_f64 v[10:11], s[0:1], v[6:7]
	v_mul_f64 v[14:15], s[0:1], v[4:5]
	;; [unrolled: 3-line block ×14, first 2 shown]
	s_cbranch_scc1 .LBB105_15
; %bb.13:
	s_lshl_b32 s3, s2, 8
	s_lshl_b32 s4, s33, 3
	s_add_i32 s3, s3, s4
	s_addk_i32 s3, 0xe4f8
	s_mov_b32 s4, s11
.LBB105_14:                             ; =>This Inner Loop Header: Depth=1
	s_lshl_b64 s[6:7], s[4:5], 3
	v_mov_b32_e32 v59, s7
	v_add_co_u32_e32 v58, vcc, s6, v106
	v_addc_co_u32_e32 v59, vcc, v107, v59, vcc
	global_load_dwordx2 v[116:117], v[58:59], off
	v_mov_b32_e32 v70, s3
	v_add_u32_e32 v78, 0x1800, v70
	v_add_u32_e32 v94, 0x1000, v70
	;; [unrolled: 1-line block ×3, first 2 shown]
	ds_read2_b64 v[58:61], v70 offset0:192 offset1:224
	ds_read2_b64 v[62:65], v70 offset0:128 offset1:160
	ds_read2_b64 v[66:69], v70 offset0:64 offset1:96
	ds_read2_b64 v[70:73], v70 offset1:32
	ds_read2_b64 v[74:77], v78 offset0:64 offset1:96
	ds_read2_b64 v[78:81], v78 offset1:32
	ds_read2_b64 v[82:85], v94 offset0:192 offset1:224
	ds_read2_b64 v[86:89], v94 offset0:128 offset1:160
	ds_read2_b64 v[90:93], v94 offset0:64 offset1:96
	ds_read2_b64 v[94:97], v94 offset1:32
	ds_read2_b64 v[98:101], v112 offset0:192 offset1:224
	ds_read2_b64 v[102:105], v112 offset0:128 offset1:160
	;; [unrolled: 1-line block ×3, first 2 shown]
	ds_read2_b64 v[112:115], v112 offset1:32
	s_add_i32 s4, s4, -1
	s_add_i32 s3, s3, -8
	s_cmp_gt_i32 s4, s2
	s_waitcnt vmcnt(0) lgkmcnt(9)
	v_fma_f64 v[8:9], -v[116:117], v[76:77], v[8:9]
	v_fma_f64 v[56:57], -v[116:117], v[74:75], v[56:57]
	s_waitcnt lgkmcnt(8)
	v_fma_f64 v[10:11], -v[116:117], v[80:81], v[10:11]
	v_fma_f64 v[14:15], -v[116:117], v[78:79], v[14:15]
	s_waitcnt lgkmcnt(7)
	;; [unrolled: 3-line block ×9, first 2 shown]
	v_fma_f64 v[46:47], -v[116:117], v[114:115], v[46:47]
	v_fma_f64 v[2:3], -v[116:117], v[112:113], v[2:3]
	;; [unrolled: 1-line block ×10, first 2 shown]
	s_cbranch_scc1 .LBB105_14
.LBB105_15:
	s_mul_i32 s3, s2, 0x108
	v_mov_b32_e32 v58, s3
	ds_read_b64 v[62:63], v58
	s_add_i32 s4, s2, -1
	s_lshl_b32 s3, s4, 8
	s_lshl_b32 s5, s4, 3
	s_add_i32 s3, s3, s5
	s_waitcnt lgkmcnt(0)
	v_mul_f64 v[8:9], v[62:63], v[8:9]
	v_mov_b32_e32 v58, s3
	ds_read2_b64 v[58:61], v58 offset1:1
	s_mov_b32 s5, 0
	s_lshl_b64 s[16:17], s[4:5], 3
	s_add_i32 s4, s2, -2
	s_lshl_b32 s3, s2, 3
	s_lshl_b32 s6, s4, 8
	s_waitcnt lgkmcnt(0)
	v_fma_f64 v[56:57], -v[8:9], v[60:61], v[56:57]
	s_add_i32 s7, s6, s3
	v_mov_b32_e32 v60, s7
	ds_read_b64 v[64:65], v60
	s_lshl_b32 s7, s4, 3
	s_add_i32 s6, s6, s7
	v_mov_b32_e32 v60, s6
	s_lshl_b64 s[8:9], s[4:5], 3
	s_waitcnt lgkmcnt(0)
	v_fma_f64 v[64:65], -v[8:9], v[64:65], v[10:11]
	v_mul_f64 v[10:11], v[58:59], v[56:57]
	s_add_i32 s4, s2, -3
	ds_read2_b64 v[60:63], v60 offset1:1
	s_lshl_b32 s6, s4, 8
	s_add_i32 s7, s6, s3
	s_add_i32 s7, s7, -8
	v_mov_b32_e32 v56, s7
	ds_read2_b64 v[56:59], v56 offset1:1
	s_waitcnt lgkmcnt(1)
	v_fma_f64 v[66:67], -v[10:11], v[62:63], v[64:65]
	s_lshl_b32 s7, s4, 3
	s_add_i32 s6, s6, s7
	s_lshl_b64 s[12:13], s[4:5], 3
	s_waitcnt lgkmcnt(0)
	v_fma_f64 v[58:59], -v[8:9], v[58:59], v[14:15]
	s_add_i32 s4, s2, -4
	v_mov_b32_e32 v62, s6
	s_lshl_b32 s6, s4, 8
	s_add_i32 s7, s6, s3
	v_mul_f64 v[14:15], v[60:61], v[66:67]
	v_mov_b32_e32 v60, s7
	ds_read_b64 v[60:61], v60
	s_add_i32 s7, s7, -16
	v_fma_f64 v[70:71], -v[10:11], v[56:57], v[58:59]
	v_mov_b32_e32 v56, s7
	s_lshl_b32 s7, s4, 3
	s_lshl_b64 s[24:25], s[4:5], 3
	s_add_i32 s4, s2, -5
	s_lshl_b32 s14, s4, 8
	ds_read2_b64 v[56:59], v56 offset1:1
	s_waitcnt lgkmcnt(1)
	v_fma_f64 v[54:55], -v[8:9], v[60:61], v[54:55]
	s_add_i32 s15, s14, s3
	s_add_i32 s18, s15, -8
	v_mov_b32_e32 v60, s18
	ds_read2_b64 v[66:69], v60 offset1:1
	ds_read2_b64 v[62:65], v62 offset1:1
	s_add_i32 s6, s6, s7
	s_lshl_b64 s[30:31], s[4:5], 3
	s_waitcnt lgkmcnt(2)
	v_fma_f64 v[54:55], -v[10:11], v[58:59], v[54:55]
	s_waitcnt lgkmcnt(1)
	v_fma_f64 v[68:69], -v[8:9], v[68:69], v[16:17]
	v_mov_b32_e32 v16, s6
	ds_read2_b64 v[58:61], v16 offset1:1
	s_waitcnt lgkmcnt(1)
	v_fma_f64 v[64:65], -v[14:15], v[64:65], v[70:71]
	s_lshl_b32 s6, s4, 3
	s_add_i32 s4, s2, -6
	s_lshl_b32 s7, s4, 8
	s_add_i32 s18, s7, s3
	v_fma_f64 v[70:71], -v[14:15], v[56:57], v[54:55]
	v_mov_b32_e32 v54, s18
	s_add_i32 s6, s14, s6
	v_mul_f64 v[16:17], v[62:63], v[64:65]
	ds_read_b64 v[62:63], v54
	v_fma_f64 v[72:73], -v[10:11], v[66:67], v[68:69]
	v_mov_b32_e32 v66, s6
	ds_read2_b64 v[66:69], v66 offset1:1
	s_add_i32 s19, s18, -16
	s_waitcnt lgkmcnt(1)
	v_fma_f64 v[18:19], -v[8:9], v[62:63], v[18:19]
	v_mov_b32_e32 v54, s19
	ds_read2_b64 v[54:57], v54 offset1:1
	s_sub_i32 s15, s15, 24
	v_mov_b32_e32 v62, s15
	ds_read2_b64 v[62:65], v62 offset1:1
	s_lshl_b32 s6, s4, 3
	s_lshl_b64 s[20:21], s[4:5], 3
	s_waitcnt lgkmcnt(1)
	v_fma_f64 v[56:57], -v[10:11], v[56:57], v[18:19]
	s_add_i32 s4, s2, -7
	v_fma_f64 v[60:61], -v[16:17], v[60:61], v[70:71]
	s_lshl_b32 s14, s4, 8
	s_add_i32 s15, s14, s3
	s_add_i32 s19, s15, -8
	s_waitcnt lgkmcnt(0)
	v_fma_f64 v[64:65], -v[14:15], v[64:65], v[72:73]
	s_sub_i32 s18, s18, 32
	v_fma_f64 v[72:73], -v[14:15], v[54:55], v[56:57]
	v_mov_b32_e32 v54, s19
	ds_read2_b64 v[54:57], v54 offset1:1
	s_sub_i32 s19, s15, 24
	v_mul_f64 v[18:19], v[58:59], v[60:61]
	v_mov_b32_e32 v58, s19
	ds_read2_b64 v[58:61], v58 offset1:1
	s_waitcnt lgkmcnt(1)
	v_fma_f64 v[24:25], -v[8:9], v[56:57], v[24:25]
	v_fma_f64 v[70:71], -v[16:17], v[62:63], v[64:65]
	v_mov_b32_e32 v56, s18
	ds_read2_b64 v[62:65], v56 offset1:1
	s_add_i32 s6, s7, s6
	v_mov_b32_e32 v56, s6
	s_lshl_b32 s6, s4, 3
	s_lshl_b64 s[26:27], s[4:5], 3
	s_add_i32 s4, s2, -8
	v_fma_f64 v[24:25], -v[10:11], v[54:55], v[24:25]
	s_lshl_b32 s18, s4, 8
	s_add_i32 s7, s18, s3
	v_mov_b32_e32 v54, s7
	v_fma_f64 v[74:75], -v[18:19], v[68:69], v[70:71]
	ds_read2_b64 v[68:71], v56 offset1:1
	s_waitcnt lgkmcnt(1)
	v_fma_f64 v[64:65], -v[16:17], v[64:65], v[72:73]
	ds_read_b64 v[72:73], v54
	v_fma_f64 v[24:25], -v[14:15], v[60:61], v[24:25]
	s_add_i32 s19, s7, -16
	v_mov_b32_e32 v54, s19
	ds_read2_b64 v[54:57], v54 offset1:1
	s_waitcnt lgkmcnt(1)
	v_fma_f64 v[60:61], -v[8:9], v[72:73], v[22:23]
	v_mul_f64 v[22:23], v[66:67], v[74:75]
	v_fma_f64 v[62:63], -v[18:19], v[62:63], v[64:65]
	s_sub_i32 s15, s15, 40
	v_fma_f64 v[24:25], -v[16:17], v[58:59], v[24:25]
	s_add_i32 s6, s14, s6
	s_lshl_b32 s14, s4, 3
	s_add_i32 s14, s18, s14
	s_waitcnt lgkmcnt(0)
	v_fma_f64 v[64:65], -v[10:11], v[56:57], v[60:61]
	v_mov_b32_e32 v56, s15
	ds_read2_b64 v[56:59], v56 offset1:1
	v_mov_b32_e32 v60, s6
	s_sub_i32 s6, s7, 32
	v_fma_f64 v[78:79], -v[22:23], v[70:71], v[62:63]
	ds_read2_b64 v[60:63], v60 offset1:1
	s_waitcnt lgkmcnt(1)
	v_fma_f64 v[58:59], -v[18:19], v[58:59], v[24:25]
	v_fma_f64 v[24:25], -v[14:15], v[54:55], v[64:65]
	v_mov_b32_e32 v54, s6
	s_sub_i32 s6, s7, 48
	v_mov_b32_e32 v55, s6
	s_lshl_b64 s[6:7], s[4:5], 3
	s_add_i32 s4, s2, -9
	s_lshl_b32 s15, s4, 8
	s_add_i32 s19, s15, s3
	s_add_i32 s22, s19, -8
	ds_read2_b64 v[64:67], v54 offset1:1
	ds_read2_b64 v[70:73], v55 offset1:1
	v_mov_b32_e32 v54, s22
	ds_read2_b64 v[74:77], v54 offset1:1
	v_fma_f64 v[56:57], -v[22:23], v[56:57], v[58:59]
	s_waitcnt lgkmcnt(2)
	v_fma_f64 v[54:55], -v[16:17], v[66:67], v[24:25]
	v_mul_f64 v[24:25], v[68:69], v[78:79]
	s_sub_i32 s22, s19, 24
	s_waitcnt lgkmcnt(0)
	v_fma_f64 v[52:53], -v[8:9], v[76:77], v[52:53]
	s_lshl_b64 s[28:29], s[4:5], 3
	global_store_dwordx2 v[32:33], v[8:9], off
	v_mov_b32_e32 v86, s13
	v_fma_f64 v[58:59], -v[18:19], v[64:65], v[54:55]
	v_fma_f64 v[62:63], -v[24:25], v[62:63], v[56:57]
	;; [unrolled: 1-line block ×3, first 2 shown]
	v_mov_b32_e32 v52, s22
	ds_read2_b64 v[52:55], v52 offset1:1
	s_sub_i32 s22, s19, 40
	v_mov_b32_e32 v56, s22
	v_fma_f64 v[66:67], -v[22:23], v[72:73], v[58:59]
	ds_read2_b64 v[56:59], v56 offset1:1
	s_lshl_b32 s22, s4, 3
	s_waitcnt lgkmcnt(1)
	v_fma_f64 v[54:55], -v[14:15], v[54:55], v[64:65]
	s_add_i32 s4, s2, -10
	s_lshl_b32 s23, s4, 8
	s_add_i32 s34, s23, s3
	v_mov_b32_e32 v64, s34
	ds_read_b64 v[64:65], v64
	s_add_i32 s35, s34, -16
	s_add_i32 s18, s15, s22
	v_fma_f64 v[68:69], -v[16:17], v[52:53], v[54:55]
	v_mov_b32_e32 v52, s35
	s_waitcnt lgkmcnt(0)
	v_fma_f64 v[64:65], -v[8:9], v[64:65], v[26:27]
	ds_read2_b64 v[52:55], v52 offset1:1
	v_mul_f64 v[26:27], v[60:61], v[62:63]
	v_fma_f64 v[62:63], -v[24:25], v[70:71], v[66:67]
	v_fma_f64 v[66:67], -v[18:19], v[58:59], v[68:69]
	v_mov_b32_e32 v58, s14
	ds_read2_b64 v[58:61], v58 offset1:1
	s_waitcnt lgkmcnt(1)
	v_fma_f64 v[64:65], -v[10:11], v[54:55], v[64:65]
	s_sub_i32 s14, s19, 56
	v_mov_b32_e32 v54, s14
	s_sub_i32 s14, s34, 32
	s_waitcnt lgkmcnt(0)
	v_fma_f64 v[80:81], -v[26:27], v[60:61], v[62:63]
	v_mov_b32_e32 v60, s14
	v_fma_f64 v[82:83], -v[22:23], v[56:57], v[66:67]
	ds_read2_b64 v[54:57], v54 offset1:1
	ds_read2_b64 v[60:63], v60 offset1:1
	v_fma_f64 v[52:53], -v[14:15], v[52:53], v[64:65]
	s_sub_i32 s14, s34, 48
	v_mov_b32_e32 v64, s14
	s_lshl_b32 s19, s4, 3
	s_lshl_b64 s[14:15], s[4:5], 3
	s_add_i32 s4, s2, -11
	s_lshl_b32 s35, s4, 8
	s_add_i32 s36, s35, s3
	s_waitcnt lgkmcnt(0)
	v_fma_f64 v[52:53], -v[16:17], v[62:63], v[52:53]
	s_add_i32 s22, s36, -8
	v_mov_b32_e32 v62, s22
	ds_read2_b64 v[64:67], v64 offset1:1
	ds_read2_b64 v[68:71], v62 offset1:1
	v_fma_f64 v[56:57], -v[24:25], v[56:57], v[82:83]
	v_mov_b32_e32 v62, s18
	s_sub_i32 s18, s36, 24
	v_fma_f64 v[52:53], -v[18:19], v[60:61], v[52:53]
	s_waitcnt lgkmcnt(0)
	v_fma_f64 v[30:31], -v[8:9], v[70:71], v[30:31]
	v_mov_b32_e32 v63, s18
	ds_read2_b64 v[72:75], v63 offset1:1
	ds_read2_b64 v[76:79], v62 offset1:1
	v_fma_f64 v[54:55], -v[26:27], v[54:55], v[56:57]
	s_lshl_b32 s18, s4, 3
	v_fma_f64 v[52:53], -v[22:23], v[66:67], v[52:53]
	v_fma_f64 v[60:61], -v[10:11], v[68:69], v[30:31]
	v_mul_f64 v[30:31], v[58:59], v[80:81]
	v_mov_b32_e32 v80, s17
	s_sub_i32 s17, s34, 64
	v_mov_b32_e32 v62, s17
	s_add_i32 s17, s23, s19
	s_lshl_b64 s[22:23], s[4:5], 3
	s_add_i32 s4, s2, -12
	s_waitcnt lgkmcnt(1)
	v_fma_f64 v[32:33], -v[14:15], v[74:75], v[60:61]
	s_waitcnt lgkmcnt(0)
	v_fma_f64 v[74:75], -v[30:31], v[78:79], v[54:55]
	v_fma_f64 v[78:79], -v[24:25], v[64:65], v[52:53]
	v_mov_b32_e32 v64, s17
	s_sub_i32 s17, s36, 40
	v_mov_b32_e32 v52, s17
	s_lshl_b32 s17, s4, 8
	s_add_i32 s19, s17, s3
	v_mov_b32_e32 v53, s19
	ds_read_b64 v[60:61], v53
	ds_read2_b64 v[52:55], v52 offset1:1
	v_fma_f64 v[32:33], -v[16:17], v[72:73], v[32:33]
	s_add_i32 s34, s19, -16
	v_mov_b32_e32 v56, s34
	s_waitcnt lgkmcnt(1)
	v_fma_f64 v[50:51], -v[8:9], v[60:61], v[50:51]
	ds_read2_b64 v[56:59], v56 offset1:1
	ds_read2_b64 v[60:63], v62 offset1:1
	;; [unrolled: 1-line block ×3, first 2 shown]
	s_sub_i32 s34, s36, 56
	v_mov_b32_e32 v68, s34
	s_waitcnt lgkmcnt(3)
	v_fma_f64 v[32:33], -v[18:19], v[54:55], v[32:33]
	s_waitcnt lgkmcnt(1)
	v_fma_f64 v[54:55], -v[26:27], v[62:63], v[78:79]
	v_mov_b32_e32 v78, s9
	v_fma_f64 v[50:51], -v[10:11], v[58:59], v[50:51]
	v_add_co_u32_e32 v58, vcc, s16, v106
	v_addc_co_u32_e32 v59, vcc, v107, v80, vcc
	global_store_dwordx2 v[58:59], v[10:11], off
	v_fma_f64 v[62:63], -v[30:31], v[60:61], v[54:55]
	v_fma_f64 v[58:59], -v[22:23], v[52:53], v[32:33]
	;; [unrolled: 1-line block ×3, first 2 shown]
	s_sub_i32 s9, s19, 32
	v_mov_b32_e32 v50, s9
	ds_read2_b64 v[50:53], v50 offset1:1
	ds_read2_b64 v[68:71], v68 offset1:1
	s_sub_i32 s9, s19, 48
	v_mov_b32_e32 v54, s9
	s_lshl_b32 s9, s4, 3
	s_add_i32 s9, s17, s9
	s_lshl_b64 s[16:17], s[4:5], 3
	s_add_i32 s4, s2, -13
	s_lshl_b32 s37, s4, 8
	ds_read2_b64 v[54:57], v54 offset1:1
	s_waitcnt lgkmcnt(2)
	v_fma_f64 v[52:53], -v[16:17], v[52:53], v[60:61]
	s_add_i32 s40, s37, s3
	v_mul_f64 v[32:33], v[76:77], v[74:75]
	s_waitcnt lgkmcnt(1)
	v_fma_f64 v[74:75], -v[24:25], v[70:71], v[58:59]
	v_mov_b32_e32 v58, s9
	s_add_i32 s9, s40, -8
	v_mov_b32_e32 v70, s9
	ds_read2_b64 v[58:61], v58 offset1:1
	ds_read2_b64 v[70:73], v70 offset1:1
	v_fma_f64 v[52:53], -v[18:19], v[50:51], v[52:53]
	v_add_co_u32_e32 v76, vcc, s8, v106
	s_add_i32 s8, s36, 0xffffffb8
	s_waitcnt lgkmcnt(0)
	v_fma_f64 v[72:73], -v[8:9], v[72:73], v[48:49]
	s_sub_i32 s9, s40, 24
	v_fma_f64 v[62:63], -v[32:33], v[66:67], v[62:63]
	v_mov_b32_e32 v48, s8
	v_fma_f64 v[52:53], -v[22:23], v[56:57], v[52:53]
	v_mov_b32_e32 v66, s9
	v_addc_co_u32_e32 v77, vcc, v107, v78, vcc
	v_fma_f64 v[56:57], -v[10:11], v[70:71], v[72:73]
	v_fma_f64 v[78:79], -v[26:27], v[68:69], v[74:75]
	ds_read2_b64 v[48:51], v48 offset1:1
	ds_read2_b64 v[66:69], v66 offset1:1
	s_add_i32 s8, s35, s18
	v_mov_b32_e32 v74, s8
	s_sub_i32 s8, s40, 40
	v_mov_b32_e32 v70, s8
	s_waitcnt lgkmcnt(0)
	v_fma_f64 v[56:57], -v[14:15], v[68:69], v[56:57]
	s_sub_i32 s8, s19, 64
	v_fma_f64 v[82:83], -v[30:31], v[50:51], v[78:79]
	v_mov_b32_e32 v50, s8
	s_lshl_b32 s41, s4, 3
	s_lshl_b64 s[8:9], s[4:5], 3
	s_add_i32 s4, s2, -14
	s_lshl_b32 s36, s4, 8
	s_add_i32 s34, s36, s3
	v_fma_f64 v[78:79], -v[24:25], v[54:55], v[52:53]
	v_fma_f64 v[54:55], -v[16:17], v[66:67], v[56:57]
	v_mov_b32_e32 v56, s34
	ds_read2_b64 v[70:73], v70 offset1:1
	ds_read_b64 v[66:67], v56
	s_add_i32 s18, s34, -16
	ds_read2_b64 v[50:53], v50 offset1:1
	s_add_i32 s13, s19, 0xffffffb0
	global_store_dwordx2 v[76:77], v[14:15], off
	s_waitcnt lgkmcnt(1)
	v_fma_f64 v[38:39], -v[8:9], v[66:67], v[38:39]
	v_fma_f64 v[72:73], -v[18:19], v[72:73], v[54:55]
	v_mov_b32_e32 v54, s18
	ds_read2_b64 v[54:57], v54 offset1:1
	s_waitcnt lgkmcnt(1)
	v_fma_f64 v[52:53], -v[26:27], v[52:53], v[78:79]
	v_mov_b32_e32 v66, s13
	s_sub_i32 s13, s40, 56
	ds_read2_b64 v[66:69], v66 offset1:1
	s_waitcnt lgkmcnt(1)
	v_fma_f64 v[56:57], -v[10:11], v[56:57], v[38:39]
	v_fma_f64 v[84:85], -v[22:23], v[70:71], v[72:73]
	v_mov_b32_e32 v70, s13
	s_add_i32 s13, s40, 0xffffffb8
	v_mov_b32_e32 v38, s13
	s_sub_i32 s13, s34, 32
	ds_read2_b64 v[78:81], v38 offset1:1
	v_mul_f64 v[38:39], v[64:65], v[62:63]
	v_fma_f64 v[56:57], -v[14:15], v[54:55], v[56:57]
	v_fma_f64 v[62:63], -v[32:33], v[48:49], v[82:83]
	v_mov_b32_e32 v48, s13
	ds_read2_b64 v[74:77], v74 offset1:1
	ds_read2_b64 v[70:73], v70 offset1:1
	v_fma_f64 v[64:65], -v[30:31], v[50:51], v[52:53]
	ds_read2_b64 v[48:51], v48 offset1:1
	s_sub_i32 s13, s34, 48
	v_mov_b32_e32 v52, s13
	s_waitcnt lgkmcnt(1)
	v_fma_f64 v[72:73], -v[24:25], v[72:73], v[84:85]
	ds_read2_b64 v[52:55], v52 offset1:1
	s_waitcnt lgkmcnt(1)
	v_fma_f64 v[50:51], -v[16:17], v[50:51], v[56:57]
	v_add_co_u32_e32 v56, vcc, s12, v106
	v_addc_co_u32_e32 v57, vcc, v107, v86, vcc
	s_lshl_b32 s39, s4, 3
	s_lshl_b64 s[18:19], s[4:5], 3
	s_add_i32 s4, s2, -15
	v_fma_f64 v[70:71], -v[26:27], v[70:71], v[72:73]
	global_store_dwordx2 v[56:57], v[16:17], off
	v_fma_f64 v[56:57], -v[18:19], v[48:49], v[50:51]
	s_lshl_b32 s35, s4, 8
	s_add_i32 s38, s35, s3
	s_add_i32 s12, s38, -8
	v_mov_b32_e32 v48, s12
	ds_read2_b64 v[48:51], v48 offset1:1
	s_sub_i32 s12, s38, 24
	v_fma_f64 v[64:65], -v[32:33], v[68:69], v[64:65]
	v_fma_f64 v[68:69], -v[30:31], v[80:81], v[70:71]
	s_waitcnt lgkmcnt(1)
	v_fma_f64 v[70:71], -v[22:23], v[54:55], v[56:57]
	v_mov_b32_e32 v54, s12
	ds_read2_b64 v[54:57], v54 offset1:1
	s_waitcnt lgkmcnt(1)
	v_fma_f64 v[50:51], -v[8:9], v[50:51], v[40:41]
	v_fma_f64 v[62:63], -v[38:39], v[76:77], v[62:63]
	s_sub_i32 s13, s34, 64
	s_add_i32 s12, s40, 0xffffffa8
	v_fma_f64 v[72:73], -v[32:33], v[78:79], v[68:69]
	v_fma_f64 v[52:53], -v[24:25], v[52:53], v[70:71]
	;; [unrolled: 1-line block ×3, first 2 shown]
	s_lshl_b32 s40, s4, 3
	v_fma_f64 v[68:69], -v[10:11], v[48:49], v[50:51]
	v_mov_b32_e32 v48, s13
	ds_read2_b64 v[48:51], v48 offset1:1
	v_mul_f64 v[40:41], v[74:75], v[62:63]
	v_mov_b32_e32 v74, s12
	s_add_i32 s12, s34, 0xffffffb0
	v_mov_b32_e32 v62, s12
	ds_read2_b64 v[62:65], v62 offset1:1
	s_waitcnt lgkmcnt(1)
	v_fma_f64 v[70:71], -v[26:27], v[50:51], v[52:53]
	v_fma_f64 v[56:57], -v[14:15], v[56:57], v[68:69]
	ds_read2_b64 v[50:53], v74 offset1:1
	s_add_i32 s12, s37, s41
	v_fma_f64 v[60:61], -v[40:41], v[60:61], v[66:67]
	v_mov_b32_e32 v66, s12
	s_sub_i32 s12, s38, 40
	ds_read2_b64 v[66:69], v66 offset1:1
	s_waitcnt lgkmcnt(1)
	v_fma_f64 v[74:75], -v[38:39], v[52:53], v[72:73]
	v_mov_b32_e32 v52, s12
	s_sub_i32 s12, s38, 56
	v_fma_f64 v[48:49], -v[30:31], v[48:49], v[70:71]
	v_fma_f64 v[56:57], -v[16:17], v[54:55], v[56:57]
	v_mov_b32_e32 v70, s12
	s_lshl_b64 s[12:13], s[4:5], 3
	s_add_i32 s4, s2, -16
	v_mov_b32_e32 v80, s25
	s_lshl_b32 s25, s4, 8
	s_add_i32 s41, s25, s3
	v_mov_b32_e32 v76, s41
	ds_read2_b64 v[52:55], v52 offset1:1
	ds_read2_b64 v[70:73], v70 offset1:1
	ds_read_b64 v[76:77], v76
	s_add_i32 s37, s41, -16
	v_fma_f64 v[48:49], -v[32:33], v[64:65], v[48:49]
	s_waitcnt lgkmcnt(2)
	v_fma_f64 v[78:79], -v[18:19], v[54:55], v[56:57]
	v_mov_b32_e32 v54, s37
	ds_read2_b64 v[54:57], v54 offset1:1
	s_waitcnt lgkmcnt(1)
	v_fma_f64 v[76:77], -v[8:9], v[76:77], v[42:43]
	v_add_co_u32_e32 v42, vcc, s24, v106
	v_addc_co_u32_e32 v43, vcc, v107, v80, vcc
	global_store_dwordx2 v[42:43], v[18:19], off
	v_mul_f64 v[42:43], v[58:59], v[60:61]
	v_fma_f64 v[50:51], -v[40:41], v[50:51], v[74:75]
	s_waitcnt lgkmcnt(0)
	v_fma_f64 v[56:57], -v[10:11], v[56:57], v[76:77]
	v_fma_f64 v[52:53], -v[22:23], v[52:53], v[78:79]
	v_mov_b32_e32 v84, s21
	s_sub_i32 s21, s41, 32
	v_fma_f64 v[76:77], -v[38:39], v[62:63], v[48:49]
	v_mov_b32_e32 v48, s21
	s_sub_i32 s24, s41, 48
	v_fma_f64 v[64:65], -v[42:43], v[68:69], v[50:51]
	v_fma_f64 v[56:57], -v[14:15], v[54:55], v[56:57]
	ds_read2_b64 v[48:51], v48 offset1:1
	v_fma_f64 v[60:61], -v[24:25], v[72:73], v[52:53]
	v_mov_b32_e32 v52, s24
	ds_read2_b64 v[52:55], v52 offset1:1
	s_lshl_b32 s24, s4, 3
	v_mov_b32_e32 v80, s31
	v_add_co_u32_e32 v58, vcc, s30, v106
	s_waitcnt lgkmcnt(1)
	v_fma_f64 v[50:51], -v[16:17], v[50:51], v[56:57]
	s_add_i32 s24, s25, s24
	v_addc_co_u32_e32 v59, vcc, v107, v80, vcc
	s_add_i32 s21, s34, 0xffffffa0
	v_mov_b32_e32 v56, s21
	s_add_i32 s21, s38, 0xffffffb8
	global_store_dwordx2 v[58:59], v[22:23], off
	v_fma_f64 v[80:81], -v[18:19], v[48:49], v[50:51]
	v_mov_b32_e32 v48, s24
	s_lshl_b64 s[24:25], s[4:5], 3
	s_sub_i32 s4, s2, 17
	s_lshl_b32 s34, s4, 8
	s_add_i32 s37, s34, s3
	s_add_i32 s30, s37, -8
	v_fma_f64 v[78:79], -v[26:27], v[70:71], v[60:61]
	v_mov_b32_e32 v60, s21
	v_mov_b32_e32 v49, s30
	ds_read2_b64 v[56:59], v56 offset1:1
	ds_read2_b64 v[60:63], v60 offset1:1
	;; [unrolled: 1-line block ×4, first 2 shown]
	s_add_i32 s21, s38, 0xffffffa8
	s_waitcnt lgkmcnt(4)
	v_fma_f64 v[54:55], -v[22:23], v[54:55], v[80:81]
	v_mov_b32_e32 v72, s21
	s_add_i32 s21, s36, s39
	s_waitcnt lgkmcnt(0)
	v_fma_f64 v[50:51], -v[8:9], v[50:51], v[44:45]
	v_mul_f64 v[44:45], v[66:67], v[64:65]
	v_fma_f64 v[66:67], -v[40:41], v[58:59], v[76:77]
	v_fma_f64 v[78:79], -v[30:31], v[62:63], v[78:79]
	v_mov_b32_e32 v62, s21
	s_sub_i32 s21, s37, 24
	s_sub_i32 s30, s37, 40
	v_fma_f64 v[82:83], -v[24:25], v[52:53], v[54:55]
	v_fma_f64 v[58:59], -v[10:11], v[48:49], v[50:51]
	v_mov_b32_e32 v48, s21
	ds_read2_b64 v[48:51], v48 offset1:1
	v_mov_b32_e32 v52, s30
	ds_read2_b64 v[52:55], v52 offset1:1
	v_fma_f64 v[80:81], -v[32:33], v[60:61], v[78:79]
	s_sub_i32 s21, s41, 64
	ds_read2_b64 v[72:75], v72 offset1:1
	s_waitcnt lgkmcnt(2)
	v_fma_f64 v[50:51], -v[14:15], v[50:51], v[58:59]
	v_mov_b32_e32 v58, s21
	ds_read2_b64 v[58:61], v58 offset1:1
	s_add_i32 s21, s41, 0xffffffb0
	v_fma_f64 v[56:57], -v[42:43], v[56:57], v[66:67]
	v_mov_b32_e32 v66, s21
	ds_read2_b64 v[76:79], v66 offset1:1
	s_waitcnt lgkmcnt(1)
	v_fma_f64 v[60:61], -v[26:27], v[60:61], v[82:83]
	v_fma_f64 v[48:49], -v[16:17], v[48:49], v[50:51]
	;; [unrolled: 1-line block ×3, first 2 shown]
	v_add_co_u32_e32 v66, vcc, s20, v106
	s_add_i32 s20, s38, 0xffffff98
	ds_read2_b64 v[62:65], v62 offset1:1
	s_lshl_b32 s39, s4, 3
	v_fma_f64 v[58:59], -v[30:31], v[58:59], v[60:61]
	v_fma_f64 v[54:55], -v[18:19], v[54:55], v[48:49]
	v_mov_b32_e32 v48, s20
	s_sub_i32 s20, s37, 56
	v_fma_f64 v[60:61], -v[40:41], v[72:73], v[50:51]
	v_addc_co_u32_e32 v67, vcc, v107, v84, vcc
	global_store_dwordx2 v[66:67], v[24:25], off
	ds_read2_b64 v[48:51], v48 offset1:1
	v_fma_f64 v[72:73], -v[22:23], v[52:53], v[54:55]
	v_mov_b32_e32 v52, s20
	s_lshl_b64 s[20:21], s[4:5], 3
	s_sub_i32 s4, s2, 18
	s_lshl_b32 s30, s4, 8
	s_add_i32 s36, s30, s3
	v_mov_b32_e32 v53, s36
	s_waitcnt lgkmcnt(1)
	v_fma_f64 v[80:81], -v[44:45], v[64:65], v[56:57]
	ds_read_b64 v[64:65], v53
	ds_read2_b64 v[52:55], v52 offset1:1
	v_mov_b32_e32 v86, s27
	s_add_i32 s27, s36, -16
	v_mov_b32_e32 v56, s27
	s_waitcnt lgkmcnt(1)
	v_fma_f64 v[46:47], -v[8:9], v[64:65], v[46:47]
	v_fma_f64 v[78:79], -v[32:33], v[78:79], v[58:59]
	ds_read2_b64 v[56:59], v56 offset1:1
	s_add_i32 s27, s37, 0xffffffb8
	v_mov_b32_e32 v64, s27
	s_add_i32 s27, s35, s40
	s_waitcnt lgkmcnt(1)
	v_fma_f64 v[54:55], -v[24:25], v[54:55], v[72:73]
	v_mov_b32_e32 v72, s27
	ds_read2_b64 v[72:75], v72 offset1:1
	s_waitcnt lgkmcnt(1)
	v_fma_f64 v[46:47], -v[10:11], v[58:59], v[46:47]
	s_sub_i32 s31, s36, 32
	ds_read2_b64 v[64:67], v64 offset1:1
	v_fma_f64 v[84:85], -v[38:39], v[76:77], v[78:79]
	s_add_i32 s27, s41, 0xffffffa0
	v_fma_f64 v[58:59], -v[26:27], v[52:53], v[54:55]
	v_mov_b32_e32 v54, s31
	v_fma_f64 v[82:83], -v[42:43], v[50:51], v[60:61]
	v_fma_f64 v[46:47], -v[14:15], v[56:57], v[46:47]
	ds_read2_b64 v[54:57], v54 offset1:1
	v_mov_b32_e32 v50, s27
	ds_read2_b64 v[50:53], v50 offset1:1
	s_add_i32 s27, s41, 0xffffff90
	s_waitcnt lgkmcnt(2)
	v_fma_f64 v[66:67], -v[30:31], v[66:67], v[58:59]
	s_sub_i32 s31, s36, 48
	v_mov_b32_e32 v58, s31
	s_waitcnt lgkmcnt(1)
	v_fma_f64 v[56:57], -v[16:17], v[56:57], v[46:47]
	v_mov_b32_e32 v46, s27
	ds_read2_b64 v[76:79], v46 offset1:1
	s_waitcnt lgkmcnt(1)
	v_fma_f64 v[84:85], -v[40:41], v[52:53], v[84:85]
	ds_read2_b64 v[58:61], v58 offset1:1
	v_fma_f64 v[66:67], -v[32:33], v[64:65], v[66:67]
	s_add_i32 s27, s37, 0xffffffa8
	v_mov_b32_e32 v52, s27
	v_fma_f64 v[56:57], -v[18:19], v[54:55], v[56:57]
	ds_read2_b64 v[52:55], v52 offset1:1
	v_mul_f64 v[46:47], v[62:63], v[80:81]
	v_fma_f64 v[50:51], -v[42:43], v[50:51], v[84:85]
	v_fma_f64 v[48:49], -v[44:45], v[48:49], v[82:83]
	s_add_i32 s27, s37, 0xffffff98
	s_waitcnt lgkmcnt(0)
	v_fma_f64 v[54:55], -v[38:39], v[54:55], v[66:67]
	v_mov_b32_e32 v62, s27
	v_fma_f64 v[56:57], -v[22:23], v[60:61], v[56:57]
	v_add_co_u32_e32 v60, vcc, s26, v106
	s_lshl_b32 s35, s4, 3
	s_lshl_b64 s[26:27], s[4:5], 3
	s_sub_i32 s4, s2, 19
	v_mov_b32_e32 v82, s7
	v_fma_f64 v[66:67], -v[44:45], v[78:79], v[50:51]
	v_fma_f64 v[78:79], -v[24:25], v[58:59], v[56:57]
	s_sub_i32 s7, s36, 64
	s_lshl_b32 s31, s4, 8
	v_mov_b32_e32 v50, s7
	s_add_i32 s7, s36, 0xffffffb0
	s_add_i32 s38, s31, s3
	v_addc_co_u32_e32 v61, vcc, v107, v86, vcc
	v_fma_f64 v[48:49], -v[46:47], v[74:75], v[48:49]
	v_fma_f64 v[74:75], -v[40:41], v[52:53], v[54:55]
	v_mov_b32_e32 v54, s7
	s_add_i32 s7, s38, -8
	global_store_dwordx2 v[60:61], v[26:27], off
	v_mov_b32_e32 v58, s7
	ds_read2_b64 v[62:65], v62 offset1:1
	ds_read2_b64 v[50:53], v50 offset1:1
	;; [unrolled: 1-line block ×4, first 2 shown]
	s_sub_i32 s7, s38, 24
	v_mul_f64 v[48:49], v[72:73], v[48:49]
	s_waitcnt lgkmcnt(2)
	v_fma_f64 v[52:53], -v[26:27], v[52:53], v[78:79]
	v_mov_b32_e32 v78, s7
	ds_read2_b64 v[78:81], v78 offset1:1
	s_waitcnt lgkmcnt(1)
	v_fma_f64 v[2:3], -v[8:9], v[60:61], v[2:3]
	v_add_co_u32_e32 v60, vcc, s6, v106
	s_add_i32 s6, s37, 0xffffff88
	s_sub_i32 s7, s38, 56
	v_fma_f64 v[50:51], -v[30:31], v[50:51], v[52:53]
	v_fma_f64 v[52:53], -v[46:47], v[76:77], v[66:67]
	v_addc_co_u32_e32 v61, vcc, v107, v82, vcc
	v_fma_f64 v[2:3], -v[10:11], v[58:59], v[2:3]
	v_fma_f64 v[58:59], -v[42:43], v[64:65], v[74:75]
	global_store_dwordx2 v[60:61], v[30:31], off
	v_mov_b32_e32 v61, s29
	v_fma_f64 v[50:51], -v[32:33], v[56:57], v[50:51]
	v_fma_f64 v[76:77], -v[48:49], v[70:71], v[52:53]
	v_add_co_u32_e32 v60, vcc, s28, v106
	s_waitcnt lgkmcnt(0)
	v_fma_f64 v[2:3], -v[14:15], v[80:81], v[2:3]
	v_fma_f64 v[66:67], -v[44:45], v[62:63], v[58:59]
	v_mov_b32_e32 v62, s6
	s_sub_i32 s6, s38, 40
	v_fma_f64 v[74:75], -v[38:39], v[54:55], v[50:51]
	v_mov_b32_e32 v50, s6
	ds_read2_b64 v[50:53], v50 offset1:1
	v_mov_b32_e32 v54, s7
	v_fma_f64 v[2:3], -v[16:17], v[78:79], v[2:3]
	ds_read2_b64 v[54:57], v54 offset1:1
	v_addc_co_u32_e32 v61, vcc, v107, v61, vcc
	s_add_i32 s6, s36, 0xffffffa0
	global_store_dwordx2 v[60:61], v[32:33], off
	s_lshl_b32 s29, s4, 3
	v_mov_b32_e32 v80, s15
	s_waitcnt lgkmcnt(1)
	v_fma_f64 v[2:3], -v[18:19], v[52:53], v[2:3]
	v_mov_b32_e32 v52, s6
	ds_read2_b64 v[58:61], v52 offset1:1
	ds_read2_b64 v[62:65], v62 offset1:1
	s_add_i32 s6, s36, 0xffffff90
	v_mov_b32_e32 v52, s6
	s_lshl_b64 s[6:7], s[4:5], 3
	s_sub_i32 s4, s2, 20
	s_lshl_b32 s15, s4, 8
	v_fma_f64 v[2:3], -v[22:23], v[50:51], v[2:3]
	s_waitcnt lgkmcnt(1)
	v_fma_f64 v[60:61], -v[40:41], v[60:61], v[74:75]
	s_add_i32 s28, s15, s3
	v_mov_b32_e32 v50, s28
	ds_read2_b64 v[70:73], v52 offset1:1
	ds_read_b64 v[74:75], v50
	s_add_i32 s37, s28, -16
	s_add_i32 s34, s34, s39
	v_fma_f64 v[2:3], -v[24:25], v[56:57], v[2:3]
	v_fma_f64 v[60:61], -v[42:43], v[58:59], v[60:61]
	s_waitcnt lgkmcnt(0)
	v_fma_f64 v[56:57], -v[8:9], v[74:75], v[0:1]
	v_mov_b32_e32 v50, s37
	v_mov_b32_e32 v78, s34
	s_add_i32 s34, s38, 0xffffffb8
	ds_read2_b64 v[50:53], v50 offset1:1
	v_mov_b32_e32 v0, s34
	v_fma_f64 v[58:59], -v[26:27], v[54:55], v[2:3]
	ds_read2_b64 v[0:3], v0 offset1:1
	s_add_i32 s34, s38, 0xffffffa8
	s_waitcnt lgkmcnt(1)
	v_fma_f64 v[74:75], -v[10:11], v[52:53], v[56:57]
	v_mov_b32_e32 v52, s34
	s_sub_i32 s34, s28, 32
	ds_read2_b64 v[52:55], v52 offset1:1
	v_fma_f64 v[60:61], -v[44:45], v[72:73], v[60:61]
	s_waitcnt lgkmcnt(1)
	v_fma_f64 v[2:3], -v[30:31], v[2:3], v[58:59]
	ds_read2_b64 v[56:59], v78 offset1:1
	v_fma_f64 v[78:79], -v[46:47], v[64:65], v[66:67]
	v_fma_f64 v[50:51], -v[14:15], v[50:51], v[74:75]
	v_mov_b32_e32 v64, s34
	ds_read2_b64 v[64:67], v64 offset1:1
	s_sub_i32 s34, s28, 48
	v_fma_f64 v[86:87], -v[46:47], v[70:71], v[60:61]
	v_fma_f64 v[0:1], -v[32:33], v[0:1], v[2:3]
	v_mov_b32_e32 v2, s34
	ds_read2_b64 v[72:75], v2 offset1:1
	s_waitcnt lgkmcnt(1)
	v_fma_f64 v[2:3], -v[16:17], v[66:67], v[50:51]
	v_add_co_u32_e32 v50, vcc, s14, v106
	s_add_i32 s14, s36, 0xffffff80
	v_addc_co_u32_e32 v51, vcc, v107, v80, vcc
	v_fma_f64 v[0:1], -v[38:39], v[54:55], v[0:1]
	v_mov_b32_e32 v54, s14
	v_fma_f64 v[2:3], -v[18:19], v[64:65], v[2:3]
	s_add_i32 s14, s38, 0xffffff98
	global_store_dwordx2 v[50:51], v[38:39], off
	v_mul_f64 v[50:51], v[68:69], v[76:77]
	v_fma_f64 v[84:85], -v[48:49], v[62:63], v[78:79]
	ds_read2_b64 v[60:63], v54 offset1:1
	v_fma_f64 v[76:77], -v[40:41], v[52:53], v[0:1]
	v_mov_b32_e32 v0, s14
	s_lshl_b32 s14, s4, 3
	s_add_i32 s14, s15, s14
	ds_read2_b64 v[52:55], v0 offset1:1
	v_mov_b32_e32 v0, s14
	s_lshl_b64 s[14:15], s[4:5], 3
	s_sub_i32 s4, s2, 21
	s_lshl_b32 s36, s4, 8
	s_add_i32 s37, s36, s3
	v_mov_b32_e32 v88, s23
	s_add_i32 s23, s37, -8
	v_mov_b32_e32 v64, s23
	s_waitcnt lgkmcnt(2)
	v_fma_f64 v[74:75], -v[22:23], v[74:75], v[2:3]
	ds_read2_b64 v[0:3], v0 offset1:1
	ds_read2_b64 v[64:67], v64 offset1:1
	s_add_i32 s23, s38, 0xffffff88
	v_mov_b32_e32 v68, s23
	s_sub_i32 s23, s28, 64
	ds_read2_b64 v[68:71], v68 offset1:1
	s_waitcnt lgkmcnt(1)
	v_fma_f64 v[36:37], -v[8:9], v[66:67], v[36:37]
	v_mov_b32_e32 v66, s23
	v_fma_f64 v[80:81], -v[24:25], v[72:73], v[74:75]
	s_add_i32 s23, s28, 0xffffffb0
	v_mov_b32_e32 v67, s23
	s_sub_i32 s23, s37, 24
	v_fma_f64 v[54:55], -v[42:43], v[54:55], v[76:77]
	ds_read2_b64 v[72:75], v66 offset1:1
	ds_read2_b64 v[76:79], v67 offset1:1
	v_fma_f64 v[36:37], -v[10:11], v[64:65], v[36:37]
	v_mov_b32_e32 v64, s23
	ds_read2_b64 v[64:67], v64 offset1:1
	s_waitcnt lgkmcnt(2)
	v_fma_f64 v[74:75], -v[26:27], v[74:75], v[80:81]
	v_fma_f64 v[62:63], -v[48:49], v[62:63], v[86:87]
	s_sub_i32 s23, s37, 40
	v_mov_b32_e32 v80, s23
	ds_read2_b64 v[80:83], v80 offset1:1
	s_waitcnt lgkmcnt(1)
	v_fma_f64 v[36:37], -v[14:15], v[66:67], v[36:37]
	v_fma_f64 v[66:67], -v[44:45], v[52:53], v[54:55]
	;; [unrolled: 1-line block ×4, first 2 shown]
	v_mov_b32_e32 v86, s17
	s_add_i32 s17, s38, 0xffffff78
	s_add_i32 s23, s30, s35
	v_mov_b32_e32 v52, s23
	v_fma_f64 v[36:37], -v[16:17], v[64:65], v[36:37]
	v_fma_f64 v[64:65], -v[46:47], v[70:71], v[66:67]
	v_add_co_u32_e32 v66, vcc, s22, v106
	v_addc_co_u32_e32 v67, vcc, v107, v88, vcc
	s_add_i32 s22, s37, 0xffffffb8
	global_store_dwordx2 v[66:67], v[40:41], off
	v_fma_f64 v[66:67], -v[32:33], v[78:79], v[72:73]
	v_fma_f64 v[78:79], -v[50:51], v[60:61], v[62:63]
	v_mov_b32_e32 v60, s22
	ds_read2_b64 v[60:63], v60 offset1:1
	s_waitcnt lgkmcnt(1)
	v_fma_f64 v[70:71], -v[18:19], v[82:83], v[36:37]
	v_fma_f64 v[82:83], -v[48:49], v[68:69], v[64:65]
	v_mov_b32_e32 v68, s17
	s_sub_i32 s17, s37, 56
	v_mul_f64 v[36:37], v[56:57], v[58:59]
	v_mov_b32_e32 v56, s17
	ds_read2_b64 v[52:55], v52 offset1:1
	ds_read2_b64 v[56:59], v56 offset1:1
	v_fma_f64 v[64:65], -v[22:23], v[80:81], v[70:71]
	v_fma_f64 v[76:77], -v[38:39], v[76:77], v[66:67]
	s_add_i32 s17, s28, 0xffffffa0
	s_lshl_b32 s30, s4, 3
	s_lshl_b64 s[22:23], s[4:5], 3
	s_sub_i32 s4, s2, 22
	s_lshl_b32 s34, s4, 8
	s_add_i32 s35, s34, s3
	s_waitcnt lgkmcnt(0)
	v_fma_f64 v[58:59], -v[24:25], v[58:59], v[64:65]
	v_mov_b32_e32 v64, s17
	ds_read2_b64 v[64:67], v64 offset1:1
	ds_read2_b64 v[68:71], v68 offset1:1
	s_add_i32 s17, s28, 0xffffff90
	v_mov_b32_e32 v72, s17
	ds_read2_b64 v[72:75], v72 offset1:1
	s_waitcnt lgkmcnt(2)
	v_fma_f64 v[66:67], -v[40:41], v[66:67], v[76:77]
	s_add_i32 s17, s35, -16
	v_fma_f64 v[76:77], -v[26:27], v[56:57], v[58:59]
	v_mov_b32_e32 v56, s35
	ds_read_b64 v[80:81], v56
	v_mov_b32_e32 v56, s17
	ds_read2_b64 v[56:59], v56 offset1:1
	s_add_i32 s17, s31, s29
	v_fma_f64 v[84:85], -v[36:37], v[54:55], v[78:79]
	s_waitcnt lgkmcnt(1)
	v_fma_f64 v[34:35], -v[8:9], v[80:81], v[34:35]
	v_fma_f64 v[76:77], -v[30:31], v[62:63], v[76:77]
	v_mov_b32_e32 v54, s17
	v_fma_f64 v[66:67], -v[42:43], v[64:65], v[66:67]
	ds_read2_b64 v[62:65], v54 offset1:1
	s_add_i32 s17, s37, 0xffffffa8
	v_mov_b32_e32 v54, s17
	s_add_i32 s17, s37, 0xffffff98
	s_waitcnt lgkmcnt(1)
	v_fma_f64 v[34:35], -v[10:11], v[58:59], v[34:35]
	v_fma_f64 v[78:79], -v[32:33], v[60:61], v[76:77]
	v_mov_b32_e32 v55, s17
	s_sub_i32 s17, s35, 32
	v_fma_f64 v[66:67], -v[44:45], v[74:75], v[66:67]
	ds_read2_b64 v[58:61], v54 offset1:1
	ds_read2_b64 v[74:77], v55 offset1:1
	v_mov_b32_e32 v54, s17
	s_sub_i32 s17, s35, 48
	v_fma_f64 v[34:35], -v[14:15], v[56:57], v[34:35]
	ds_read2_b64 v[54:57], v54 offset1:1
	s_waitcnt lgkmcnt(2)
	v_fma_f64 v[60:61], -v[38:39], v[60:61], v[78:79]
	v_mov_b32_e32 v78, s17
	ds_read2_b64 v[78:81], v78 offset1:1
	v_fma_f64 v[70:71], -v[50:51], v[70:71], v[82:83]
	v_fma_f64 v[66:67], -v[46:47], v[72:73], v[66:67]
	s_lshl_b32 s38, s4, 3
	s_waitcnt lgkmcnt(1)
	v_fma_f64 v[56:57], -v[16:17], v[56:57], v[34:35]
	v_add_co_u32_e32 v34, vcc, s16, v106
	v_fma_f64 v[58:59], -v[40:41], v[58:59], v[60:61]
	v_addc_co_u32_e32 v35, vcc, v107, v86, vcc
	global_store_dwordx2 v[34:35], v[42:43], off
	v_mul_f64 v[34:35], v[52:53], v[84:85]
	v_fma_f64 v[56:57], -v[18:19], v[54:55], v[56:57]
	v_fma_f64 v[60:61], -v[36:37], v[68:69], v[70:71]
	v_mov_b32_e32 v84, s9
	s_add_i32 s9, s28, 0xffffff80
	v_mov_b32_e32 v52, s9
	ds_read2_b64 v[52:55], v52 offset1:1
	s_lshl_b64 s[16:17], s[4:5], 3
	s_sub_i32 s4, s2, 23
	v_fma_f64 v[68:69], -v[42:43], v[76:77], v[58:59]
	s_add_i32 s9, s28, 0xffffff70
	s_lshl_b32 s28, s4, 8
	s_waitcnt lgkmcnt(1)
	v_fma_f64 v[70:71], -v[22:23], v[80:81], v[56:57]
	s_add_i32 s29, s28, s3
	s_add_i32 s31, s29, -8
	v_fma_f64 v[60:61], -v[34:35], v[64:65], v[60:61]
	v_mov_b32_e32 v56, s9
	v_mov_b32_e32 v64, s31
	ds_read2_b64 v[56:59], v56 offset1:1
	s_waitcnt lgkmcnt(1)
	v_fma_f64 v[54:55], -v[48:49], v[54:55], v[66:67]
	ds_read2_b64 v[64:67], v64 offset1:1
	s_sub_i32 s39, s29, 24
	v_fma_f64 v[80:81], -v[44:45], v[74:75], v[68:69]
	v_mov_b32_e32 v68, s39
	v_fma_f64 v[82:83], -v[24:25], v[78:79], v[70:71]
	ds_read2_b64 v[68:71], v68 offset1:1
	s_waitcnt lgkmcnt(1)
	v_fma_f64 v[28:29], -v[8:9], v[66:67], v[28:29]
	s_sub_i32 s31, s35, 64
	s_add_i32 s9, s37, 0xffffff88
	v_mov_b32_e32 v66, s31
	ds_read2_b64 v[72:75], v66 offset1:1
	v_mov_b32_e32 v66, s9
	s_add_i32 s9, s35, 0xffffffb0
	v_mov_b32_e32 v67, s9
	v_fma_f64 v[28:29], -v[10:11], v[64:65], v[28:29]
	ds_read2_b64 v[76:79], v67 offset1:1
	ds_read2_b64 v[64:67], v66 offset1:1
	s_waitcnt lgkmcnt(2)
	v_fma_f64 v[74:75], -v[26:27], v[74:75], v[82:83]
	v_fma_f64 v[82:83], -v[50:51], v[52:53], v[54:55]
	s_add_i32 s9, s37, 0xffffff78
	v_mov_b32_e32 v52, s9
	s_waitcnt lgkmcnt(0)
	v_fma_f64 v[66:67], -v[46:47], v[66:67], v[80:81]
	v_fma_f64 v[70:71], -v[14:15], v[70:71], v[28:29]
	v_add_co_u32_e32 v28, vcc, s8, v106
	v_fma_f64 v[72:73], -v[30:31], v[72:73], v[74:75]
	v_fma_f64 v[74:75], -v[36:37], v[58:59], v[82:83]
	s_sub_i32 s8, s29, 40
	ds_read2_b64 v[52:55], v52 offset1:1
	v_fma_f64 v[66:67], -v[48:49], v[64:65], v[66:67]
	v_fma_f64 v[68:69], -v[16:17], v[68:69], v[70:71]
	v_addc_co_u32_e32 v29, vcc, v107, v84, vcc
	v_mov_b32_e32 v58, s8
	global_store_dwordx2 v[28:29], v[44:45], off
	v_mul_f64 v[28:29], v[62:63], v[60:61]
	ds_read2_b64 v[58:61], v58 offset1:1
	s_sub_i32 s8, s29, 56
	v_fma_f64 v[70:71], -v[34:35], v[56:57], v[74:75]
	v_mov_b32_e32 v56, s8
	s_add_i32 s8, s35, 0xffffffa0
	v_fma_f64 v[72:73], -v[32:33], v[78:79], v[72:73]
	ds_read2_b64 v[62:65], v56 offset1:1
	s_waitcnt lgkmcnt(2)
	v_fma_f64 v[66:67], -v[50:51], v[54:55], v[66:67]
	v_mov_b32_e32 v54, s8
	ds_read2_b64 v[54:57], v54 offset1:1
	s_waitcnt lgkmcnt(2)
	v_fma_f64 v[60:61], -v[18:19], v[60:61], v[68:69]
	s_add_i32 s8, s35, 0xffffff90
	v_mov_b32_e32 v74, s8
	v_fma_f64 v[68:69], -v[38:39], v[76:77], v[72:73]
	s_add_i32 s8, s37, 0xffffff68
	s_lshl_b32 s31, s4, 3
	v_mov_b32_e32 v84, s13
	s_add_i32 s13, s36, s30
	v_fma_f64 v[72:73], -v[22:23], v[58:59], v[60:61]
	ds_read2_b64 v[58:61], v74 offset1:1
	v_mov_b32_e32 v80, s19
	s_waitcnt lgkmcnt(1)
	v_fma_f64 v[56:57], -v[40:41], v[56:57], v[68:69]
	v_add_co_u32_e32 v68, vcc, s18, v106
	v_addc_co_u32_e32 v69, vcc, v107, v80, vcc
	v_fma_f64 v[64:65], -v[24:25], v[64:65], v[72:73]
	v_fma_f64 v[72:73], -v[36:37], v[52:53], v[66:67]
	v_mov_b32_e32 v66, s8
	v_fma_f64 v[56:57], -v[42:43], v[54:55], v[56:57]
	s_add_i32 s8, s29, 0xffffffb8
	v_mov_b32_e32 v52, s8
	ds_read2_b64 v[52:55], v52 offset1:1
	s_add_i32 s8, s29, 0xffffffa8
	v_fma_f64 v[64:65], -v[26:27], v[62:63], v[64:65]
	global_store_dwordx2 v[68:69], v[46:47], off
	v_mov_b32_e32 v68, s13
	s_waitcnt lgkmcnt(1)
	v_fma_f64 v[56:57], -v[44:45], v[60:61], v[56:57]
	v_mov_b32_e32 v60, s8
	ds_read2_b64 v[60:63], v60 offset1:1
	s_lshl_b64 s[8:9], s[4:5], 3
	s_sub_i32 s4, s2, 24
	s_waitcnt lgkmcnt(1)
	v_fma_f64 v[54:55], -v[30:31], v[54:55], v[64:65]
	s_lshl_b32 s18, s4, 8
	s_add_i32 s30, s18, s3
	v_mov_b32_e32 v64, s30
	ds_read_b64 v[64:65], v64
	s_add_i32 s19, s30, -16
	v_fma_f64 v[58:59], -v[46:47], v[58:59], v[56:57]
	s_add_i32 s13, s35, 0xffffff80
	v_fma_f64 v[74:75], -v[32:33], v[52:53], v[54:55]
	v_mov_b32_e32 v52, s19
	ds_read2_b64 v[52:55], v52 offset1:1
	s_waitcnt lgkmcnt(1)
	v_fma_f64 v[20:21], -v[8:9], v[64:65], v[20:21]
	v_fma_f64 v[2:3], -v[28:29], v[2:3], v[70:71]
	ds_read2_b64 v[64:67], v66 offset1:1
	ds_read2_b64 v[68:71], v68 offset1:1
	v_mov_b32_e32 v56, s13
	s_add_i32 s13, s35, 0xffffff70
	v_fma_f64 v[62:63], -v[38:39], v[62:63], v[74:75]
	s_waitcnt lgkmcnt(1)
	v_fma_f64 v[66:67], -v[34:35], v[66:67], v[72:73]
	v_mov_b32_e32 v72, s13
	v_fma_f64 v[20:21], -v[10:11], v[54:55], v[20:21]
	ds_read2_b64 v[54:57], v56 offset1:1
	s_sub_i32 s13, s30, 32
	ds_read2_b64 v[72:75], v72 offset1:1
	s_sub_i32 s19, s30, 48
	v_fma_f64 v[82:83], -v[40:41], v[60:61], v[62:63]
	s_waitcnt lgkmcnt(1)
	v_fma_f64 v[80:81], -v[48:49], v[56:57], v[58:59]
	v_mov_b32_e32 v86, s21
	v_fma_f64 v[20:21], -v[14:15], v[52:53], v[20:21]
	v_mov_b32_e32 v52, s13
	ds_read2_b64 v[56:59], v52 offset1:1
	s_add_i32 s13, s29, 0xffffff98
	v_mov_b32_e32 v52, s19
	ds_read2_b64 v[60:63], v52 offset1:1
	v_mov_b32_e32 v52, s13
	ds_read2_b64 v[76:79], v52 offset1:1
	s_waitcnt lgkmcnt(2)
	v_fma_f64 v[20:21], -v[16:17], v[58:59], v[20:21]
	v_fma_f64 v[58:59], -v[50:51], v[54:55], v[80:81]
	s_add_i32 s13, s29, 0xffffff88
	v_mov_b32_e32 v52, s13
	s_waitcnt lgkmcnt(0)
	v_fma_f64 v[78:79], -v[42:43], v[78:79], v[82:83]
	ds_read2_b64 v[52:55], v52 offset1:1
	v_mov_b32_e32 v80, s25
	s_add_i32 s19, s35, 0xffffff60
	v_fma_f64 v[56:57], -v[18:19], v[56:57], v[20:21]
	v_add_co_u32_e32 v20, vcc, s12, v106
	v_addc_co_u32_e32 v21, vcc, v107, v84, vcc
	global_store_dwordx2 v[20:21], v[48:49], off
	v_mul_f64 v[20:21], v[0:1], v[2:3]
	v_fma_f64 v[0:1], -v[28:29], v[64:65], v[66:67]
	v_fma_f64 v[2:3], -v[36:37], v[74:75], v[58:59]
	;; [unrolled: 1-line block ×4, first 2 shown]
	s_sub_i32 s12, s30, 64
	v_add_co_u32_e32 v62, vcc, s24, v106
	v_addc_co_u32_e32 v63, vcc, v107, v80, vcc
	v_fma_f64 v[82:83], -v[20:21], v[70:71], v[0:1]
	v_mov_b32_e32 v0, s12
	s_add_i32 s12, s30, 0xffffffb0
	v_mov_b32_e32 v1, s12
	s_lshl_b32 s12, s4, 3
	global_store_dwordx2 v[62:63], v[50:51], off
	s_add_i32 s12, s18, s12
	s_waitcnt lgkmcnt(0)
	v_fma_f64 v[66:67], -v[46:47], v[54:55], v[58:59]
	v_fma_f64 v[70:71], -v[24:25], v[60:61], v[56:57]
	ds_read2_b64 v[54:57], v0 offset1:1
	ds_read2_b64 v[58:61], v1 offset1:1
	v_mov_b32_e32 v0, s12
	s_lshl_b64 s[12:13], s[4:5], 3
	s_sub_i32 s4, s2, 25
	s_lshl_b32 s24, s4, 8
	s_add_i32 s25, s24, s3
	s_add_i32 s18, s25, -8
	v_mov_b32_e32 v62, s18
	v_fma_f64 v[78:79], -v[34:35], v[72:73], v[2:3]
	ds_read2_b64 v[0:3], v0 offset1:1
	ds_read2_b64 v[62:65], v62 offset1:1
	s_waitcnt lgkmcnt(3)
	v_fma_f64 v[56:57], -v[26:27], v[56:57], v[70:71]
	v_mov_b32_e32 v70, s19
	s_sub_i32 s19, s25, 24
	s_add_i32 s18, s34, s38
	s_waitcnt lgkmcnt(0)
	v_fma_f64 v[12:13], -v[8:9], v[64:65], v[12:13]
	v_fma_f64 v[80:81], -v[48:49], v[52:53], v[66:67]
	v_mov_b32_e32 v84, s18
	s_add_i32 s18, s29, 0xffffff78
	v_fma_f64 v[56:57], -v[30:31], v[54:55], v[56:57]
	v_mov_b32_e32 v52, s18
	ds_read2_b64 v[52:55], v52 offset1:1
	s_add_i32 s18, s29, 0xffffff68
	v_fma_f64 v[12:13], -v[10:11], v[62:63], v[12:13]
	v_mov_b32_e32 v62, s19
	ds_read2_b64 v[62:65], v62 offset1:1
	s_sub_i32 s19, s25, 40
	v_fma_f64 v[60:61], -v[32:33], v[60:61], v[56:57]
	v_mov_b32_e32 v56, s19
	ds_read2_b64 v[74:77], v56 offset1:1
	v_mov_b32_e32 v56, s18
	s_waitcnt lgkmcnt(1)
	v_fma_f64 v[12:13], -v[14:15], v[64:65], v[12:13]
	ds_read2_b64 v[70:73], v70 offset1:1
	ds_read2_b64 v[64:67], v56 offset1:1
	v_fma_f64 v[80:81], -v[50:51], v[54:55], v[80:81]
	ds_read2_b64 v[54:57], v84 offset1:1
	v_fma_f64 v[84:85], -v[38:39], v[58:59], v[60:61]
	s_add_i32 s18, s30, 0xffffffa0
	v_mov_b32_e32 v58, s18
	v_fma_f64 v[12:13], -v[16:17], v[62:63], v[12:13]
	ds_read2_b64 v[58:61], v58 offset1:1
	s_add_i32 s18, s30, 0xffffff90
	v_mov_b32_e32 v62, s18
	s_waitcnt lgkmcnt(3)
	v_fma_f64 v[72:73], -v[28:29], v[72:73], v[78:79]
	v_fma_f64 v[52:53], -v[36:37], v[52:53], v[80:81]
	ds_read2_b64 v[78:81], v62 offset1:1
	s_waitcnt lgkmcnt(1)
	v_fma_f64 v[60:61], -v[40:41], v[60:61], v[84:85]
	v_fma_f64 v[12:13], -v[18:19], v[76:77], v[12:13]
	v_add_co_u32_e32 v62, vcc, s20, v106
	v_addc_co_u32_e32 v63, vcc, v107, v86, vcc
	s_sub_i32 s18, s25, 56
	global_store_dwordx2 v[62:63], v[36:37], off
	v_fma_f64 v[62:63], -v[42:43], v[58:59], v[60:61]
	v_fma_f64 v[12:13], -v[22:23], v[74:75], v[12:13]
	v_mov_b32_e32 v58, s18
	ds_read2_b64 v[58:61], v58 offset1:1
	v_mul_f64 v[82:83], v[68:69], v[82:83]
	v_fma_f64 v[70:71], -v[20:21], v[70:71], v[72:73]
	s_add_i32 s18, s25, 0xffffffb8
	v_mov_b32_e32 v76, s27
	v_fma_f64 v[52:53], -v[34:35], v[66:67], v[52:53]
	s_waitcnt lgkmcnt(0)
	v_fma_f64 v[12:13], -v[24:25], v[60:61], v[12:13]
	v_mov_b32_e32 v66, s18
	s_lshl_b32 s27, s4, 3
	s_lshl_b64 s[18:19], s[4:5], 3
	s_sub_i32 s4, s2, 26
	v_fma_f64 v[62:63], -v[44:45], v[80:81], v[62:63]
	v_add_co_u32_e32 v80, vcc, s26, v106
	v_fma_f64 v[12:13], -v[26:27], v[58:59], v[12:13]
	s_lshl_b32 s26, s4, 8
	s_add_i32 s34, s26, s3
	v_fma_f64 v[84:85], -v[82:83], v[56:57], v[70:71]
	v_mov_b32_e32 v56, s34
	ds_read2_b64 v[66:69], v66 offset1:1
	ds_read_b64 v[60:61], v56
	s_add_i32 s21, s34, -16
	v_mov_b32_e32 v56, s21
	ds_read2_b64 v[56:59], v56 offset1:1
	s_waitcnt lgkmcnt(2)
	v_fma_f64 v[12:13], -v[30:31], v[68:69], v[12:13]
	s_waitcnt lgkmcnt(1)
	v_fma_f64 v[6:7], -v[8:9], v[60:61], v[6:7]
	s_add_i32 s20, s30, 0xffffff80
	v_mov_b32_e32 v60, s20
	v_addc_co_u32_e32 v81, vcc, v107, v76, vcc
	v_fma_f64 v[76:77], -v[46:47], v[78:79], v[62:63]
	ds_read2_b64 v[60:63], v60 offset1:1
	v_fma_f64 v[12:13], -v[32:33], v[66:67], v[12:13]
	s_waitcnt lgkmcnt(1)
	v_fma_f64 v[6:7], -v[10:11], v[58:59], v[6:7]
	s_add_i32 s21, s25, 0xffffffa8
	v_fma_f64 v[52:53], -v[28:29], v[64:65], v[52:53]
	v_mov_b32_e32 v64, s21
	ds_read2_b64 v[64:67], v64 offset1:1
	s_add_i32 s21, s25, 0xffffff98
	v_mov_b32_e32 v58, s21
	s_add_i32 s20, s30, 0xffffff70
	ds_read2_b64 v[68:71], v58 offset1:1
	s_waitcnt lgkmcnt(1)
	v_fma_f64 v[12:13], -v[38:39], v[66:67], v[12:13]
	v_fma_f64 v[6:7], -v[14:15], v[56:57], v[6:7]
	v_mov_b32_e32 v58, s20
	s_sub_i32 s20, s34, 32
	v_mov_b32_e32 v56, s20
	ds_read2_b64 v[72:75], v58 offset1:1
	ds_read2_b64 v[56:59], v56 offset1:1
	s_sub_i32 s20, s34, 48
	v_fma_f64 v[66:67], -v[48:49], v[62:63], v[76:77]
	v_mov_b32_e32 v62, s20
	s_lshl_b32 s36, s4, 3
	s_lshl_b64 s[20:21], s[4:5], 3
	s_sub_i32 s4, s2, 27
	v_fma_f64 v[12:13], -v[40:41], v[64:65], v[12:13]
	ds_read2_b64 v[62:65], v62 offset1:1
	s_waitcnt lgkmcnt(1)
	v_fma_f64 v[6:7], -v[16:17], v[58:59], v[6:7]
	s_lshl_b32 s35, s4, 8
	s_add_i32 s3, s35, s3
	s_add_i32 s37, s3, -8
	v_mov_b32_e32 v58, s37
	ds_read2_b64 v[76:79], v58 offset1:1
	v_fma_f64 v[60:61], -v[50:51], v[60:61], v[66:67]
	s_sub_i32 s37, s3, 24
	v_fma_f64 v[6:7], -v[18:19], v[56:57], v[6:7]
	v_mov_b32_e32 v56, s37
	s_waitcnt lgkmcnt(0)
	v_fma_f64 v[8:9], -v[8:9], v[78:79], v[4:5]
	ds_read2_b64 v[56:59], v56 offset1:1
	v_fma_f64 v[12:13], -v[42:43], v[70:71], v[12:13]
	s_addk_i32 s29, 0xff58
	v_fma_f64 v[70:71], -v[36:37], v[74:75], v[60:61]
	s_add_i32 s28, s28, s31
	v_fma_f64 v[64:65], -v[22:23], v[64:65], v[6:7]
	s_sub_i32 s31, s34, 64
	v_fma_f64 v[66:67], -v[10:11], v[76:77], v[8:9]
	v_mov_b32_e32 v4, s29
	v_mov_b32_e32 v8, s31
	ds_read2_b64 v[4:7], v4 offset1:1
	ds_read2_b64 v[8:11], v8 offset1:1
	s_add_i32 s31, s34, 0xffffffb0
	v_fma_f64 v[60:61], -v[24:25], v[62:63], v[64:65]
	v_fma_f64 v[68:69], -v[44:45], v[68:69], v[12:13]
	s_waitcnt lgkmcnt(2)
	v_fma_f64 v[62:63], -v[14:15], v[58:59], v[66:67]
	s_add_i32 s29, s25, 0xffffff88
	v_mov_b32_e32 v12, s31
	s_sub_i32 s31, s3, 40
	v_mov_b32_e32 v58, s29
	ds_read2_b64 v[12:15], v12 offset1:1
	s_waitcnt lgkmcnt(1)
	v_fma_f64 v[10:11], -v[26:27], v[10:11], v[60:61]
	ds_read2_b64 v[58:61], v58 offset1:1
	v_fma_f64 v[16:17], -v[16:17], v[56:57], v[62:63]
	v_mov_b32_e32 v56, s31
	ds_read2_b64 v[62:65], v56 offset1:1
	s_sub_i32 s31, s3, 56
	s_waitcnt lgkmcnt(1)
	v_fma_f64 v[60:61], -v[46:47], v[60:61], v[68:69]
	v_fma_f64 v[52:53], -v[20:21], v[6:7], v[52:53]
	;; [unrolled: 1-line block ×3, first 2 shown]
	v_mov_b32_e32 v8, s31
	s_waitcnt lgkmcnt(0)
	v_fma_f64 v[74:75], -v[18:19], v[64:65], v[16:17]
	ds_read2_b64 v[8:11], v8 offset1:1
	s_add_i32 s29, s25, 0xffffff78
	v_mov_b32_e32 v16, s29
	v_fma_f64 v[60:61], -v[48:49], v[58:59], v[60:61]
	s_add_i32 s29, s34, 0xffffffa0
	v_fma_f64 v[14:15], -v[32:33], v[14:15], v[56:57]
	v_mov_b32_e32 v56, s28
	v_fma_f64 v[6:7], -v[22:23], v[62:63], v[74:75]
	ds_read2_b64 v[64:67], v56 offset1:1
	ds_read2_b64 v[16:19], v16 offset1:1
	s_add_i32 s28, s30, 0xffffff60
	v_fma_f64 v[68:69], -v[34:35], v[72:73], v[70:71]
	v_fma_f64 v[4:5], -v[82:83], v[4:5], v[52:53]
	;; [unrolled: 1-line block ×3, first 2 shown]
	v_mov_b32_e32 v12, s29
	s_waitcnt lgkmcnt(2)
	v_fma_f64 v[6:7], -v[24:25], v[10:11], v[6:7]
	ds_read2_b64 v[12:15], v12 offset1:1
	s_add_i32 s29, s34, 0xffffff90
	v_mov_b32_e32 v10, s29
	ds_read2_b64 v[22:25], v10 offset1:1
	s_add_i32 s29, s34, 0xffffff80
	s_waitcnt lgkmcnt(1)
	v_fma_f64 v[10:11], -v[40:41], v[14:15], v[56:57]
	v_mov_b32_e32 v14, s28
	ds_read2_b64 v[56:59], v14 offset1:1
	v_fma_f64 v[14:15], -v[50:51], v[18:19], v[60:61]
	v_fma_f64 v[18:19], -v[26:27], v[8:9], v[6:7]
	s_add_i32 s28, s3, 0xffffffb8
	v_mov_b32_e32 v6, s28
	ds_read2_b64 v[6:9], v6 offset1:1
	s_add_i32 s28, s3, 0xffffffa8
	v_fma_f64 v[26:27], -v[42:43], v[12:13], v[10:11]
	v_mov_b32_e32 v10, s28
	ds_read2_b64 v[10:13], v10 offset1:1
	s_waitcnt lgkmcnt(1)
	v_fma_f64 v[8:9], -v[30:31], v[8:9], v[18:19]
	s_add_i32 s28, s30, 0xffffff50
	v_mov_b32_e32 v18, s28
	ds_read2_b64 v[60:63], v18 offset1:1
	s_add_i32 s28, s25, 0xffffff68
	v_fma_f64 v[18:19], -v[44:45], v[24:25], v[26:27]
	v_fma_f64 v[30:31], -v[36:37], v[16:17], v[14:15]
	v_mov_b32_e32 v14, s29
	v_fma_f64 v[24:25], -v[32:33], v[6:7], v[8:9]
	v_mov_b32_e32 v6, s28
	ds_read2_b64 v[6:9], v6 offset1:1
	ds_read2_b64 v[14:17], v14 offset1:1
	s_add_i32 s28, s25, 0xffffff58
	v_fma_f64 v[18:19], -v[46:47], v[22:23], v[18:19]
	s_add_i32 s29, s34, 0xffffff70
	s_waitcnt lgkmcnt(1)
	v_fma_f64 v[30:31], -v[34:35], v[8:9], v[30:31]
	v_fma_f64 v[12:13], -v[38:39], v[12:13], v[24:25]
	v_mov_b32_e32 v22, s29
	ds_read2_b64 v[22:25], v22 offset1:1
	v_fma_f64 v[26:27], -v[28:29], v[58:59], v[68:69]
	global_store_dwordx2 v[80:81], v[34:35], off
	s_waitcnt lgkmcnt(1)
	v_fma_f64 v[32:33], -v[48:49], v[16:17], v[18:19]
	v_mov_b32_e32 v16, s28
	s_add_i32 s28, s3, 0xffffff98
	v_fma_f64 v[38:39], -v[40:41], v[10:11], v[12:13]
	v_mov_b32_e32 v8, s28
	ds_read2_b64 v[8:11], v8 offset1:1
	s_add_i32 s28, s3, 0xffffff88
	v_mov_b32_e32 v12, s28
	v_fma_f64 v[32:33], -v[50:51], v[14:15], v[32:33]
	ds_read2_b64 v[12:15], v12 offset1:1
	ds_read2_b64 v[16:19], v16 offset1:1
	s_waitcnt lgkmcnt(2)
	v_fma_f64 v[10:11], -v[42:43], v[10:11], v[38:39]
	v_mul_f64 v[38:39], v[54:55], v[84:85]
	v_fma_f64 v[6:7], -v[28:29], v[6:7], v[30:31]
	v_mov_b32_e32 v40, s7
	v_fma_f64 v[26:27], -v[20:21], v[56:57], v[26:27]
	v_fma_f64 v[24:25], -v[36:37], v[24:25], v[32:33]
	s_add_i32 s7, s3, 0xffffff48
	s_sub_i32 s2, s2, 28
	v_fma_f64 v[8:9], -v[44:45], v[8:9], v[10:11]
	v_add_co_u32_e32 v10, vcc, s6, v106
	s_add_i32 s6, s34, 0xffffff60
	v_fma_f64 v[30:31], -v[38:39], v[66:67], v[4:5]
	v_fma_f64 v[22:23], -v[34:35], v[22:23], v[24:25]
	v_mov_b32_e32 v4, s6
	s_add_i32 s6, s34, 0xffffff50
	s_waitcnt lgkmcnt(1)
	v_fma_f64 v[14:15], -v[46:47], v[14:15], v[8:9]
	v_addc_co_u32_e32 v11, vcc, v107, v40, vcc
	v_mov_b32_e32 v8, s6
	s_add_i32 s6, s3, 0xffffff78
	global_store_dwordx2 v[10:11], v[28:29], off
	s_waitcnt lgkmcnt(0)
	v_fma_f64 v[18:19], -v[20:21], v[18:19], v[6:7]
	ds_read2_b64 v[4:7], v4 offset1:1
	ds_read2_b64 v[8:11], v8 offset1:1
	v_fma_f64 v[32:33], -v[48:49], v[12:13], v[14:15]
	v_mov_b32_e32 v12, s6
	ds_read2_b64 v[12:15], v12 offset1:1
	s_add_i32 s6, s3, 0xffffff68
	s_waitcnt lgkmcnt(2)
	v_fma_f64 v[6:7], -v[28:29], v[6:7], v[22:23]
	v_mov_b32_e32 v22, s6
	ds_read2_b64 v[22:25], v22 offset1:1
	v_fma_f64 v[26:27], -v[82:83], v[62:63], v[26:27]
	s_waitcnt lgkmcnt(1)
	v_fma_f64 v[14:15], -v[50:51], v[14:15], v[32:33]
	v_fma_f64 v[16:17], -v[82:83], v[16:17], v[18:19]
	s_add_i32 s6, s25, 0xffffff48
	v_mul_f64 v[30:31], v[64:65], v[30:31]
	v_fma_f64 v[18:19], -v[20:21], v[4:5], v[6:7]
	v_mov_b32_e32 v41, s6
	ds_read2_b64 v[4:7], v41 offset1:1
	v_fma_f64 v[26:27], -v[38:39], v[60:61], v[26:27]
	v_fma_f64 v[32:33], -v[36:37], v[12:13], v[14:15]
	v_mov_b32_e32 v40, s15
	s_add_i32 s6, s24, s27
	s_waitcnt lgkmcnt(0)
	v_fma_f64 v[6:7], -v[38:39], v[6:7], v[16:17]
	v_fma_f64 v[10:11], -v[82:83], v[10:11], v[18:19]
	v_add_co_u32_e32 v18, vcc, s14, v106
	v_fma_f64 v[2:3], -v[30:31], v[2:3], v[26:27]
	v_fma_f64 v[16:17], -v[34:35], v[24:25], v[32:33]
	v_mov_b32_e32 v12, s6
	v_addc_co_u32_e32 v19, vcc, v107, v40, vcc
	v_fma_f64 v[26:27], -v[38:39], v[8:9], v[10:11]
	s_add_i32 s6, s3, 0xffffff58
	global_store_dwordx2 v[18:19], v[20:21], off
	v_mul_f64 v[18:19], v[0:1], v[2:3]
	v_fma_f64 v[8:9], -v[28:29], v[22:23], v[16:17]
	v_mov_b32_e32 v0, s6
	ds_read2_b64 v[0:3], v0 offset1:1
	v_fma_f64 v[24:25], -v[30:31], v[4:5], v[6:7]
	v_mov_b32_e32 v4, s7
	ds_read2_b64 v[4:7], v4 offset1:1
	s_add_i32 s6, s34, 0xffffff40
	ds_read2_b64 v[12:15], v12 offset1:1
	s_waitcnt lgkmcnt(2)
	v_fma_f64 v[2:3], -v[20:21], v[2:3], v[8:9]
	v_mov_b32_e32 v8, s6
	ds_read2_b64 v[8:11], v8 offset1:1
	v_mov_b32_e32 v32, s23
	s_waitcnt lgkmcnt(1)
	v_fma_f64 v[20:21], -v[18:19], v[14:15], v[24:25]
	s_add_i32 s6, s26, s36
	v_mov_b32_e32 v14, s6
	s_waitcnt lgkmcnt(0)
	v_fma_f64 v[10:11], -v[30:31], v[10:11], v[26:27]
	v_fma_f64 v[0:1], -v[82:83], v[0:1], v[2:3]
	v_add_co_u32_e32 v2, vcc, s22, v106
	v_addc_co_u32_e32 v3, vcc, v107, v32, vcc
	global_store_dwordx2 v[2:3], v[82:83], off
	v_mul_f64 v[12:13], v[12:13], v[20:21]
	v_fma_f64 v[2:3], -v[18:19], v[8:9], v[10:11]
	v_fma_f64 v[0:1], -v[38:39], v[6:7], v[0:1]
	ds_read2_b64 v[14:17], v14 offset1:1
	s_addk_i32 s3, 0xff38
	v_mov_b32_e32 v7, s17
	v_add_co_u32_e32 v6, vcc, s16, v106
	v_addc_co_u32_e32 v7, vcc, v107, v7, vcc
	v_fma_f64 v[10:11], -v[30:31], v[4:5], v[0:1]
	v_mov_b32_e32 v0, s3
	s_waitcnt lgkmcnt(0)
	v_fma_f64 v[8:9], -v[12:13], v[16:17], v[2:3]
	ds_read2_b64 v[0:3], v0 offset1:1
	s_lshl_b32 s3, s4, 3
	s_add_i32 s3, s35, s3
	v_mov_b32_e32 v4, s3
	global_store_dwordx2 v[6:7], v[38:39], off
	ds_read2_b64 v[4:7], v4 offset1:1
	s_waitcnt lgkmcnt(1)
	v_fma_f64 v[2:3], -v[18:19], v[2:3], v[10:11]
	v_mul_f64 v[8:9], v[14:15], v[8:9]
	v_mov_b32_e32 v11, s9
	v_add_co_u32_e32 v10, vcc, s8, v106
	v_addc_co_u32_e32 v11, vcc, v107, v11, vcc
	s_lshl_b64 s[4:5], s[4:5], 3
	v_fma_f64 v[0:1], -v[12:13], v[0:1], v[2:3]
	v_mov_b32_e32 v3, s13
	v_add_co_u32_e32 v2, vcc, s12, v106
	v_addc_co_u32_e32 v3, vcc, v107, v3, vcc
	global_store_dwordx2 v[2:3], v[18:19], off
	v_mov_b32_e32 v3, s19
	s_waitcnt lgkmcnt(0)
	v_fma_f64 v[0:1], -v[8:9], v[6:7], v[0:1]
	v_add_co_u32_e32 v2, vcc, s18, v106
	v_addc_co_u32_e32 v3, vcc, v107, v3, vcc
	global_store_dwordx2 v[2:3], v[12:13], off
	v_mov_b32_e32 v3, s21
	v_add_co_u32_e32 v2, vcc, s20, v106
	v_mul_f64 v[0:1], v[4:5], v[0:1]
	v_addc_co_u32_e32 v3, vcc, v107, v3, vcc
	global_store_dwordx2 v[2:3], v[8:9], off
	v_mov_b32_e32 v3, s5
	v_add_co_u32_e32 v2, vcc, s4, v106
	v_addc_co_u32_e32 v3, vcc, v107, v3, vcc
	global_store_dwordx2 v[10:11], v[30:31], off
	global_store_dwordx2 v[2:3], v[0:1], off
.LBB105_16:
	s_cmp_lt_i32 s2, 0
	s_cbranch_scc1 .LBB105_29
; %bb.17:
	s_bitcmp1_b32 s2, 0
	s_cselect_b64 s[4:5], -1, 0
	s_and_b64 vcc, exec, s[4:5]
	s_mov_b32 s4, s2
	s_cbranch_vccnz .LBB105_22
; %bb.18:
	s_mov_b32 s5, 0
	s_mov_b32 s3, s5
	s_lshl_b64 s[6:7], s[2:3], 3
	v_mov_b32_e32 v1, s7
	v_add_co_u32_e32 v0, vcc, s6, v106
	v_addc_co_u32_e32 v1, vcc, v107, v1, vcc
	global_load_dwordx2 v[2:3], v[0:1], off
	s_cmp_le_i32 s11, s2
	s_waitcnt vmcnt(0)
	v_mul_f64 v[2:3], s[0:1], v[2:3]
	s_cbranch_scc1 .LBB105_21
; %bb.19:
	s_lshl_b32 s3, s2, 8
	s_lshl_b32 s4, s33, 3
	s_add_i32 s3, s3, s4
	s_add_i32 s3, s3, -8
	s_mov_b32 s4, s11
.LBB105_20:                             ; =>This Inner Loop Header: Depth=1
	s_lshl_b64 s[6:7], s[4:5], 3
	v_mov_b32_e32 v5, s7
	v_add_co_u32_e32 v4, vcc, s6, v106
	v_addc_co_u32_e32 v5, vcc, v107, v5, vcc
	global_load_dwordx2 v[4:5], v[4:5], off
	v_mov_b32_e32 v6, s3
	ds_read_b64 v[6:7], v6
	s_add_i32 s4, s4, -1
	s_add_i32 s3, s3, -8
	s_cmp_gt_i32 s4, s2
	s_waitcnt vmcnt(0) lgkmcnt(0)
	v_fma_f64 v[2:3], -v[4:5], v[6:7], v[2:3]
	s_cbranch_scc1 .LBB105_20
.LBB105_21:
	s_mul_i32 s3, s2, 0x108
	v_mov_b32_e32 v4, s3
	ds_read_b64 v[4:5], v4
	s_add_i32 s4, s2, -1
	s_waitcnt lgkmcnt(0)
	v_mul_f64 v[2:3], v[4:5], v[2:3]
	global_store_dwordx2 v[0:1], v[2:3], off
.LBB105_22:
	s_cmp_eq_u32 s2, 0
	s_mov_b32 s3, 0
	s_cbranch_scc1 .LBB105_29
; %bb.23:
	s_lshl_b32 s2, s4, 8
	s_lshl_b32 s5, s33, 3
	s_add_i32 s2, s2, s5
	s_add_i32 s6, s2, -8
	s_add_i32 s7, s2, 0xfffffef8
	s_branch .LBB105_25
.LBB105_24:                             ;   in Loop: Header=BB105_25 Depth=1
	s_add_i32 s2, s5, 0xfffffef8
	v_mov_b32_e32 v0, s2
	ds_read_b64 v[0:1], v0
	s_add_i32 s2, s4, -2
	s_addk_i32 s6, 0xfe00
	s_addk_i32 s7, 0xfe00
	s_cmp_lt_i32 s4, 2
	s_waitcnt lgkmcnt(0)
	v_mul_f64 v[0:1], v[0:1], v[4:5]
	s_mov_b32 s4, s2
	global_store_dwordx2 v[2:3], v[0:1], off
	s_cbranch_scc1 .LBB105_29
.LBB105_25:                             ; =>This Loop Header: Depth=1
                                        ;     Child Loop BB105_26 Depth 2
                                        ;     Child Loop BB105_28 Depth 2
	s_mov_b32 s5, s3
	s_lshl_b64 s[8:9], s[4:5], 3
	v_mov_b32_e32 v1, s9
	v_add_co_u32_e32 v0, vcc, s8, v106
	v_addc_co_u32_e32 v1, vcc, v107, v1, vcc
	global_load_dwordx2 v[2:3], v[0:1], off
	s_cmp_le_i32 s11, s4
	s_mov_b32 s5, s6
	s_mov_b32 s2, s11
	s_waitcnt vmcnt(0)
	v_mul_f64 v[4:5], s[0:1], v[2:3]
	s_cbranch_scc1 .LBB105_27
.LBB105_26:                             ;   Parent Loop BB105_25 Depth=1
                                        ; =>  This Inner Loop Header: Depth=2
	s_lshl_b64 s[8:9], s[2:3], 3
	v_mov_b32_e32 v3, s9
	v_add_co_u32_e32 v2, vcc, s8, v106
	v_addc_co_u32_e32 v3, vcc, v107, v3, vcc
	global_load_dwordx2 v[2:3], v[2:3], off
	v_mov_b32_e32 v6, s5
	ds_read_b64 v[6:7], v6
	s_add_i32 s2, s2, -1
	s_add_i32 s5, s5, -8
	s_cmp_gt_i32 s2, s4
	s_waitcnt vmcnt(0) lgkmcnt(0)
	v_fma_f64 v[4:5], -v[2:3], v[6:7], v[4:5]
	s_cbranch_scc1 .LBB105_26
.LBB105_27:                             ;   in Loop: Header=BB105_25 Depth=1
	s_add_i32 s2, s4, -1
	s_lshl_b64 s[8:9], s[2:3], 3
	v_mov_b32_e32 v3, s9
	v_add_co_u32_e32 v2, vcc, s8, v106
	v_addc_co_u32_e32 v3, vcc, v107, v3, vcc
	global_load_dwordx2 v[6:7], v[2:3], off
	s_mul_i32 s5, s4, 0x108
	v_mov_b32_e32 v8, s5
	ds_read_b64 v[8:9], v8
	s_cmp_le_i32 s33, s4
	s_mov_b32 s8, s7
	s_mov_b32 s2, s33
	s_waitcnt lgkmcnt(0)
	v_mul_f64 v[8:9], v[8:9], v[4:5]
	global_store_dwordx2 v[0:1], v[8:9], off
	s_waitcnt vmcnt(1)
	v_mul_f64 v[4:5], s[0:1], v[6:7]
	s_cbranch_scc1 .LBB105_24
.LBB105_28:                             ;   Parent Loop BB105_25 Depth=1
                                        ; =>  This Inner Loop Header: Depth=2
	s_add_i32 s2, s2, -1
	s_lshl_b64 s[12:13], s[2:3], 3
	v_mov_b32_e32 v1, s13
	v_add_co_u32_e32 v0, vcc, s12, v106
	v_addc_co_u32_e32 v1, vcc, v107, v1, vcc
	global_load_dwordx2 v[0:1], v[0:1], off
	v_mov_b32_e32 v6, s8
	ds_read_b64 v[6:7], v6
	s_add_i32 s8, s8, -8
	s_cmp_gt_i32 s2, s4
	s_waitcnt vmcnt(0) lgkmcnt(0)
	v_fma_f64 v[4:5], -v[0:1], v[6:7], v[4:5]
	s_cbranch_scc1 .LBB105_28
	s_branch .LBB105_24
.LBB105_29:
	s_mov_b64 s[2:3], 0
.LBB105_30:
	s_and_b64 vcc, exec, s[2:3]
	s_cbranch_vccz .LBB105_44
; %bb.31:
	s_cmp_gt_i32 s10, 31
	s_cselect_b64 s[2:3], -1, 0
	s_mov_b32 s4, 0
	s_and_b64 vcc, exec, s[2:3]
	s_cbranch_vccz .LBB105_33
; %bb.32:
	global_load_dwordx4 v[16:19], v[106:107], off offset:48
	global_load_dwordx4 v[12:15], v[106:107], off offset:32
	;; [unrolled: 1-line block ×3, first 2 shown]
	global_load_dwordx4 v[4:7], v[106:107], off
	v_mov_b32_e32 v108, 0
	global_load_dwordx4 v[32:35], v[106:107], off offset:112
	global_load_dwordx4 v[28:31], v[106:107], off offset:96
	;; [unrolled: 1-line block ×12, first 2 shown]
	ds_read_b128 v[64:67], v108
	ds_read_b128 v[68:71], v108 offset:16
	ds_read_b128 v[72:75], v108 offset:32
	s_movk_i32 s4, 0x1f8
	s_waitcnt vmcnt(12)
	v_mul_f64 v[4:5], s[0:1], v[4:5]
	s_waitcnt lgkmcnt(2)
	v_mul_f64 v[4:5], v[64:65], v[4:5]
	v_mul_f64 v[64:65], v[4:5], v[66:67]
	v_fma_f64 v[6:7], s[0:1], v[6:7], -v[64:65]
	ds_read2_b64 v[64:67], v108 offset0:33 offset1:34
	s_waitcnt lgkmcnt(0)
	v_mul_f64 v[6:7], v[64:65], v[6:7]
	v_mul_f64 v[64:65], v[4:5], v[68:69]
	global_store_dwordx4 v[106:107], v[4:7], off
	v_fma_f64 v[8:9], s[0:1], v[8:9], -v[64:65]
	v_fma_f64 v[8:9], -v[6:7], v[66:67], v[8:9]
	ds_read_b128 v[64:67], v108 offset:528
	s_waitcnt lgkmcnt(0)
	v_mul_f64 v[8:9], v[64:65], v[8:9]
	v_mul_f64 v[64:65], v[4:5], v[70:71]
	ds_read2_b64 v[68:71], v108 offset0:35 offset1:36
	v_fma_f64 v[10:11], s[0:1], v[10:11], -v[64:65]
	s_waitcnt lgkmcnt(0)
	v_fma_f64 v[10:11], -v[6:7], v[68:69], v[10:11]
	v_fma_f64 v[10:11], -v[8:9], v[66:67], v[10:11]
	ds_read2_b64 v[64:67], v108 offset0:99 offset1:100
	s_waitcnt lgkmcnt(0)
	v_mul_f64 v[10:11], v[64:65], v[10:11]
	v_mul_f64 v[64:65], v[4:5], v[72:73]
	global_store_dwordx4 v[106:107], v[8:11], off offset:16
	v_fma_f64 v[12:13], s[0:1], v[12:13], -v[64:65]
	v_fma_f64 v[12:13], -v[6:7], v[70:71], v[12:13]
	ds_read_b128 v[68:71], v108 offset:544
	s_waitcnt lgkmcnt(0)
	v_fma_f64 v[12:13], -v[8:9], v[68:69], v[12:13]
	v_fma_f64 v[12:13], -v[10:11], v[66:67], v[12:13]
	ds_read_b128 v[64:67], v108 offset:1056
	s_waitcnt lgkmcnt(0)
	v_mul_f64 v[12:13], v[64:65], v[12:13]
	v_mul_f64 v[64:65], v[4:5], v[74:75]
	ds_read2_b64 v[72:75], v108 offset0:37 offset1:38
	v_fma_f64 v[14:15], s[0:1], v[14:15], -v[64:65]
	s_waitcnt lgkmcnt(0)
	v_fma_f64 v[14:15], -v[6:7], v[72:73], v[14:15]
	v_fma_f64 v[14:15], -v[8:9], v[70:71], v[14:15]
	ds_read2_b64 v[68:71], v108 offset0:101 offset1:102
	s_waitcnt lgkmcnt(0)
	v_fma_f64 v[14:15], -v[10:11], v[68:69], v[14:15]
	v_fma_f64 v[14:15], -v[12:13], v[66:67], v[14:15]
	ds_read2_b64 v[64:67], v108 offset0:165 offset1:166
	s_waitcnt lgkmcnt(0)
	v_mul_f64 v[14:15], v[64:65], v[14:15]
	global_store_dwordx4 v[106:107], v[12:15], off offset:32
	ds_read_b128 v[76:79], v108 offset:48
	ds_read_b128 v[80:83], v108 offset:64
	s_waitcnt lgkmcnt(1)
	v_mul_f64 v[64:65], v[4:5], v[76:77]
	v_fma_f64 v[16:17], s[0:1], v[16:17], -v[64:65]
	v_fma_f64 v[16:17], -v[6:7], v[74:75], v[16:17]
	ds_read_b128 v[72:75], v108 offset:560
	s_waitcnt lgkmcnt(0)
	v_fma_f64 v[16:17], -v[8:9], v[72:73], v[16:17]
	v_fma_f64 v[16:17], -v[10:11], v[70:71], v[16:17]
	ds_read_b128 v[68:71], v108 offset:1072
	s_waitcnt lgkmcnt(0)
	v_fma_f64 v[16:17], -v[12:13], v[68:69], v[16:17]
	v_fma_f64 v[16:17], -v[14:15], v[66:67], v[16:17]
	ds_read_b128 v[64:67], v108 offset:1584
	s_waitcnt lgkmcnt(0)
	v_mul_f64 v[16:17], v[64:65], v[16:17]
	v_mul_f64 v[64:65], v[4:5], v[78:79]
	ds_read2_b64 v[76:79], v108 offset0:39 offset1:40
	v_fma_f64 v[18:19], s[0:1], v[18:19], -v[64:65]
	s_waitcnt lgkmcnt(0)
	v_fma_f64 v[18:19], -v[6:7], v[76:77], v[18:19]
	v_fma_f64 v[18:19], -v[8:9], v[74:75], v[18:19]
	ds_read2_b64 v[72:75], v108 offset0:103 offset1:104
	s_waitcnt lgkmcnt(0)
	v_fma_f64 v[18:19], -v[10:11], v[72:73], v[18:19]
	v_fma_f64 v[18:19], -v[12:13], v[70:71], v[18:19]
	ds_read2_b64 v[68:71], v108 offset0:167 offset1:168
	;; [unrolled: 4-line block ×3, first 2 shown]
	s_waitcnt lgkmcnt(0)
	v_mul_f64 v[18:19], v[64:65], v[18:19]
	v_mul_f64 v[64:65], v[4:5], v[80:81]
	global_store_dwordx4 v[106:107], v[16:19], off offset:48
	s_waitcnt vmcnt(12)
	v_fma_f64 v[20:21], s[0:1], v[20:21], -v[64:65]
	v_fma_f64 v[20:21], -v[6:7], v[78:79], v[20:21]
	ds_read_b128 v[76:79], v108 offset:576
	s_waitcnt lgkmcnt(0)
	v_fma_f64 v[20:21], -v[8:9], v[76:77], v[20:21]
	v_fma_f64 v[20:21], -v[10:11], v[74:75], v[20:21]
	ds_read_b128 v[72:75], v108 offset:1088
	s_waitcnt lgkmcnt(0)
	v_fma_f64 v[20:21], -v[12:13], v[72:73], v[20:21]
	;; [unrolled: 4-line block ×3, first 2 shown]
	v_fma_f64 v[20:21], -v[18:19], v[66:67], v[20:21]
	ds_read_b128 v[64:67], v108 offset:2112
	s_waitcnt lgkmcnt(0)
	v_mul_f64 v[20:21], v[64:65], v[20:21]
	v_mul_f64 v[64:65], v[4:5], v[82:83]
	ds_read2_b64 v[80:83], v108 offset0:41 offset1:42
	v_fma_f64 v[22:23], s[0:1], v[22:23], -v[64:65]
	v_mov_b32_e32 v64, 0x948
	s_waitcnt lgkmcnt(0)
	v_fma_f64 v[22:23], -v[6:7], v[80:81], v[22:23]
	v_fma_f64 v[22:23], -v[8:9], v[78:79], v[22:23]
	ds_read2_b64 v[76:79], v108 offset0:105 offset1:106
	s_waitcnt lgkmcnt(0)
	v_fma_f64 v[22:23], -v[10:11], v[76:77], v[22:23]
	v_fma_f64 v[22:23], -v[12:13], v[74:75], v[22:23]
	ds_read2_b64 v[72:75], v108 offset0:169 offset1:170
	;; [unrolled: 4-line block ×3, first 2 shown]
	s_waitcnt lgkmcnt(0)
	v_fma_f64 v[22:23], -v[18:19], v[68:69], v[22:23]
	v_fma_f64 v[22:23], -v[20:21], v[66:67], v[22:23]
	ds_read2_b64 v[64:67], v64 offset1:1
	s_waitcnt lgkmcnt(0)
	v_mul_f64 v[22:23], v[64:65], v[22:23]
	global_store_dwordx4 v[106:107], v[20:23], off offset:64
	ds_read_b128 v[84:87], v108 offset:80
	ds_read_b128 v[88:91], v108 offset:96
	;; [unrolled: 1-line block ×5, first 2 shown]
	s_waitcnt lgkmcnt(4)
	v_mul_f64 v[64:65], v[4:5], v[84:85]
	ds_read_b128 v[109:112], v108 offset:160
	ds_read_b128 v[113:116], v108 offset:176
	;; [unrolled: 1-line block ×5, first 2 shown]
	v_fma_f64 v[24:25], s[0:1], v[24:25], -v[64:65]
	v_fma_f64 v[24:25], -v[6:7], v[82:83], v[24:25]
	ds_read_b128 v[80:83], v108 offset:592
	s_waitcnt lgkmcnt(0)
	v_fma_f64 v[24:25], -v[8:9], v[80:81], v[24:25]
	v_fma_f64 v[24:25], -v[10:11], v[78:79], v[24:25]
	ds_read_b128 v[76:79], v108 offset:1104
	s_waitcnt lgkmcnt(0)
	v_fma_f64 v[24:25], -v[12:13], v[76:77], v[24:25]
	;; [unrolled: 4-line block ×4, first 2 shown]
	v_fma_f64 v[24:25], -v[22:23], v[66:67], v[24:25]
	ds_read_b128 v[64:67], v108 offset:2640
	s_waitcnt lgkmcnt(0)
	v_mul_f64 v[24:25], v[64:65], v[24:25]
	v_mul_f64 v[64:65], v[4:5], v[86:87]
	ds_read2_b64 v[84:87], v108 offset0:43 offset1:44
	v_fma_f64 v[26:27], s[0:1], v[26:27], -v[64:65]
	v_mov_b32_e32 v64, 0x958
	s_waitcnt lgkmcnt(0)
	v_fma_f64 v[26:27], -v[6:7], v[84:85], v[26:27]
	v_fma_f64 v[26:27], -v[8:9], v[82:83], v[26:27]
	ds_read2_b64 v[80:83], v108 offset0:107 offset1:108
	s_waitcnt lgkmcnt(0)
	v_fma_f64 v[26:27], -v[10:11], v[80:81], v[26:27]
	v_fma_f64 v[26:27], -v[12:13], v[78:79], v[26:27]
	ds_read2_b64 v[76:79], v108 offset0:171 offset1:172
	;; [unrolled: 4-line block ×3, first 2 shown]
	s_waitcnt lgkmcnt(0)
	v_fma_f64 v[26:27], -v[18:19], v[72:73], v[26:27]
	v_fma_f64 v[26:27], -v[20:21], v[70:71], v[26:27]
	ds_read2_b64 v[68:71], v64 offset1:1
	v_mov_b32_e32 v64, 0xb58
	s_waitcnt lgkmcnt(0)
	v_fma_f64 v[26:27], -v[22:23], v[68:69], v[26:27]
	v_fma_f64 v[26:27], -v[24:25], v[66:67], v[26:27]
	ds_read2_b64 v[64:67], v64 offset1:1
	s_waitcnt lgkmcnt(0)
	v_mul_f64 v[26:27], v[64:65], v[26:27]
	v_mul_f64 v[64:65], v[4:5], v[88:89]
	global_store_dwordx4 v[106:107], v[24:27], off offset:80
	v_fma_f64 v[28:29], s[0:1], v[28:29], -v[64:65]
	v_fma_f64 v[28:29], -v[6:7], v[86:87], v[28:29]
	ds_read_b128 v[84:87], v108 offset:608
	s_waitcnt lgkmcnt(0)
	v_fma_f64 v[28:29], -v[8:9], v[84:85], v[28:29]
	v_fma_f64 v[28:29], -v[10:11], v[82:83], v[28:29]
	ds_read_b128 v[80:83], v108 offset:1120
	s_waitcnt lgkmcnt(0)
	v_fma_f64 v[28:29], -v[12:13], v[80:81], v[28:29]
	;; [unrolled: 4-line block ×5, first 2 shown]
	v_fma_f64 v[28:29], -v[26:27], v[66:67], v[28:29]
	ds_read_b128 v[64:67], v108 offset:3168
	s_waitcnt lgkmcnt(0)
	v_mul_f64 v[28:29], v[64:65], v[28:29]
	v_mul_f64 v[64:65], v[4:5], v[90:91]
	ds_read2_b64 v[88:91], v108 offset0:45 offset1:46
	v_fma_f64 v[30:31], s[0:1], v[30:31], -v[64:65]
	v_mov_b32_e32 v64, 0x968
	s_waitcnt lgkmcnt(0)
	v_fma_f64 v[30:31], -v[6:7], v[88:89], v[30:31]
	v_fma_f64 v[30:31], -v[8:9], v[86:87], v[30:31]
	ds_read2_b64 v[84:87], v108 offset0:109 offset1:110
	s_waitcnt lgkmcnt(0)
	v_fma_f64 v[30:31], -v[10:11], v[84:85], v[30:31]
	v_fma_f64 v[30:31], -v[12:13], v[82:83], v[30:31]
	ds_read2_b64 v[80:83], v108 offset0:173 offset1:174
	;; [unrolled: 4-line block ×3, first 2 shown]
	s_waitcnt lgkmcnt(0)
	v_fma_f64 v[30:31], -v[18:19], v[76:77], v[30:31]
	v_fma_f64 v[30:31], -v[20:21], v[74:75], v[30:31]
	ds_read2_b64 v[72:75], v64 offset1:1
	v_mov_b32_e32 v64, 0xb68
	s_waitcnt lgkmcnt(0)
	v_fma_f64 v[30:31], -v[22:23], v[72:73], v[30:31]
	v_fma_f64 v[30:31], -v[24:25], v[70:71], v[30:31]
	ds_read2_b64 v[68:71], v64 offset1:1
	v_mov_b32_e32 v64, 0xd68
	s_waitcnt lgkmcnt(0)
	v_fma_f64 v[30:31], -v[26:27], v[68:69], v[30:31]
	v_fma_f64 v[30:31], -v[28:29], v[66:67], v[30:31]
	ds_read2_b64 v[64:67], v64 offset1:1
	s_waitcnt lgkmcnt(0)
	v_mul_f64 v[30:31], v[64:65], v[30:31]
	v_mul_f64 v[64:65], v[4:5], v[92:93]
	global_store_dwordx4 v[106:107], v[28:31], off offset:96
	v_fma_f64 v[32:33], s[0:1], v[32:33], -v[64:65]
	v_fma_f64 v[32:33], -v[6:7], v[90:91], v[32:33]
	ds_read_b128 v[88:91], v108 offset:624
	s_waitcnt lgkmcnt(0)
	v_fma_f64 v[32:33], -v[8:9], v[88:89], v[32:33]
	v_fma_f64 v[32:33], -v[10:11], v[86:87], v[32:33]
	ds_read_b128 v[84:87], v108 offset:1136
	s_waitcnt lgkmcnt(0)
	v_fma_f64 v[32:33], -v[12:13], v[84:85], v[32:33]
	;; [unrolled: 4-line block ×6, first 2 shown]
	v_fma_f64 v[32:33], -v[30:31], v[66:67], v[32:33]
	ds_read_b128 v[64:67], v108 offset:3696
	s_waitcnt lgkmcnt(0)
	v_mul_f64 v[32:33], v[64:65], v[32:33]
	v_mul_f64 v[64:65], v[4:5], v[94:95]
	ds_read2_b64 v[92:95], v108 offset0:47 offset1:48
	v_fma_f64 v[34:35], s[0:1], v[34:35], -v[64:65]
	v_mov_b32_e32 v64, 0x978
	s_waitcnt lgkmcnt(0)
	v_fma_f64 v[34:35], -v[6:7], v[92:93], v[34:35]
	v_fma_f64 v[34:35], -v[8:9], v[90:91], v[34:35]
	ds_read2_b64 v[88:91], v108 offset0:111 offset1:112
	s_waitcnt lgkmcnt(0)
	v_fma_f64 v[34:35], -v[10:11], v[88:89], v[34:35]
	v_fma_f64 v[34:35], -v[12:13], v[86:87], v[34:35]
	ds_read2_b64 v[84:87], v108 offset0:175 offset1:176
	;; [unrolled: 4-line block ×3, first 2 shown]
	s_waitcnt lgkmcnt(0)
	v_fma_f64 v[34:35], -v[18:19], v[80:81], v[34:35]
	v_fma_f64 v[34:35], -v[20:21], v[78:79], v[34:35]
	ds_read2_b64 v[76:79], v64 offset1:1
	v_mov_b32_e32 v64, 0xb78
	s_waitcnt lgkmcnt(0)
	v_fma_f64 v[34:35], -v[22:23], v[76:77], v[34:35]
	v_fma_f64 v[34:35], -v[24:25], v[74:75], v[34:35]
	ds_read2_b64 v[72:75], v64 offset1:1
	v_mov_b32_e32 v64, 0xd78
	;; [unrolled: 5-line block ×3, first 2 shown]
	s_waitcnt lgkmcnt(0)
	v_fma_f64 v[34:35], -v[30:31], v[68:69], v[34:35]
	v_fma_f64 v[34:35], -v[32:33], v[66:67], v[34:35]
	ds_read2_b64 v[64:67], v64 offset1:1
	s_waitcnt lgkmcnt(0)
	v_mul_f64 v[34:35], v[64:65], v[34:35]
	v_mul_f64 v[64:65], v[4:5], v[96:97]
	global_store_dwordx4 v[106:107], v[32:35], off offset:112
	s_waitcnt vmcnt(12)
	v_fma_f64 v[36:37], s[0:1], v[36:37], -v[64:65]
	v_fma_f64 v[36:37], -v[6:7], v[94:95], v[36:37]
	ds_read_b128 v[92:95], v108 offset:640
	s_waitcnt lgkmcnt(0)
	v_fma_f64 v[36:37], -v[8:9], v[92:93], v[36:37]
	v_fma_f64 v[36:37], -v[10:11], v[90:91], v[36:37]
	ds_read_b128 v[88:91], v108 offset:1152
	s_waitcnt lgkmcnt(0)
	v_fma_f64 v[36:37], -v[12:13], v[88:89], v[36:37]
	v_fma_f64 v[36:37], -v[14:15], v[86:87], v[36:37]
	ds_read_b128 v[84:87], v108 offset:1664
	s_waitcnt lgkmcnt(0)
	v_fma_f64 v[36:37], -v[16:17], v[84:85], v[36:37]
	v_fma_f64 v[36:37], -v[18:19], v[82:83], v[36:37]
	ds_read_b128 v[80:83], v108 offset:2176
	s_waitcnt lgkmcnt(0)
	v_fma_f64 v[36:37], -v[20:21], v[80:81], v[36:37]
	v_fma_f64 v[36:37], -v[22:23], v[78:79], v[36:37]
	ds_read_b128 v[76:79], v108 offset:2688
	s_waitcnt lgkmcnt(0)
	v_fma_f64 v[36:37], -v[24:25], v[76:77], v[36:37]
	v_fma_f64 v[36:37], -v[26:27], v[74:75], v[36:37]
	ds_read_b128 v[72:75], v108 offset:3200
	s_waitcnt lgkmcnt(0)
	v_fma_f64 v[36:37], -v[28:29], v[72:73], v[36:37]
	v_fma_f64 v[36:37], -v[30:31], v[70:71], v[36:37]
	ds_read_b128 v[68:71], v108 offset:3712
	s_waitcnt lgkmcnt(0)
	v_fma_f64 v[36:37], -v[32:33], v[68:69], v[36:37]
	v_fma_f64 v[36:37], -v[34:35], v[66:67], v[36:37]
	ds_read_b128 v[64:67], v108 offset:4224
	s_waitcnt lgkmcnt(0)
	v_mul_f64 v[36:37], v[64:65], v[36:37]
	v_mul_f64 v[64:65], v[4:5], v[98:99]
	ds_read2_b64 v[96:99], v108 offset0:49 offset1:50
	v_fma_f64 v[38:39], s[0:1], v[38:39], -v[64:65]
	v_mov_b32_e32 v64, 0x988
	s_waitcnt lgkmcnt(0)
	v_fma_f64 v[38:39], -v[6:7], v[96:97], v[38:39]
	v_fma_f64 v[38:39], -v[8:9], v[94:95], v[38:39]
	ds_read2_b64 v[92:95], v108 offset0:113 offset1:114
	s_waitcnt lgkmcnt(0)
	v_fma_f64 v[38:39], -v[10:11], v[92:93], v[38:39]
	v_fma_f64 v[38:39], -v[12:13], v[90:91], v[38:39]
	ds_read2_b64 v[88:91], v108 offset0:177 offset1:178
	;; [unrolled: 4-line block ×3, first 2 shown]
	s_waitcnt lgkmcnt(0)
	v_fma_f64 v[38:39], -v[18:19], v[84:85], v[38:39]
	v_fma_f64 v[38:39], -v[20:21], v[82:83], v[38:39]
	ds_read2_b64 v[80:83], v64 offset1:1
	v_mov_b32_e32 v64, 0xb88
	s_waitcnt lgkmcnt(0)
	v_fma_f64 v[38:39], -v[22:23], v[80:81], v[38:39]
	v_fma_f64 v[38:39], -v[24:25], v[78:79], v[38:39]
	ds_read2_b64 v[76:79], v64 offset1:1
	v_mov_b32_e32 v64, 0xd88
	;; [unrolled: 5-line block ×4, first 2 shown]
	s_waitcnt lgkmcnt(0)
	v_fma_f64 v[38:39], -v[34:35], v[68:69], v[38:39]
	v_fma_f64 v[38:39], -v[36:37], v[66:67], v[38:39]
	ds_read2_b64 v[64:67], v64 offset1:1
	s_waitcnt lgkmcnt(0)
	v_mul_f64 v[38:39], v[64:65], v[38:39]
	v_mul_f64 v[64:65], v[4:5], v[100:101]
	global_store_dwordx4 v[106:107], v[36:39], off offset:128
	v_fma_f64 v[40:41], s[0:1], v[40:41], -v[64:65]
	v_fma_f64 v[40:41], -v[6:7], v[98:99], v[40:41]
	ds_read_b128 v[96:99], v108 offset:656
	s_waitcnt lgkmcnt(0)
	v_fma_f64 v[40:41], -v[8:9], v[96:97], v[40:41]
	v_fma_f64 v[40:41], -v[10:11], v[94:95], v[40:41]
	ds_read_b128 v[92:95], v108 offset:1168
	s_waitcnt lgkmcnt(0)
	v_fma_f64 v[40:41], -v[12:13], v[92:93], v[40:41]
	;; [unrolled: 4-line block ×8, first 2 shown]
	v_fma_f64 v[40:41], -v[38:39], v[66:67], v[40:41]
	ds_read_b128 v[64:67], v108 offset:4752
	s_waitcnt lgkmcnt(0)
	v_mul_f64 v[40:41], v[64:65], v[40:41]
	v_mul_f64 v[64:65], v[4:5], v[102:103]
	ds_read2_b64 v[100:103], v108 offset0:51 offset1:52
	v_fma_f64 v[42:43], s[0:1], v[42:43], -v[64:65]
	v_mov_b32_e32 v64, 0x998
	s_waitcnt lgkmcnt(0)
	v_fma_f64 v[42:43], -v[6:7], v[100:101], v[42:43]
	v_fma_f64 v[42:43], -v[8:9], v[98:99], v[42:43]
	ds_read2_b64 v[96:99], v108 offset0:115 offset1:116
	s_waitcnt lgkmcnt(0)
	v_fma_f64 v[42:43], -v[10:11], v[96:97], v[42:43]
	v_fma_f64 v[42:43], -v[12:13], v[94:95], v[42:43]
	ds_read2_b64 v[92:95], v108 offset0:179 offset1:180
	;; [unrolled: 4-line block ×3, first 2 shown]
	s_waitcnt lgkmcnt(0)
	v_fma_f64 v[42:43], -v[18:19], v[88:89], v[42:43]
	v_fma_f64 v[42:43], -v[20:21], v[86:87], v[42:43]
	ds_read2_b64 v[84:87], v64 offset1:1
	v_mov_b32_e32 v64, 0xb98
	s_waitcnt lgkmcnt(0)
	v_fma_f64 v[42:43], -v[22:23], v[84:85], v[42:43]
	v_fma_f64 v[42:43], -v[24:25], v[82:83], v[42:43]
	ds_read2_b64 v[80:83], v64 offset1:1
	v_mov_b32_e32 v64, 0xd98
	;; [unrolled: 5-line block ×5, first 2 shown]
	s_waitcnt lgkmcnt(0)
	v_fma_f64 v[42:43], -v[38:39], v[68:69], v[42:43]
	v_fma_f64 v[42:43], -v[40:41], v[66:67], v[42:43]
	ds_read2_b64 v[64:67], v64 offset1:1
	s_waitcnt lgkmcnt(0)
	v_mul_f64 v[42:43], v[64:65], v[42:43]
	v_mul_f64 v[64:65], v[4:5], v[109:110]
	global_store_dwordx4 v[106:107], v[40:43], off offset:144
	v_fma_f64 v[44:45], s[0:1], v[44:45], -v[64:65]
	v_fma_f64 v[44:45], -v[6:7], v[102:103], v[44:45]
	ds_read_b128 v[100:103], v108 offset:672
	s_waitcnt lgkmcnt(0)
	v_fma_f64 v[44:45], -v[8:9], v[100:101], v[44:45]
	v_fma_f64 v[44:45], -v[10:11], v[98:99], v[44:45]
	ds_read_b128 v[96:99], v108 offset:1184
	s_waitcnt lgkmcnt(0)
	v_fma_f64 v[44:45], -v[12:13], v[96:97], v[44:45]
	;; [unrolled: 4-line block ×9, first 2 shown]
	v_fma_f64 v[44:45], -v[42:43], v[66:67], v[44:45]
	ds_read_b128 v[64:67], v108 offset:5280
	s_waitcnt lgkmcnt(0)
	v_mul_f64 v[44:45], v[64:65], v[44:45]
	v_mul_f64 v[64:65], v[4:5], v[111:112]
	ds_read2_b64 v[109:112], v108 offset0:53 offset1:54
	v_fma_f64 v[46:47], s[0:1], v[46:47], -v[64:65]
	v_mov_b32_e32 v64, 0x9a8
	s_waitcnt lgkmcnt(0)
	v_fma_f64 v[46:47], -v[6:7], v[109:110], v[46:47]
	v_fma_f64 v[46:47], -v[8:9], v[102:103], v[46:47]
	ds_read2_b64 v[100:103], v108 offset0:117 offset1:118
	s_waitcnt lgkmcnt(0)
	v_fma_f64 v[46:47], -v[10:11], v[100:101], v[46:47]
	v_fma_f64 v[46:47], -v[12:13], v[98:99], v[46:47]
	ds_read2_b64 v[96:99], v108 offset0:181 offset1:182
	s_waitcnt lgkmcnt(0)
	v_fma_f64 v[46:47], -v[14:15], v[96:97], v[46:47]
	v_fma_f64 v[46:47], -v[16:17], v[94:95], v[46:47]
	ds_read2_b64 v[92:95], v108 offset0:245 offset1:246
	s_waitcnt lgkmcnt(0)
	v_fma_f64 v[46:47], -v[18:19], v[92:93], v[46:47]
	v_fma_f64 v[46:47], -v[20:21], v[90:91], v[46:47]
	ds_read2_b64 v[88:91], v64 offset1:1
	v_mov_b32_e32 v64, 0xba8
	s_waitcnt lgkmcnt(0)
	v_fma_f64 v[46:47], -v[22:23], v[88:89], v[46:47]
	v_fma_f64 v[46:47], -v[24:25], v[86:87], v[46:47]
	ds_read2_b64 v[84:87], v64 offset1:1
	v_mov_b32_e32 v64, 0xda8
	;; [unrolled: 5-line block ×6, first 2 shown]
	s_waitcnt lgkmcnt(0)
	v_fma_f64 v[46:47], -v[42:43], v[68:69], v[46:47]
	v_fma_f64 v[46:47], -v[44:45], v[66:67], v[46:47]
	ds_read2_b64 v[64:67], v64 offset1:1
	s_waitcnt lgkmcnt(0)
	v_mul_f64 v[46:47], v[64:65], v[46:47]
	v_mul_f64 v[64:65], v[4:5], v[113:114]
	global_store_dwordx4 v[106:107], v[44:47], off offset:160
	v_fma_f64 v[48:49], s[0:1], v[48:49], -v[64:65]
	v_fma_f64 v[48:49], -v[6:7], v[111:112], v[48:49]
	ds_read_b128 v[109:112], v108 offset:688
	s_waitcnt lgkmcnt(0)
	v_fma_f64 v[48:49], -v[8:9], v[109:110], v[48:49]
	v_fma_f64 v[48:49], -v[10:11], v[102:103], v[48:49]
	ds_read_b128 v[100:103], v108 offset:1200
	s_waitcnt lgkmcnt(0)
	v_fma_f64 v[48:49], -v[12:13], v[100:101], v[48:49]
	;; [unrolled: 4-line block ×10, first 2 shown]
	v_fma_f64 v[48:49], -v[46:47], v[66:67], v[48:49]
	ds_read_b128 v[64:67], v108 offset:5808
	s_waitcnt lgkmcnt(0)
	v_mul_f64 v[48:49], v[64:65], v[48:49]
	v_mul_f64 v[64:65], v[4:5], v[115:116]
	ds_read2_b64 v[113:116], v108 offset0:55 offset1:56
	v_fma_f64 v[50:51], s[0:1], v[50:51], -v[64:65]
	v_mov_b32_e32 v64, 0x9b8
	s_waitcnt lgkmcnt(0)
	v_fma_f64 v[50:51], -v[6:7], v[113:114], v[50:51]
	v_fma_f64 v[50:51], -v[8:9], v[111:112], v[50:51]
	ds_read2_b64 v[109:112], v108 offset0:119 offset1:120
	s_waitcnt lgkmcnt(0)
	v_fma_f64 v[50:51], -v[10:11], v[109:110], v[50:51]
	v_fma_f64 v[50:51], -v[12:13], v[102:103], v[50:51]
	ds_read2_b64 v[100:103], v108 offset0:183 offset1:184
	;; [unrolled: 4-line block ×3, first 2 shown]
	s_waitcnt lgkmcnt(0)
	v_fma_f64 v[50:51], -v[18:19], v[96:97], v[50:51]
	v_fma_f64 v[50:51], -v[20:21], v[94:95], v[50:51]
	ds_read2_b64 v[92:95], v64 offset1:1
	v_mov_b32_e32 v64, 0xbb8
	s_waitcnt lgkmcnt(0)
	v_fma_f64 v[50:51], -v[22:23], v[92:93], v[50:51]
	v_fma_f64 v[50:51], -v[24:25], v[90:91], v[50:51]
	ds_read2_b64 v[88:91], v64 offset1:1
	v_mov_b32_e32 v64, 0xdb8
	;; [unrolled: 5-line block ×7, first 2 shown]
	s_waitcnt lgkmcnt(0)
	v_fma_f64 v[50:51], -v[46:47], v[68:69], v[50:51]
	v_fma_f64 v[50:51], -v[48:49], v[66:67], v[50:51]
	ds_read2_b64 v[64:67], v64 offset1:1
	s_waitcnt lgkmcnt(0)
	v_mul_f64 v[50:51], v[64:65], v[50:51]
	v_mul_f64 v[64:65], v[4:5], v[117:118]
	global_store_dwordx4 v[106:107], v[48:51], off offset:176
	s_waitcnt vmcnt(12)
	v_fma_f64 v[52:53], s[0:1], v[52:53], -v[64:65]
	v_fma_f64 v[52:53], -v[6:7], v[115:116], v[52:53]
	ds_read_b128 v[113:116], v108 offset:704
	s_waitcnt lgkmcnt(0)
	v_fma_f64 v[52:53], -v[8:9], v[113:114], v[52:53]
	v_fma_f64 v[52:53], -v[10:11], v[111:112], v[52:53]
	ds_read_b128 v[109:112], v108 offset:1216
	s_waitcnt lgkmcnt(0)
	v_fma_f64 v[52:53], -v[12:13], v[109:110], v[52:53]
	;; [unrolled: 4-line block ×11, first 2 shown]
	v_fma_f64 v[52:53], -v[50:51], v[66:67], v[52:53]
	ds_read_b128 v[64:67], v108 offset:6336
	s_waitcnt lgkmcnt(0)
	v_mul_f64 v[52:53], v[64:65], v[52:53]
	v_mul_f64 v[64:65], v[4:5], v[119:120]
	ds_read2_b64 v[117:120], v108 offset0:57 offset1:58
	v_fma_f64 v[54:55], s[0:1], v[54:55], -v[64:65]
	v_mov_b32_e32 v64, 0x9c8
	s_waitcnt lgkmcnt(0)
	v_fma_f64 v[54:55], -v[6:7], v[117:118], v[54:55]
	v_fma_f64 v[54:55], -v[8:9], v[115:116], v[54:55]
	ds_read2_b64 v[113:116], v108 offset0:121 offset1:122
	s_waitcnt lgkmcnt(0)
	v_fma_f64 v[54:55], -v[10:11], v[113:114], v[54:55]
	v_fma_f64 v[54:55], -v[12:13], v[111:112], v[54:55]
	ds_read2_b64 v[109:112], v108 offset0:185 offset1:186
	;; [unrolled: 4-line block ×3, first 2 shown]
	s_waitcnt lgkmcnt(0)
	v_fma_f64 v[54:55], -v[18:19], v[100:101], v[54:55]
	v_fma_f64 v[54:55], -v[20:21], v[98:99], v[54:55]
	ds_read2_b64 v[96:99], v64 offset1:1
	v_mov_b32_e32 v64, 0xbc8
	s_waitcnt lgkmcnt(0)
	v_fma_f64 v[54:55], -v[22:23], v[96:97], v[54:55]
	v_fma_f64 v[54:55], -v[24:25], v[94:95], v[54:55]
	ds_read2_b64 v[92:95], v64 offset1:1
	v_mov_b32_e32 v64, 0xdc8
	;; [unrolled: 5-line block ×8, first 2 shown]
	s_waitcnt lgkmcnt(0)
	v_fma_f64 v[54:55], -v[50:51], v[68:69], v[54:55]
	v_fma_f64 v[54:55], -v[52:53], v[66:67], v[54:55]
	ds_read2_b64 v[64:67], v64 offset1:1
	s_waitcnt lgkmcnt(0)
	v_mul_f64 v[54:55], v[64:65], v[54:55]
	v_mul_f64 v[64:65], v[4:5], v[121:122]
	global_store_dwordx4 v[106:107], v[52:55], off offset:192
	v_fma_f64 v[56:57], s[0:1], v[56:57], -v[64:65]
	v_fma_f64 v[56:57], -v[6:7], v[119:120], v[56:57]
	ds_read_b128 v[117:120], v108 offset:720
	s_waitcnt lgkmcnt(0)
	v_fma_f64 v[56:57], -v[8:9], v[117:118], v[56:57]
	v_fma_f64 v[56:57], -v[10:11], v[115:116], v[56:57]
	ds_read_b128 v[113:116], v108 offset:1232
	s_waitcnt lgkmcnt(0)
	v_fma_f64 v[56:57], -v[12:13], v[113:114], v[56:57]
	;; [unrolled: 4-line block ×12, first 2 shown]
	v_fma_f64 v[56:57], -v[54:55], v[66:67], v[56:57]
	ds_read_b128 v[64:67], v108 offset:6864
	s_waitcnt lgkmcnt(0)
	v_mul_f64 v[56:57], v[64:65], v[56:57]
	v_mul_f64 v[64:65], v[4:5], v[123:124]
	ds_read2_b64 v[121:124], v108 offset0:59 offset1:60
	v_fma_f64 v[58:59], s[0:1], v[58:59], -v[64:65]
	v_mov_b32_e32 v64, 0x9d8
	s_waitcnt lgkmcnt(0)
	v_fma_f64 v[58:59], -v[6:7], v[121:122], v[58:59]
	v_fma_f64 v[58:59], -v[8:9], v[119:120], v[58:59]
	ds_read2_b64 v[117:120], v108 offset0:123 offset1:124
	s_waitcnt lgkmcnt(0)
	v_fma_f64 v[58:59], -v[10:11], v[117:118], v[58:59]
	v_fma_f64 v[58:59], -v[12:13], v[115:116], v[58:59]
	ds_read2_b64 v[113:116], v108 offset0:187 offset1:188
	s_waitcnt lgkmcnt(0)
	v_fma_f64 v[58:59], -v[14:15], v[113:114], v[58:59]
	v_fma_f64 v[58:59], -v[16:17], v[111:112], v[58:59]
	ds_read2_b64 v[109:112], v108 offset0:251 offset1:252
	s_waitcnt lgkmcnt(0)
	v_fma_f64 v[58:59], -v[18:19], v[109:110], v[58:59]
	v_fma_f64 v[58:59], -v[20:21], v[102:103], v[58:59]
	ds_read2_b64 v[100:103], v64 offset1:1
	v_mov_b32_e32 v64, 0xbd8
	s_waitcnt lgkmcnt(0)
	v_fma_f64 v[58:59], -v[22:23], v[100:101], v[58:59]
	v_fma_f64 v[58:59], -v[24:25], v[98:99], v[58:59]
	ds_read2_b64 v[96:99], v64 offset1:1
	v_mov_b32_e32 v64, 0xdd8
	ds_read2_b64 v[125:128], v64 offset1:1
	s_waitcnt lgkmcnt(1)
	v_fma_f64 v[58:59], -v[26:27], v[96:97], v[58:59]
	v_fma_f64 v[58:59], -v[28:29], v[94:95], v[58:59]
	ds_read_b128 v[94:97], v108 offset:1248
	v_mov_b32_e32 v64, 0xfd8
	ds_read2_b64 v[129:132], v64 offset1:1
	s_waitcnt lgkmcnt(2)
	v_fma_f64 v[58:59], -v[30:31], v[125:126], v[58:59]
	v_fma_f64 v[58:59], -v[32:33], v[90:91], v[58:59]
	ds_read_b128 v[90:93], v108 offset:736
	;; [unrolled: 6-line block ×3, first 2 shown]
	v_mov_b32_e32 v64, 0x13d8
	ds_read2_b64 v[137:140], v64 offset1:1
	v_mov_b32_e32 v64, 0x15d8
	ds_read2_b64 v[141:144], v64 offset1:1
	;; [unrolled: 2-line block ×5, first 2 shown]
	v_mul_f64 v[64:65], v[4:5], v[157:158]
	s_waitcnt lgkmcnt(6)
	v_fma_f64 v[58:59], -v[38:39], v[133:134], v[58:59]
	v_fma_f64 v[60:61], s[0:1], v[60:61], -v[64:65]
	v_fma_f64 v[58:59], -v[40:41], v[82:83], v[58:59]
	v_fma_f64 v[60:61], -v[6:7], v[123:124], v[60:61]
	s_waitcnt lgkmcnt(4)
	v_fma_f64 v[58:59], -v[42:43], v[137:138], v[58:59]
	v_fma_f64 v[60:61], -v[8:9], v[90:91], v[60:61]
	ds_read_b128 v[88:91], v108 offset:2272
	v_fma_f64 v[58:59], -v[44:45], v[78:79], v[58:59]
	v_fma_f64 v[60:61], -v[10:11], v[119:120], v[60:61]
	s_waitcnt lgkmcnt(4)
	v_fma_f64 v[58:59], -v[46:47], v[141:142], v[58:59]
	v_fma_f64 v[60:61], -v[12:13], v[94:95], v[60:61]
	;; [unrolled: 1-line block ×4, first 2 shown]
	s_waitcnt lgkmcnt(3)
	v_fma_f64 v[58:59], -v[50:51], v[145:146], v[58:59]
	v_fma_f64 v[60:61], -v[16:17], v[84:85], v[60:61]
	ds_read_b128 v[82:85], v108 offset:2784
	v_fma_f64 v[58:59], -v[52:53], v[70:71], v[58:59]
	v_fma_f64 v[60:61], -v[18:19], v[111:112], v[60:61]
	ds_read2_b64 v[109:112], v108 offset0:253 offset1:254
	s_waitcnt lgkmcnt(4)
	v_fma_f64 v[58:59], -v[54:55], v[149:150], v[58:59]
	s_waitcnt lgkmcnt(2)
	v_fma_f64 v[60:61], -v[20:21], v[88:89], v[60:61]
	v_fma_f64 v[58:59], -v[56:57], v[66:67], v[58:59]
	;; [unrolled: 1-line block ×3, first 2 shown]
	v_mul_f64 v[58:59], v[153:154], v[58:59]
	s_waitcnt lgkmcnt(1)
	v_fma_f64 v[60:61], -v[24:25], v[82:83], v[60:61]
	ds_read_b128 v[80:83], v108 offset:3296
	global_store_dwordx4 v[106:107], v[56:59], off offset:208
	v_fma_f64 v[60:61], -v[26:27], v[98:99], v[60:61]
	ds_read2_b64 v[98:101], v108 offset0:61 offset1:62
	s_waitcnt lgkmcnt(1)
	v_fma_f64 v[60:61], -v[28:29], v[80:81], v[60:61]
	ds_read_b128 v[78:81], v108 offset:3808
	v_fma_f64 v[60:61], -v[30:31], v[127:128], v[60:61]
	s_waitcnt lgkmcnt(0)
	v_fma_f64 v[60:61], -v[32:33], v[78:79], v[60:61]
	ds_read_b128 v[76:79], v108 offset:4320
	v_fma_f64 v[60:61], -v[34:35], v[131:132], v[60:61]
	;; [unrolled: 4-line block ×8, first 2 shown]
	s_waitcnt lgkmcnt(0)
	v_mul_f64 v[60:61], v[64:65], v[60:61]
	v_mul_f64 v[64:65], v[4:5], v[159:160]
	v_fma_f64 v[62:63], s[0:1], v[62:63], -v[64:65]
	v_fma_f64 v[62:63], -v[6:7], v[98:99], v[62:63]
	v_fma_f64 v[88:89], -v[8:9], v[92:93], v[62:63]
	ds_read2_b64 v[62:65], v108 offset0:125 offset1:126
	s_waitcnt lgkmcnt(0)
	v_fma_f64 v[62:63], -v[10:11], v[62:63], v[88:89]
	v_fma_f64 v[62:63], -v[12:13], v[96:97], v[62:63]
	ds_read2_b64 v[94:97], v108 offset0:189 offset1:190
	s_waitcnt lgkmcnt(0)
	v_fma_f64 v[62:63], -v[14:15], v[94:95], v[62:63]
	v_fma_f64 v[62:63], -v[16:17], v[86:87], v[62:63]
	v_mov_b32_e32 v86, 0x9e8
	ds_read2_b64 v[113:116], v86 offset1:1
	v_fma_f64 v[62:63], -v[18:19], v[109:110], v[62:63]
	v_fma_f64 v[62:63], -v[20:21], v[90:91], v[62:63]
	s_waitcnt lgkmcnt(0)
	v_fma_f64 v[62:63], -v[22:23], v[113:114], v[62:63]
	v_fma_f64 v[62:63], -v[24:25], v[84:85], v[62:63]
	v_mov_b32_e32 v84, 0xbe8
	ds_read2_b64 v[117:120], v84 offset1:1
	s_waitcnt lgkmcnt(0)
	v_fma_f64 v[62:63], -v[26:27], v[117:118], v[62:63]
	v_fma_f64 v[62:63], -v[28:29], v[82:83], v[62:63]
	v_mov_b32_e32 v82, 0xde8
	ds_read2_b64 v[121:124], v82 offset1:1
	;; [unrolled: 5-line block ×7, first 2 shown]
	ds_read_b128 v[72:75], v108 offset:240
	s_waitcnt lgkmcnt(1)
	v_fma_f64 v[62:63], -v[50:51], v[78:79], v[62:63]
	v_fma_f64 v[62:63], -v[52:53], v[70:71], v[62:63]
	v_mov_b32_e32 v70, 0x19e8
	ds_read2_b64 v[84:87], v70 offset1:1
	s_waitcnt lgkmcnt(0)
	v_fma_f64 v[62:63], -v[54:55], v[84:85], v[62:63]
	ds_read_b128 v[82:85], v108 offset:2800
	v_fma_f64 v[62:63], -v[56:57], v[68:69], v[62:63]
	v_mov_b32_e32 v68, 0x1be8
	ds_read2_b64 v[88:91], v68 offset1:1
	s_waitcnt lgkmcnt(0)
	v_fma_f64 v[62:63], -v[58:59], v[88:89], v[62:63]
	v_fma_f64 v[62:63], -v[60:61], v[66:67], v[62:63]
	v_mov_b32_e32 v66, 0x1de8
	ds_read2_b64 v[92:95], v66 offset1:1
	v_mul_f64 v[66:67], v[4:5], v[72:73]
	ds_read_b128 v[70:73], v108 offset:752
	v_mul_f64 v[4:5], v[4:5], v[74:75]
	s_waitcnt lgkmcnt(1)
	v_mul_f64 v[62:63], v[92:93], v[62:63]
	v_fma_f64 v[0:1], s[0:1], v[0:1], -v[66:67]
	global_store_dwordx4 v[106:107], v[60:63], off offset:224
	v_fma_f64 v[0:1], -v[6:7], v[100:101], v[0:1]
	ds_read_b128 v[100:103], v108 offset:3312
	s_waitcnt lgkmcnt(1)
	v_fma_f64 v[0:1], -v[8:9], v[70:71], v[0:1]
	ds_read_b128 v[68:71], v108 offset:1264
	v_fma_f64 v[0:1], -v[10:11], v[64:65], v[0:1]
	s_waitcnt lgkmcnt(0)
	v_fma_f64 v[0:1], -v[12:13], v[68:69], v[0:1]
	ds_read_b128 v[66:69], v108 offset:1776
	v_fma_f64 v[0:1], -v[14:15], v[96:97], v[0:1]
	;; [unrolled: 4-line block ×3, first 2 shown]
	ds_read_b128 v[109:112], v108 offset:4848
	s_waitcnt lgkmcnt(1)
	v_fma_f64 v[0:1], -v[20:21], v[64:65], v[0:1]
	v_fma_f64 v[64:65], s[0:1], v[2:3], -v[4:5]
	ds_read2_b64 v[2:5], v108 offset0:63 offset1:127
	v_fma_f64 v[0:1], -v[22:23], v[115:116], v[0:1]
	s_waitcnt lgkmcnt(0)
	v_fma_f64 v[2:3], -v[6:7], v[2:3], v[64:65]
	ds_read_b128 v[113:116], v108 offset:5360
	v_fma_f64 v[0:1], -v[24:25], v[82:83], v[0:1]
	v_fma_f64 v[2:3], -v[8:9], v[72:73], v[2:3]
	v_add_u32_e64 v8, s4, 0
	s_mov_b32 s4, 32
	v_fma_f64 v[0:1], -v[26:27], v[119:120], v[0:1]
	v_fma_f64 v[2:3], -v[10:11], v[4:5], v[2:3]
	;; [unrolled: 1-line block ×4, first 2 shown]
	ds_read2_b64 v[2:5], v108 offset0:191 offset1:255
	ds_read_b128 v[98:101], v108 offset:3824
	v_fma_f64 v[0:1], -v[30:31], v[123:124], v[0:1]
	s_waitcnt lgkmcnt(1)
	v_fma_f64 v[2:3], -v[14:15], v[2:3], v[6:7]
	s_waitcnt lgkmcnt(0)
	v_fma_f64 v[0:1], -v[32:33], v[98:99], v[0:1]
	v_fma_f64 v[2:3], -v[16:17], v[68:69], v[2:3]
	ds_read_b128 v[96:99], v108 offset:4336
	v_fma_f64 v[0:1], -v[34:35], v[127:128], v[0:1]
	v_fma_f64 v[2:3], -v[18:19], v[4:5], v[2:3]
	s_waitcnt lgkmcnt(0)
	v_fma_f64 v[0:1], -v[36:37], v[96:97], v[0:1]
	v_fma_f64 v[6:7], -v[20:21], v[66:67], v[2:3]
	ds_read2st64_b64 v[2:5], v8 offset0:4 offset1:5
	v_fma_f64 v[0:1], -v[38:39], v[131:132], v[0:1]
	s_waitcnt lgkmcnt(0)
	v_fma_f64 v[2:3], -v[22:23], v[2:3], v[6:7]
	v_fma_f64 v[0:1], -v[40:41], v[109:110], v[0:1]
	;; [unrolled: 1-line block ×7, first 2 shown]
	ds_read2st64_b64 v[2:5], v8 offset0:6 offset1:7
	v_fma_f64 v[0:1], -v[46:47], v[76:77], v[0:1]
	s_waitcnt lgkmcnt(0)
	v_fma_f64 v[2:3], -v[30:31], v[2:3], v[6:7]
	ds_read_b128 v[76:79], v108 offset:5872
	s_waitcnt lgkmcnt(0)
	v_fma_f64 v[0:1], -v[48:49], v[76:77], v[0:1]
	v_fma_f64 v[2:3], -v[32:33], v[100:101], v[2:3]
	;; [unrolled: 1-line block ×4, first 2 shown]
	ds_read_b128 v[80:83], v108 offset:6384
	s_waitcnt lgkmcnt(0)
	v_fma_f64 v[0:1], -v[52:53], v[80:81], v[0:1]
	v_fma_f64 v[6:7], -v[36:37], v[98:99], v[2:3]
	ds_read2st64_b64 v[2:5], v8 offset0:8 offset1:9
	v_fma_f64 v[0:1], -v[54:55], v[86:87], v[0:1]
	s_waitcnt lgkmcnt(0)
	v_fma_f64 v[2:3], -v[38:39], v[2:3], v[6:7]
	ds_read_b128 v[86:89], v108 offset:6896
	s_waitcnt lgkmcnt(0)
	v_fma_f64 v[0:1], -v[56:57], v[86:87], v[0:1]
	v_fma_f64 v[2:3], -v[40:41], v[111:112], v[2:3]
	;; [unrolled: 1-line block ×4, first 2 shown]
	ds_read_b128 v[90:93], v108 offset:7408
	s_waitcnt lgkmcnt(0)
	v_fma_f64 v[0:1], -v[60:61], v[90:91], v[0:1]
	v_fma_f64 v[6:7], -v[44:45], v[115:116], v[2:3]
	ds_read2st64_b64 v[2:5], v8 offset0:10 offset1:11
	v_fma_f64 v[0:1], -v[62:63], v[94:95], v[0:1]
	s_waitcnt lgkmcnt(0)
	v_fma_f64 v[2:3], -v[46:47], v[2:3], v[6:7]
	ds_read_b128 v[94:97], v108 offset:7920
	s_waitcnt lgkmcnt(0)
	v_mul_f64 v[0:1], v[94:95], v[0:1]
	v_fma_f64 v[2:3], -v[48:49], v[78:79], v[2:3]
	v_fma_f64 v[2:3], -v[50:51], v[4:5], v[2:3]
	;; [unrolled: 1-line block ×3, first 2 shown]
	ds_read2st64_b64 v[2:5], v8 offset0:12 offset1:13
	s_waitcnt lgkmcnt(0)
	v_fma_f64 v[2:3], -v[54:55], v[2:3], v[6:7]
	v_fma_f64 v[2:3], -v[56:57], v[88:89], v[2:3]
	v_fma_f64 v[2:3], -v[58:59], v[4:5], v[2:3]
	v_fma_f64 v[6:7], -v[60:61], v[92:93], v[2:3]
	ds_read2st64_b64 v[2:5], v8 offset0:14 offset1:15
	s_waitcnt lgkmcnt(0)
	v_fma_f64 v[2:3], -v[62:63], v[2:3], v[6:7]
	v_fma_f64 v[2:3], -v[0:1], v[96:97], v[2:3]
	v_mul_f64 v[2:3], v[4:5], v[2:3]
	global_store_dwordx4 v[106:107], v[0:3], off offset:240
.LBB105_33:
	s_cmp_lt_i32 s4, s33
	s_cbranch_scc0 .LBB105_44
; %bb.34:
	s_or_b32 s5, s4, 27
	s_cmp_ge_u32 s5, s33
	s_cbranch_scc1 .LBB105_39
; %bb.35:
	s_lshl_b32 s6, s4, 3
	v_add_co_u32_e32 v88, vcc, s6, v106
	v_addc_co_u32_e32 v89, vcc, 0, v107, vcc
	global_load_dwordx4 v[0:3], v[88:89], off
	global_load_dwordx4 v[4:7], v[88:89], off offset:16
	global_load_dwordx4 v[8:11], v[88:89], off offset:32
	;; [unrolled: 1-line block ×13, first 2 shown]
	s_andn2_b64 vcc, exec, s[2:3]
	s_waitcnt vmcnt(13)
	v_mul_f64 v[0:1], s[0:1], v[0:1]
	v_mul_f64 v[2:3], s[0:1], v[2:3]
	s_waitcnt vmcnt(12)
	v_mul_f64 v[4:5], s[0:1], v[4:5]
	v_mul_f64 v[6:7], s[0:1], v[6:7]
	;; [unrolled: 3-line block ×14, first 2 shown]
	s_cbranch_vccnz .LBB105_38
; %bb.36:
	v_mov_b32_e32 v50, v106
	v_mov_b32_e32 v51, v107
	s_mov_b32 s2, s4
.LBB105_37:                             ; =>This Inner Loop Header: Depth=1
	global_load_dwordx2 v[104:105], v[50:51], off
	v_mov_b32_e32 v116, s6
	ds_read_b128 v[52:55], v116
	ds_read_b128 v[56:59], v116 offset:16
	ds_read_b128 v[60:63], v116 offset:32
	;; [unrolled: 1-line block ×13, first 2 shown]
	s_add_i32 s2, s2, -1
	s_addk_i32 s6, 0x100
	v_add_co_u32_e32 v50, vcc, 8, v50
	s_cmp_lg_u32 s2, 0
	v_addc_co_u32_e32 v51, vcc, 0, v51, vcc
	s_waitcnt vmcnt(0) lgkmcnt(13)
	v_fma_f64 v[0:1], -v[104:105], v[52:53], v[0:1]
	v_fma_f64 v[2:3], -v[104:105], v[54:55], v[2:3]
	s_waitcnt lgkmcnt(12)
	v_fma_f64 v[4:5], -v[104:105], v[56:57], v[4:5]
	v_fma_f64 v[6:7], -v[104:105], v[58:59], v[6:7]
	s_waitcnt lgkmcnt(11)
	;; [unrolled: 3-line block ×13, first 2 shown]
	v_fma_f64 v[92:93], -v[104:105], v[116:117], v[92:93]
	v_fma_f64 v[90:91], -v[104:105], v[118:119], v[90:91]
	s_cbranch_scc1 .LBB105_37
.LBB105_38:
	s_lshl_b32 s3, s4, 3
	s_lshl_b32 s6, s4, 8
	s_add_i32 s6, s3, s6
	v_mov_b32_e32 v96, s6
	ds_read_b128 v[50:53], v96
	ds_read_b128 v[54:57], v96 offset:16
	ds_read_b128 v[58:61], v96 offset:32
	;; [unrolled: 1-line block ×3, first 2 shown]
	s_add_i32 s7, s6, 0x948
	s_waitcnt lgkmcnt(3)
	v_mul_f64 v[0:1], v[50:51], v[0:1]
	s_or_b32 s2, s4, 28
	v_fma_f64 v[2:3], -v[0:1], v[52:53], v[2:3]
	ds_read2_b64 v[50:53], v96 offset0:33 offset1:34
	s_waitcnt lgkmcnt(3)
	v_fma_f64 v[4:5], -v[0:1], v[54:55], v[4:5]
	v_fma_f64 v[6:7], -v[0:1], v[56:57], v[6:7]
	ds_read2_b64 v[54:57], v96 offset0:35 offset1:36
	s_waitcnt lgkmcnt(3)
	v_fma_f64 v[8:9], -v[0:1], v[58:59], v[8:9]
	v_fma_f64 v[10:11], -v[0:1], v[60:61], v[10:11]
	s_waitcnt lgkmcnt(2)
	v_fma_f64 v[12:13], -v[0:1], v[62:63], v[12:13]
	s_waitcnt lgkmcnt(1)
	v_mul_f64 v[2:3], v[50:51], v[2:3]
	ds_read2_b64 v[58:61], v96 offset0:37 offset1:38
	v_fma_f64 v[14:15], -v[0:1], v[64:65], v[14:15]
	ds_read2_b64 v[62:65], v96 offset0:39 offset1:40
	v_fma_f64 v[4:5], -v[2:3], v[52:53], v[4:5]
	ds_read_b128 v[50:53], v96 offset:528
	s_waitcnt lgkmcnt(3)
	v_fma_f64 v[6:7], -v[2:3], v[54:55], v[6:7]
	v_fma_f64 v[8:9], -v[2:3], v[56:57], v[8:9]
	ds_read_b128 v[54:57], v96 offset:544
	s_waitcnt lgkmcnt(3)
	v_fma_f64 v[10:11], -v[2:3], v[58:59], v[10:11]
	v_fma_f64 v[12:13], -v[2:3], v[60:61], v[12:13]
	s_waitcnt lgkmcnt(2)
	v_fma_f64 v[14:15], -v[2:3], v[62:63], v[14:15]
	s_waitcnt lgkmcnt(1)
	v_mul_f64 v[4:5], v[50:51], v[4:5]
	global_store_dwordx4 v[88:89], v[0:3], off
	ds_read_b128 v[58:61], v96 offset:560
	v_fma_f64 v[6:7], -v[4:5], v[52:53], v[6:7]
	ds_read2_b64 v[50:53], v96 offset0:99 offset1:100
	s_waitcnt lgkmcnt(2)
	v_fma_f64 v[8:9], -v[4:5], v[54:55], v[8:9]
	v_fma_f64 v[10:11], -v[4:5], v[56:57], v[10:11]
	s_waitcnt lgkmcnt(1)
	v_fma_f64 v[12:13], -v[4:5], v[58:59], v[12:13]
	ds_read2_b64 v[54:57], v96 offset0:101 offset1:102
	v_fma_f64 v[14:15], -v[4:5], v[60:61], v[14:15]
	ds_read2_b64 v[58:61], v96 offset0:103 offset1:104
	s_waitcnt lgkmcnt(2)
	v_mul_f64 v[6:7], v[50:51], v[6:7]
	v_fma_f64 v[8:9], -v[6:7], v[52:53], v[8:9]
	ds_read_b128 v[50:53], v96 offset:1056
	s_waitcnt lgkmcnt(2)
	v_fma_f64 v[10:11], -v[6:7], v[54:55], v[10:11]
	v_fma_f64 v[12:13], -v[6:7], v[56:57], v[12:13]
	ds_read_b128 v[54:57], v96 offset:1072
	s_waitcnt lgkmcnt(2)
	v_fma_f64 v[14:15], -v[6:7], v[58:59], v[14:15]
	global_store_dwordx4 v[88:89], v[4:7], off offset:16
	s_waitcnt lgkmcnt(1)
	v_mul_f64 v[8:9], v[50:51], v[8:9]
	v_fma_f64 v[10:11], -v[8:9], v[52:53], v[10:11]
	ds_read2_b64 v[50:53], v96 offset0:165 offset1:166
	s_waitcnt lgkmcnt(1)
	v_fma_f64 v[12:13], -v[8:9], v[54:55], v[12:13]
	v_fma_f64 v[14:15], -v[8:9], v[56:57], v[14:15]
	ds_read2_b64 v[54:57], v96 offset0:167 offset1:168
	s_waitcnt lgkmcnt(1)
	v_mul_f64 v[10:11], v[50:51], v[10:11]
	v_fma_f64 v[12:13], -v[10:11], v[52:53], v[12:13]
	ds_read_b128 v[50:53], v96 offset:1584
	s_waitcnt lgkmcnt(1)
	v_fma_f64 v[14:15], -v[10:11], v[54:55], v[14:15]
	global_store_dwordx4 v[88:89], v[8:11], off offset:32
	s_waitcnt lgkmcnt(0)
	v_mul_f64 v[12:13], v[50:51], v[12:13]
	v_fma_f64 v[14:15], -v[12:13], v[52:53], v[14:15]
	ds_read2_b64 v[50:53], v96 offset0:231 offset1:232
	s_waitcnt lgkmcnt(0)
	v_mul_f64 v[14:15], v[50:51], v[14:15]
	global_store_dwordx4 v[88:89], v[12:15], off offset:48
	ds_read_b128 v[66:69], v96 offset:64
	ds_read_b128 v[70:73], v96 offset:80
	s_waitcnt lgkmcnt(1)
	v_fma_f64 v[16:17], -v[0:1], v[66:67], v[16:17]
	v_fma_f64 v[18:19], -v[0:1], v[68:69], v[18:19]
	s_waitcnt lgkmcnt(0)
	v_fma_f64 v[32:33], -v[0:1], v[70:71], v[32:33]
	ds_read2_b64 v[66:69], v96 offset0:41 offset1:42
	v_fma_f64 v[34:35], -v[0:1], v[72:73], v[34:35]
	ds_read2_b64 v[70:73], v96 offset0:43 offset1:44
	v_fma_f64 v[16:17], -v[2:3], v[64:65], v[16:17]
	ds_read_b128 v[62:65], v96 offset:576
	s_waitcnt lgkmcnt(2)
	v_fma_f64 v[18:19], -v[2:3], v[66:67], v[18:19]
	v_fma_f64 v[32:33], -v[2:3], v[68:69], v[32:33]
	ds_read_b128 v[66:69], v96 offset:592
	s_waitcnt lgkmcnt(2)
	v_fma_f64 v[34:35], -v[2:3], v[70:71], v[34:35]
	s_waitcnt lgkmcnt(1)
	v_fma_f64 v[16:17], -v[4:5], v[62:63], v[16:17]
	v_fma_f64 v[18:19], -v[4:5], v[64:65], v[18:19]
	s_waitcnt lgkmcnt(0)
	v_fma_f64 v[32:33], -v[4:5], v[66:67], v[32:33]
	ds_read2_b64 v[62:65], v96 offset0:105 offset1:106
	v_fma_f64 v[34:35], -v[4:5], v[68:69], v[34:35]
	ds_read2_b64 v[66:69], v96 offset0:107 offset1:108
	v_fma_f64 v[16:17], -v[6:7], v[60:61], v[16:17]
	ds_read_b128 v[58:61], v96 offset:1088
	s_waitcnt lgkmcnt(2)
	v_fma_f64 v[18:19], -v[6:7], v[62:63], v[18:19]
	v_fma_f64 v[32:33], -v[6:7], v[64:65], v[32:33]
	ds_read_b128 v[62:65], v96 offset:1104
	s_waitcnt lgkmcnt(2)
	v_fma_f64 v[34:35], -v[6:7], v[66:67], v[34:35]
	;; [unrolled: 16-line block ×4, first 2 shown]
	s_waitcnt lgkmcnt(1)
	v_mul_f64 v[16:17], v[50:51], v[16:17]
	v_mov_b32_e32 v50, s7
	s_add_i32 s7, s6, 0x958
	v_fma_f64 v[18:19], -v[16:17], v[52:53], v[18:19]
	ds_read2_b64 v[50:53], v50 offset1:1
	s_waitcnt lgkmcnt(1)
	v_fma_f64 v[32:33], -v[16:17], v[54:55], v[32:33]
	v_fma_f64 v[34:35], -v[16:17], v[56:57], v[34:35]
	s_waitcnt lgkmcnt(0)
	v_mul_f64 v[18:19], v[50:51], v[18:19]
	v_fma_f64 v[32:33], -v[18:19], v[52:53], v[32:33]
	ds_read_b128 v[50:53], v96 offset:2640
	global_store_dwordx4 v[88:89], v[16:19], off offset:64
	s_waitcnt lgkmcnt(0)
	v_mul_f64 v[32:33], v[50:51], v[32:33]
	v_mov_b32_e32 v50, s7
	ds_read2_b64 v[54:57], v50 offset1:1
	s_add_i32 s7, s6, 0xb58
	v_mov_b32_e32 v50, s7
	s_add_i32 s7, s6, 0x968
	s_waitcnt lgkmcnt(0)
	v_fma_f64 v[34:35], -v[18:19], v[54:55], v[34:35]
	v_fma_f64 v[34:35], -v[32:33], v[52:53], v[34:35]
	ds_read2_b64 v[50:53], v50 offset1:1
	s_waitcnt lgkmcnt(0)
	v_mul_f64 v[34:35], v[50:51], v[34:35]
	global_store_dwordx4 v[88:89], v[32:35], off offset:80
	ds_read_b128 v[74:77], v96 offset:96
	ds_read_b128 v[78:81], v96 offset:112
	ds_read2_b64 v[116:119], v96 offset0:183 offset1:184
	ds_read2_b64 v[120:123], v96 offset0:247 offset1:248
	ds_read_b128 v[82:85], v96 offset:144
	s_waitcnt lgkmcnt(4)
	v_fma_f64 v[44:45], -v[0:1], v[74:75], v[44:45]
	v_fma_f64 v[46:47], -v[0:1], v[76:77], v[46:47]
	ds_read2_b64 v[74:77], v96 offset0:45 offset1:46
	s_waitcnt lgkmcnt(4)
	v_fma_f64 v[48:49], -v[0:1], v[78:79], v[48:49]
	v_fma_f64 v[42:43], -v[0:1], v[80:81], v[42:43]
	ds_read_b128 v[78:81], v96 offset:128
	ds_read_b128 v[102:105], v96 offset:160
	s_waitcnt lgkmcnt(3)
	v_fma_f64 v[20:21], -v[0:1], v[82:83], v[20:21]
	v_fma_f64 v[44:45], -v[2:3], v[72:73], v[44:45]
	ds_read_b128 v[70:73], v96 offset:608
	s_waitcnt lgkmcnt(3)
	v_fma_f64 v[46:47], -v[2:3], v[74:75], v[46:47]
	s_waitcnt lgkmcnt(2)
	v_fma_f64 v[36:37], -v[0:1], v[78:79], v[36:37]
	v_fma_f64 v[38:39], -v[0:1], v[80:81], v[38:39]
	ds_read2_b64 v[78:81], v96 offset0:49 offset1:50
	v_fma_f64 v[22:23], -v[0:1], v[84:85], v[22:23]
	s_waitcnt lgkmcnt(2)
	v_fma_f64 v[24:25], -v[0:1], v[102:103], v[24:25]
	s_waitcnt lgkmcnt(1)
	v_fma_f64 v[44:45], -v[4:5], v[70:71], v[44:45]
	v_fma_f64 v[26:27], -v[0:1], v[104:105], v[26:27]
	v_fma_f64 v[46:47], -v[4:5], v[72:73], v[46:47]
	ds_read2_b64 v[70:73], v96 offset0:109 offset1:110
	s_waitcnt lgkmcnt(1)
	v_fma_f64 v[38:39], -v[2:3], v[78:79], v[38:39]
	v_fma_f64 v[20:21], -v[2:3], v[80:81], v[20:21]
	ds_read_b128 v[78:81], v96 offset:656
	ds_read_b128 v[112:115], v96 offset:176
	v_fma_f64 v[44:45], -v[6:7], v[68:69], v[44:45]
	ds_read_b128 v[66:69], v96 offset:1120
	s_waitcnt lgkmcnt(3)
	v_fma_f64 v[46:47], -v[6:7], v[70:71], v[46:47]
	ds_read_b128 v[144:147], v96 offset:192
	s_waitcnt lgkmcnt(2)
	v_fma_f64 v[28:29], -v[0:1], v[112:113], v[28:29]
	v_fma_f64 v[30:31], -v[0:1], v[114:115], v[30:31]
	ds_read2_b64 v[82:85], v96 offset0:51 offset1:52
	ds_read2_b64 v[108:111], v96 offset0:53 offset1:54
	s_waitcnt lgkmcnt(3)
	v_fma_f64 v[44:45], -v[8:9], v[66:67], v[44:45]
	s_waitcnt lgkmcnt(2)
	v_fma_f64 v[40:41], -v[0:1], v[144:145], v[40:41]
	v_fma_f64 v[46:47], -v[8:9], v[68:69], v[46:47]
	ds_read2_b64 v[66:69], v96 offset0:173 offset1:174
	s_waitcnt lgkmcnt(2)
	v_fma_f64 v[22:23], -v[2:3], v[82:83], v[22:23]
	v_fma_f64 v[24:25], -v[2:3], v[84:85], v[24:25]
	ds_read_b128 v[82:85], v96 offset:672
	v_fma_f64 v[20:21], -v[4:5], v[78:79], v[20:21]
	v_fma_f64 v[44:45], -v[10:11], v[64:65], v[44:45]
	ds_read_b128 v[62:65], v96 offset:1632
	s_waitcnt lgkmcnt(2)
	v_fma_f64 v[46:47], -v[10:11], v[66:67], v[46:47]
	v_fma_f64 v[26:27], -v[2:3], v[108:109], v[26:27]
	;; [unrolled: 1-line block ×3, first 2 shown]
	ds_read2_b64 v[78:81], v96 offset0:115 offset1:116
	v_fma_f64 v[28:29], -v[2:3], v[110:111], v[28:29]
	ds_read_b128 v[108:111], v96 offset:688
	s_waitcnt lgkmcnt(2)
	v_fma_f64 v[44:45], -v[12:13], v[62:63], v[44:45]
	v_fma_f64 v[24:25], -v[4:5], v[82:83], v[24:25]
	;; [unrolled: 1-line block ×3, first 2 shown]
	ds_read2_b64 v[62:65], v96 offset0:237 offset1:238
	s_waitcnt lgkmcnt(2)
	v_fma_f64 v[22:23], -v[6:7], v[78:79], v[22:23]
	v_fma_f64 v[26:27], -v[4:5], v[84:85], v[26:27]
	ds_read2_b64 v[82:85], v96 offset0:117 offset1:118
	s_waitcnt lgkmcnt(2)
	v_fma_f64 v[28:29], -v[4:5], v[108:109], v[28:29]
	v_fma_f64 v[44:45], -v[14:15], v[60:61], v[44:45]
	ds_read_b128 v[58:61], v96 offset:2144
	s_waitcnt lgkmcnt(2)
	v_fma_f64 v[46:47], -v[14:15], v[62:63], v[46:47]
	v_fma_f64 v[24:25], -v[6:7], v[80:81], v[24:25]
	ds_read_b128 v[78:81], v96 offset:1184
	ds_read2_b64 v[112:115], v96 offset0:55 offset1:56
	s_waitcnt lgkmcnt(2)
	v_fma_f64 v[44:45], -v[16:17], v[58:59], v[44:45]
	v_fma_f64 v[46:47], -v[16:17], v[60:61], v[46:47]
	s_waitcnt lgkmcnt(0)
	v_fma_f64 v[30:31], -v[2:3], v[112:113], v[30:31]
	v_fma_f64 v[40:41], -v[2:3], v[114:115], v[40:41]
	ds_read2_b64 v[112:115], v96 offset0:185 offset1:186
	v_fma_f64 v[44:45], -v[18:19], v[56:57], v[44:45]
	ds_read_b128 v[54:57], v96 offset:2656
	v_fma_f64 v[30:31], -v[4:5], v[110:111], v[30:31]
	ds_read2_b64 v[108:111], v96 offset0:119 offset1:120
	v_fma_f64 v[26:27], -v[6:7], v[82:83], v[26:27]
	v_fma_f64 v[28:29], -v[6:7], v[84:85], v[28:29]
	ds_read_b128 v[84:87], v96 offset:1200
	s_waitcnt lgkmcnt(2)
	v_fma_f64 v[44:45], -v[32:33], v[54:55], v[44:45]
	v_fma_f64 v[24:25], -v[8:9], v[78:79], v[24:25]
	s_waitcnt lgkmcnt(1)
	v_fma_f64 v[30:31], -v[6:7], v[108:109], v[30:31]
	v_fma_f64 v[26:27], -v[8:9], v[80:81], v[26:27]
	ds_read2_b64 v[80:83], v96 offset0:181 offset1:182
	s_waitcnt lgkmcnt(1)
	v_fma_f64 v[28:29], -v[8:9], v[84:85], v[28:29]
	v_fma_f64 v[44:45], -v[34:35], v[52:53], v[44:45]
	ds_read_b128 v[50:53], v96 offset:3168
	v_fma_f64 v[30:31], -v[8:9], v[86:87], v[30:31]
	s_waitcnt lgkmcnt(1)
	v_fma_f64 v[26:27], -v[10:11], v[80:81], v[26:27]
	v_fma_f64 v[28:29], -v[10:11], v[82:83], v[28:29]
	s_waitcnt lgkmcnt(0)
	v_mul_f64 v[44:45], v[50:51], v[44:45]
	v_mov_b32_e32 v50, s7
	ds_read2_b64 v[58:61], v50 offset1:1
	s_add_i32 s7, s6, 0xb68
	v_mov_b32_e32 v50, s7
	s_add_i32 s7, s6, 0xd68
	v_fma_f64 v[30:31], -v[10:11], v[116:117], v[30:31]
	s_waitcnt lgkmcnt(0)
	v_fma_f64 v[46:47], -v[18:19], v[58:59], v[46:47]
	ds_read_b128 v[82:85], v96 offset:1712
	s_waitcnt lgkmcnt(0)
	v_fma_f64 v[28:29], -v[12:13], v[82:83], v[28:29]
	v_fma_f64 v[30:31], -v[12:13], v[84:85], v[30:31]
	;; [unrolled: 1-line block ×3, first 2 shown]
	ds_read2_b64 v[54:57], v50 offset1:1
	v_mov_b32_e32 v50, s7
	s_add_i32 s7, s6, 0x978
	ds_read_b128 v[84:87], v96 offset:1216
	v_fma_f64 v[30:31], -v[14:15], v[120:121], v[30:31]
	s_waitcnt lgkmcnt(1)
	v_fma_f64 v[46:47], -v[34:35], v[54:55], v[46:47]
	v_fma_f64 v[54:55], -v[2:3], v[76:77], v[48:49]
	ds_read2_b64 v[74:77], v96 offset0:47 offset1:48
	s_waitcnt lgkmcnt(0)
	v_fma_f64 v[42:43], -v[2:3], v[74:75], v[42:43]
	v_fma_f64 v[46:47], -v[44:45], v[52:53], v[46:47]
	ds_read2_b64 v[50:53], v50 offset1:1
	v_fma_f64 v[36:37], -v[2:3], v[76:77], v[36:37]
	ds_read_b128 v[74:77], v96 offset:640
	s_waitcnt lgkmcnt(1)
	v_mul_f64 v[46:47], v[50:51], v[46:47]
	ds_read_b128 v[48:51], v96 offset:624
	s_waitcnt lgkmcnt(1)
	v_fma_f64 v[36:37], -v[4:5], v[74:75], v[36:37]
	v_fma_f64 v[38:39], -v[4:5], v[76:77], v[38:39]
	ds_read2_b64 v[74:77], v96 offset0:113 offset1:114
	s_waitcnt lgkmcnt(1)
	v_fma_f64 v[48:49], -v[4:5], v[48:49], v[54:55]
	v_fma_f64 v[42:43], -v[4:5], v[50:51], v[42:43]
	global_store_dwordx4 v[88:89], v[44:47], off offset:96
	s_waitcnt lgkmcnt(0)
	v_fma_f64 v[20:21], -v[6:7], v[76:77], v[20:21]
	v_fma_f64 v[38:39], -v[6:7], v[74:75], v[38:39]
	ds_read_b128 v[74:77], v96 offset:1168
	v_fma_f64 v[48:49], -v[6:7], v[72:73], v[48:49]
	ds_read_b128 v[70:73], v96 offset:1136
	s_waitcnt lgkmcnt(1)
	v_fma_f64 v[20:21], -v[8:9], v[74:75], v[20:21]
	v_fma_f64 v[22:23], -v[8:9], v[76:77], v[22:23]
	ds_read2_b64 v[74:77], v96 offset0:179 offset1:180
	s_waitcnt lgkmcnt(1)
	v_fma_f64 v[48:49], -v[8:9], v[70:71], v[48:49]
	s_waitcnt lgkmcnt(0)
	v_fma_f64 v[24:25], -v[10:11], v[76:77], v[24:25]
	ds_read_b128 v[76:79], v96 offset:1696
	v_fma_f64 v[22:23], -v[10:11], v[74:75], v[22:23]
	v_fma_f64 v[48:49], -v[10:11], v[68:69], v[48:49]
	ds_read_b128 v[66:69], v96 offset:1648
	s_waitcnt lgkmcnt(1)
	v_fma_f64 v[26:27], -v[12:13], v[78:79], v[26:27]
	ds_read2_b64 v[78:81], v96 offset0:245 offset1:246
	v_fma_f64 v[24:25], -v[12:13], v[76:77], v[24:25]
	s_waitcnt lgkmcnt(1)
	v_fma_f64 v[48:49], -v[12:13], v[66:67], v[48:49]
	s_waitcnt lgkmcnt(0)
	v_fma_f64 v[28:29], -v[14:15], v[80:81], v[28:29]
	ds_read_b128 v[80:83], v96 offset:2224
	v_fma_f64 v[26:27], -v[14:15], v[78:79], v[26:27]
	s_waitcnt lgkmcnt(0)
	v_fma_f64 v[30:31], -v[16:17], v[82:83], v[30:31]
	v_fma_f64 v[48:49], -v[14:15], v[64:65], v[48:49]
	ds_read_b128 v[62:65], v96 offset:2160
	v_fma_f64 v[28:29], -v[16:17], v[80:81], v[28:29]
	ds_read_b128 v[80:83], v96 offset:704
	s_waitcnt lgkmcnt(1)
	v_fma_f64 v[48:49], -v[16:17], v[62:63], v[48:49]
	s_waitcnt lgkmcnt(0)
	v_fma_f64 v[40:41], -v[4:5], v[80:81], v[40:41]
	v_fma_f64 v[48:49], -v[18:19], v[60:61], v[48:49]
	ds_read_b128 v[58:61], v96 offset:2672
	v_fma_f64 v[40:41], -v[6:7], v[110:111], v[40:41]
	ds_read2_b64 v[108:111], v96 offset0:57 offset1:58
	s_waitcnt lgkmcnt(1)
	v_fma_f64 v[48:49], -v[32:33], v[58:59], v[48:49]
	v_fma_f64 v[40:41], -v[8:9], v[84:85], v[40:41]
	;; [unrolled: 1-line block ×3, first 2 shown]
	ds_read_b128 v[54:57], v96 offset:3184
	v_fma_f64 v[40:41], -v[10:11], v[118:119], v[40:41]
	s_waitcnt lgkmcnt(0)
	v_fma_f64 v[48:49], -v[44:45], v[54:55], v[48:49]
	v_fma_f64 v[48:49], -v[46:47], v[52:53], v[48:49]
	ds_read_b128 v[52:55], v96 offset:3696
	s_waitcnt lgkmcnt(0)
	v_mul_f64 v[48:49], v[52:53], v[48:49]
	ds_read2_b64 v[50:53], v96 offset0:111 offset1:112
	s_waitcnt lgkmcnt(0)
	v_fma_f64 v[42:43], -v[6:7], v[50:51], v[42:43]
	v_mov_b32_e32 v50, s7
	s_add_i32 s7, s6, 0xb78
	v_fma_f64 v[36:37], -v[6:7], v[52:53], v[36:37]
	v_fma_f64 v[42:43], -v[8:9], v[72:73], v[42:43]
	ds_read2_b64 v[70:73], v96 offset0:175 offset1:176
	s_waitcnt lgkmcnt(0)
	v_fma_f64 v[42:43], -v[10:11], v[70:71], v[42:43]
	v_fma_f64 v[42:43], -v[12:13], v[68:69], v[42:43]
	ds_read2_b64 v[66:69], v96 offset0:239 offset1:240
	s_waitcnt lgkmcnt(0)
	v_fma_f64 v[42:43], -v[14:15], v[66:67], v[42:43]
	v_fma_f64 v[42:43], -v[16:17], v[64:65], v[42:43]
	ds_read2_b64 v[62:65], v50 offset1:1
	v_mov_b32_e32 v50, s7
	s_add_i32 s7, s6, 0xd78
	s_waitcnt lgkmcnt(0)
	v_fma_f64 v[42:43], -v[18:19], v[62:63], v[42:43]
	v_fma_f64 v[42:43], -v[32:33], v[60:61], v[42:43]
	ds_read2_b64 v[58:61], v50 offset1:1
	v_mov_b32_e32 v50, s7
	s_or_b32 s7, s4, 15
	s_mul_i32 s8, s7, 0x108
	s_lshl_b32 s7, s7, 8
	s_add_i32 s7, s3, s7
	v_mov_b32_e32 v100, s7
	s_waitcnt lgkmcnt(0)
	v_fma_f64 v[42:43], -v[34:35], v[58:59], v[42:43]
	ds_read2_b64 v[132:135], v100 offset0:23 offset1:24
	ds_read2_b64 v[116:119], v100 offset0:25 offset1:26
	v_fma_f64 v[42:43], -v[44:45], v[56:57], v[42:43]
	ds_read2_b64 v[56:59], v50 offset1:1
	v_mov_b32_e32 v50, s8
	s_or_b32 s8, s4, 16
	s_mul_i32 s9, s8, 0x108
	s_lshl_b32 s7, s8, 8
	s_or_b32 s8, s4, 17
	s_add_i32 s7, s3, s7
	s_waitcnt lgkmcnt(0)
	v_fma_f64 v[42:43], -v[46:47], v[56:57], v[42:43]
	v_mov_b32_e32 v101, s7
	s_lshl_b32 s7, s8, 8
	s_add_i32 s7, s3, s7
	v_mov_b32_e32 v99, s7
	v_fma_f64 v[42:43], -v[48:49], v[54:55], v[42:43]
	ds_read2_b64 v[54:57], v50 offset1:1
	s_waitcnt lgkmcnt(0)
	v_mul_f64 v[50:51], v[54:55], v[42:43]
	ds_read_b128 v[52:55], v96 offset:1152
	v_mov_b32_e32 v42, s9
	s_add_i32 s9, s6, 0x988
	s_waitcnt lgkmcnt(0)
	v_fma_f64 v[36:37], -v[8:9], v[52:53], v[36:37]
	v_fma_f64 v[38:39], -v[8:9], v[54:55], v[38:39]
	ds_read2_b64 v[52:55], v96 offset0:177 offset1:178
	global_store_dwordx4 v[88:89], v[48:51], off offset:112
	s_waitcnt lgkmcnt(0)
	v_fma_f64 v[20:21], -v[10:11], v[54:55], v[20:21]
	v_fma_f64 v[36:37], -v[10:11], v[72:73], v[36:37]
	ds_read_b128 v[70:73], v96 offset:1664
	v_fma_f64 v[38:39], -v[10:11], v[52:53], v[38:39]
	ds_read_b128 v[52:55], v96 offset:1680
	s_waitcnt lgkmcnt(1)
	v_fma_f64 v[36:37], -v[12:13], v[70:71], v[36:37]
	s_waitcnt lgkmcnt(0)
	v_fma_f64 v[20:21], -v[12:13], v[52:53], v[20:21]
	v_fma_f64 v[38:39], -v[12:13], v[72:73], v[38:39]
	ds_read2_b64 v[70:73], v96 offset0:241 offset1:242
	v_fma_f64 v[22:23], -v[12:13], v[54:55], v[22:23]
	ds_read2_b64 v[52:55], v96 offset0:243 offset1:244
	v_fma_f64 v[36:37], -v[14:15], v[68:69], v[36:37]
	ds_read_b128 v[66:69], v96 offset:2176
	s_waitcnt lgkmcnt(2)
	v_fma_f64 v[38:39], -v[14:15], v[70:71], v[38:39]
	v_fma_f64 v[20:21], -v[14:15], v[72:73], v[20:21]
	ds_read_b128 v[70:73], v96 offset:2192
	s_waitcnt lgkmcnt(2)
	v_fma_f64 v[22:23], -v[14:15], v[52:53], v[22:23]
	;; [unrolled: 4-line block ×3, first 2 shown]
	v_fma_f64 v[38:39], -v[16:17], v[68:69], v[38:39]
	s_waitcnt lgkmcnt(1)
	v_fma_f64 v[20:21], -v[16:17], v[70:71], v[20:21]
	s_waitcnt lgkmcnt(0)
	v_fma_f64 v[26:27], -v[16:17], v[54:55], v[26:27]
	v_fma_f64 v[22:23], -v[16:17], v[72:73], v[22:23]
	;; [unrolled: 1-line block ×4, first 2 shown]
	ds_read_b128 v[62:65], v96 offset:2688
	s_waitcnt lgkmcnt(0)
	v_fma_f64 v[36:37], -v[32:33], v[62:63], v[36:37]
	v_fma_f64 v[36:37], -v[34:35], v[60:61], v[36:37]
	ds_read_b128 v[60:63], v96 offset:3200
	s_waitcnt lgkmcnt(0)
	v_fma_f64 v[36:37], -v[44:45], v[60:61], v[36:37]
	v_fma_f64 v[36:37], -v[46:47], v[58:59], v[36:37]
	ds_read_b128 v[58:61], v96 offset:3712
	s_waitcnt lgkmcnt(0)
	v_fma_f64 v[36:37], -v[48:49], v[58:59], v[36:37]
	v_fma_f64 v[36:37], -v[50:51], v[56:57], v[36:37]
	ds_read_b128 v[56:59], v42
	v_mov_b32_e32 v42, s9
	ds_read2_b64 v[66:69], v42 offset1:1
	s_add_i32 s9, s6, 0xb88
	v_mov_b32_e32 v42, s9
	s_add_i32 s9, s6, 0xd88
	s_waitcnt lgkmcnt(0)
	v_fma_f64 v[38:39], -v[18:19], v[66:67], v[38:39]
	v_mul_f64 v[36:37], v[56:57], v[36:37]
	v_fma_f64 v[20:21], -v[18:19], v[68:69], v[20:21]
	ds_read_b128 v[68:71], v96 offset:2704
	v_fma_f64 v[38:39], -v[32:33], v[64:65], v[38:39]
	ds_read2_b64 v[64:67], v42 offset1:1
	v_mov_b32_e32 v42, s9
	s_mul_i32 s9, s8, 0x108
	s_waitcnt lgkmcnt(1)
	v_fma_f64 v[20:21], -v[32:33], v[68:69], v[20:21]
	s_or_b32 s8, s4, 18
	s_lshl_b32 s7, s8, 8
	s_add_i32 s7, s3, s7
	s_waitcnt lgkmcnt(0)
	v_fma_f64 v[38:39], -v[34:35], v[64:65], v[38:39]
	v_mov_b32_e32 v102, s7
	v_fma_f64 v[20:21], -v[34:35], v[66:67], v[20:21]
	ds_read_b128 v[66:69], v96 offset:3216
	v_fma_f64 v[38:39], -v[44:45], v[62:63], v[38:39]
	ds_read2_b64 v[62:65], v42 offset1:1
	v_mov_b32_e32 v42, s9
	s_mul_i32 s9, s8, 0x108
	s_waitcnt lgkmcnt(1)
	v_fma_f64 v[20:21], -v[44:45], v[66:67], v[20:21]
	s_or_b32 s8, s4, 19
	s_lshl_b32 s7, s8, 8
	s_add_i32 s7, s3, s7
	s_waitcnt lgkmcnt(0)
	v_fma_f64 v[38:39], -v[46:47], v[62:63], v[38:39]
	v_mov_b32_e32 v97, s7
	ds_read2_b64 v[136:139], v97 offset0:23 offset1:24
	v_fma_f64 v[20:21], -v[46:47], v[64:65], v[20:21]
	ds_read_b128 v[64:67], v96 offset:3728
	v_fma_f64 v[38:39], -v[48:49], v[60:61], v[38:39]
	ds_read2_b64 v[60:63], v100 offset0:17 offset1:18
	s_waitcnt lgkmcnt(1)
	v_fma_f64 v[20:21], -v[48:49], v[64:65], v[20:21]
	s_waitcnt lgkmcnt(0)
	v_fma_f64 v[38:39], -v[50:51], v[60:61], v[38:39]
	v_fma_f64 v[20:21], -v[50:51], v[62:63], v[20:21]
	ds_read_b128 v[60:63], v101 offset:144
	v_fma_f64 v[38:39], -v[36:37], v[58:59], v[38:39]
	ds_read2_b64 v[56:59], v42 offset1:1
	v_mov_b32_e32 v42, s9
	s_add_i32 s9, s6, 0x998
	s_waitcnt lgkmcnt(1)
	v_fma_f64 v[20:21], -v[36:37], v[60:61], v[20:21]
	s_waitcnt lgkmcnt(0)
	v_mul_f64 v[38:39], v[56:57], v[38:39]
	v_fma_f64 v[20:21], -v[38:39], v[58:59], v[20:21]
	ds_read_b128 v[56:59], v42
	v_mov_b32_e32 v42, s9
	ds_read2_b64 v[72:75], v42 offset1:1
	s_add_i32 s9, s6, 0xb98
	v_mov_b32_e32 v42, s9
	s_add_i32 s9, s6, 0xd98
	global_store_dwordx4 v[88:89], v[36:39], off offset:128
	s_waitcnt lgkmcnt(0)
	v_fma_f64 v[22:23], -v[18:19], v[72:73], v[22:23]
	v_fma_f64 v[24:25], -v[18:19], v[74:75], v[24:25]
	ds_read_b128 v[74:77], v96 offset:2720
	v_mul_f64 v[20:21], v[56:57], v[20:21]
	v_fma_f64 v[22:23], -v[32:33], v[70:71], v[22:23]
	ds_read2_b64 v[70:73], v42 offset1:1
	v_mov_b32_e32 v42, s9
	s_waitcnt lgkmcnt(1)
	v_fma_f64 v[24:25], -v[32:33], v[74:75], v[24:25]
	s_mul_i32 s9, s8, 0x108
	s_or_b32 s8, s4, 20
	s_lshl_b32 s7, s8, 8
	s_add_i32 s7, s3, s7
	s_waitcnt lgkmcnt(0)
	v_fma_f64 v[22:23], -v[34:35], v[70:71], v[22:23]
	v_mov_b32_e32 v103, s7
	v_fma_f64 v[24:25], -v[34:35], v[72:73], v[24:25]
	ds_read_b128 v[72:75], v96 offset:3232
	v_fma_f64 v[22:23], -v[44:45], v[68:69], v[22:23]
	ds_read2_b64 v[68:71], v42 offset1:1
	v_mov_b32_e32 v42, s9
	s_waitcnt lgkmcnt(1)
	v_fma_f64 v[24:25], -v[44:45], v[72:73], v[24:25]
	s_mul_i32 s9, s8, 0x108
	s_or_b32 s8, s4, 21
	s_lshl_b32 s7, s8, 8
	s_add_i32 s7, s3, s7
	s_waitcnt lgkmcnt(0)
	v_fma_f64 v[22:23], -v[46:47], v[68:69], v[22:23]
	v_mov_b32_e32 v98, s7
	v_fma_f64 v[24:25], -v[46:47], v[70:71], v[24:25]
	ds_read_b128 v[68:71], v96 offset:3744
	v_fma_f64 v[22:23], -v[48:49], v[66:67], v[22:23]
	ds_read2_b64 v[64:67], v100 offset0:19 offset1:20
	s_waitcnt lgkmcnt(1)
	v_fma_f64 v[24:25], -v[48:49], v[68:69], v[24:25]
	s_waitcnt lgkmcnt(0)
	v_fma_f64 v[22:23], -v[50:51], v[64:65], v[22:23]
	v_fma_f64 v[24:25], -v[50:51], v[66:67], v[24:25]
	ds_read_b128 v[64:67], v101 offset:160
	v_fma_f64 v[22:23], -v[36:37], v[62:63], v[22:23]
	ds_read2_b64 v[60:63], v99 offset0:19 offset1:20
	s_waitcnt lgkmcnt(1)
	v_fma_f64 v[24:25], -v[36:37], v[64:65], v[24:25]
	s_waitcnt lgkmcnt(0)
	v_fma_f64 v[22:23], -v[38:39], v[60:61], v[22:23]
	v_fma_f64 v[24:25], -v[38:39], v[62:63], v[24:25]
	ds_read_b128 v[60:63], v102 offset:160
	v_fma_f64 v[22:23], -v[20:21], v[58:59], v[22:23]
	ds_read2_b64 v[56:59], v42 offset1:1
	v_mov_b32_e32 v42, s9
	s_waitcnt lgkmcnt(1)
	v_fma_f64 v[24:25], -v[20:21], v[60:61], v[24:25]
	s_add_i32 s9, s6, 0x9a8
	s_waitcnt lgkmcnt(0)
	v_mul_f64 v[22:23], v[56:57], v[22:23]
	v_fma_f64 v[24:25], -v[22:23], v[58:59], v[24:25]
	ds_read_b128 v[56:59], v42
	v_mov_b32_e32 v42, s9
	ds_read2_b64 v[52:55], v42 offset1:1
	s_add_i32 s9, s6, 0xba8
	v_mov_b32_e32 v42, s9
	s_add_i32 s9, s6, 0xda8
	global_store_dwordx4 v[88:89], v[20:23], off offset:144
	s_waitcnt lgkmcnt(0)
	v_fma_f64 v[26:27], -v[18:19], v[52:53], v[26:27]
	v_fma_f64 v[28:29], -v[18:19], v[54:55], v[28:29]
	ds_read_b128 v[52:55], v96 offset:2736
	v_mul_f64 v[24:25], v[56:57], v[24:25]
	v_fma_f64 v[26:27], -v[32:33], v[76:77], v[26:27]
	ds_read2_b64 v[76:79], v42 offset1:1
	s_waitcnt lgkmcnt(1)
	v_fma_f64 v[28:29], -v[32:33], v[52:53], v[28:29]
	v_mov_b32_e32 v42, s9
	s_mul_i32 s9, s8, 0x108
	s_or_b32 s8, s4, 22
	s_lshl_b32 s7, s8, 8
	s_add_i32 s7, s3, s7
	s_waitcnt lgkmcnt(0)
	v_fma_f64 v[26:27], -v[34:35], v[76:77], v[26:27]
	v_fma_f64 v[28:29], -v[34:35], v[78:79], v[28:29]
	ds_read_b128 v[76:79], v96 offset:3248
	v_fma_f64 v[26:27], -v[44:45], v[74:75], v[26:27]
	ds_read2_b64 v[72:75], v42 offset1:1
	s_waitcnt lgkmcnt(1)
	v_fma_f64 v[28:29], -v[44:45], v[76:77], v[28:29]
	v_mov_b32_e32 v42, s9
	s_mul_i32 s9, s8, 0x108
	s_or_b32 s8, s4, 23
	s_waitcnt lgkmcnt(0)
	v_fma_f64 v[26:27], -v[46:47], v[72:73], v[26:27]
	v_fma_f64 v[28:29], -v[46:47], v[74:75], v[28:29]
	ds_read_b128 v[72:75], v96 offset:3760
	v_fma_f64 v[26:27], -v[48:49], v[70:71], v[26:27]
	ds_read2_b64 v[68:71], v100 offset0:21 offset1:22
	s_waitcnt lgkmcnt(1)
	v_fma_f64 v[28:29], -v[48:49], v[72:73], v[28:29]
	s_waitcnt lgkmcnt(0)
	v_fma_f64 v[26:27], -v[50:51], v[68:69], v[26:27]
	v_fma_f64 v[28:29], -v[50:51], v[70:71], v[28:29]
	ds_read_b128 v[68:71], v101 offset:176
	v_fma_f64 v[26:27], -v[36:37], v[66:67], v[26:27]
	ds_read2_b64 v[64:67], v99 offset0:21 offset1:22
	s_waitcnt lgkmcnt(1)
	v_fma_f64 v[28:29], -v[36:37], v[68:69], v[28:29]
	;; [unrolled: 8-line block ×3, first 2 shown]
	s_waitcnt lgkmcnt(0)
	v_fma_f64 v[26:27], -v[22:23], v[60:61], v[26:27]
	v_fma_f64 v[28:29], -v[22:23], v[62:63], v[28:29]
	ds_read_b128 v[60:63], v103 offset:176
	v_fma_f64 v[26:27], -v[24:25], v[58:59], v[26:27]
	ds_read2_b64 v[56:59], v42 offset1:1
	s_waitcnt lgkmcnt(1)
	v_fma_f64 v[28:29], -v[24:25], v[60:61], v[28:29]
	v_mov_b32_e32 v42, s9
	s_add_i32 s9, s6, 0x9b8
	s_waitcnt lgkmcnt(0)
	v_mul_f64 v[26:27], v[56:57], v[26:27]
	v_fma_f64 v[28:29], -v[26:27], v[58:59], v[28:29]
	ds_read_b128 v[56:59], v42
	v_mov_b32_e32 v42, s9
	s_add_i32 s9, s6, 0xbb8
	global_store_dwordx4 v[88:89], v[24:27], off offset:160
	ds_read2_b64 v[124:127], v42 offset1:1
	v_mov_b32_e32 v42, s9
	s_add_i32 s9, s6, 0xdb8
	s_waitcnt lgkmcnt(1)
	v_mul_f64 v[28:29], v[56:57], v[28:29]
	s_waitcnt lgkmcnt(0)
	v_fma_f64 v[30:31], -v[18:19], v[124:125], v[30:31]
	v_fma_f64 v[30:31], -v[32:33], v[54:55], v[30:31]
	ds_read2_b64 v[52:55], v42 offset1:1
	v_mov_b32_e32 v42, s9
	s_mul_i32 s9, s8, 0x108
	ds_read2_b64 v[128:131], v42 offset1:1
	s_waitcnt lgkmcnt(1)
	v_fma_f64 v[30:31], -v[34:35], v[52:53], v[30:31]
	v_fma_f64 v[30:31], -v[44:45], v[78:79], v[30:31]
	ds_read_b128 v[78:81], v96 offset:2240
	v_mov_b32_e32 v42, s9
	ds_read2_b64 v[140:143], v42 offset1:1
	s_waitcnt lgkmcnt(2)
	v_fma_f64 v[30:31], -v[46:47], v[128:129], v[30:31]
	v_fma_f64 v[30:31], -v[48:49], v[74:75], v[30:31]
	ds_read_b128 v[74:77], v96 offset:1728
	v_fma_f64 v[30:31], -v[50:51], v[132:133], v[30:31]
	v_fma_f64 v[30:31], -v[36:37], v[70:71], v[30:31]
	ds_read2_b64 v[68:71], v99 offset0:23 offset1:24
	s_waitcnt lgkmcnt(0)
	v_fma_f64 v[30:31], -v[38:39], v[68:69], v[30:31]
	v_fma_f64 v[30:31], -v[20:21], v[66:67], v[30:31]
	ds_read_b128 v[66:69], v96 offset:3264
	v_fma_f64 v[40:41], -v[12:13], v[74:75], v[40:41]
	ds_read_b128 v[72:75], v96 offset:2752
	v_fma_f64 v[30:31], -v[22:23], v[136:137], v[30:31]
	v_fma_f64 v[40:41], -v[14:15], v[122:123], v[40:41]
	ds_read_b128 v[120:123], v96 offset:208
	v_fma_f64 v[30:31], -v[24:25], v[62:63], v[30:31]
	ds_read2_b64 v[62:65], v98 offset0:23 offset1:24
	v_fma_f64 v[40:41], -v[16:17], v[78:79], v[40:41]
	s_waitcnt lgkmcnt(0)
	v_fma_f64 v[30:31], -v[26:27], v[62:63], v[30:31]
	ds_read_b128 v[60:63], v103 offset:192
	v_fma_f64 v[40:41], -v[18:19], v[126:127], v[40:41]
	v_fma_f64 v[30:31], -v[28:29], v[58:59], v[30:31]
	ds_read_b128 v[56:59], v102 offset:192
	v_fma_f64 v[40:41], -v[32:33], v[72:73], v[40:41]
	v_mul_f64 v[30:31], v[140:141], v[30:31]
	v_fma_f64 v[40:41], -v[34:35], v[54:55], v[40:41]
	global_store_dwordx4 v[88:89], v[28:31], off offset:176
	v_fma_f64 v[40:41], -v[44:45], v[66:67], v[40:41]
	v_fma_f64 v[52:53], -v[46:47], v[130:131], v[40:41]
	ds_read_b128 v[40:43], v96 offset:3776
	s_waitcnt lgkmcnt(0)
	v_fma_f64 v[40:41], -v[48:49], v[40:41], v[52:53]
	ds_read_b128 v[52:55], v101 offset:192
	v_fma_f64 v[40:41], -v[50:51], v[134:135], v[40:41]
	s_waitcnt lgkmcnt(0)
	v_fma_f64 v[40:41], -v[36:37], v[52:53], v[40:41]
	v_fma_f64 v[40:41], -v[38:39], v[70:71], v[40:41]
	;; [unrolled: 1-line block ×3, first 2 shown]
	v_mov_b32_e32 v56, s7
	s_lshl_b32 s7, s8, 8
	s_add_i32 s8, s3, s7
	s_or_b32 s7, s4, 24
	s_mul_i32 s9, s7, 0x108
	v_mov_b32_e32 v52, s9
	s_add_i32 s9, s6, 0x9c8
	v_mov_b32_e32 v57, s9
	s_add_i32 s9, s6, 0xbc8
	s_addk_i32 s6, 0xdc8
	v_fma_f64 v[40:41], -v[22:23], v[138:139], v[40:41]
	ds_read_b128 v[70:73], v52
	v_fma_f64 v[52:53], -v[0:1], v[146:147], v[94:95]
	v_fma_f64 v[40:41], -v[24:25], v[60:61], v[40:41]
	;; [unrolled: 1-line block ×4, first 2 shown]
	ds_read_b128 v[64:67], v56 offset:192
	v_fma_f64 v[52:53], -v[4:5], v[82:83], v[52:53]
	ds_read2_b64 v[82:85], v96 offset0:121 offset1:122
	s_waitcnt lgkmcnt(1)
	v_fma_f64 v[40:41], -v[28:29], v[64:65], v[40:41]
	s_waitcnt lgkmcnt(0)
	v_fma_f64 v[52:53], -v[6:7], v[82:83], v[52:53]
	v_fma_f64 v[40:41], -v[30:31], v[142:143], v[40:41]
	v_fma_f64 v[52:53], -v[8:9], v[86:87], v[52:53]
	v_mul_f64 v[40:41], v[70:71], v[40:41]
	v_fma_f64 v[52:53], -v[10:11], v[112:113], v[52:53]
	v_fma_f64 v[52:53], -v[12:13], v[76:77], v[52:53]
	ds_read2_b64 v[76:79], v96 offset0:249 offset1:250
	s_waitcnt lgkmcnt(0)
	v_fma_f64 v[52:53], -v[14:15], v[76:77], v[52:53]
	v_fma_f64 v[52:53], -v[16:17], v[80:81], v[52:53]
	ds_read2_b64 v[80:83], v57 offset1:1
	v_mov_b32_e32 v57, s9
	s_waitcnt lgkmcnt(0)
	v_fma_f64 v[52:53], -v[18:19], v[80:81], v[52:53]
	v_fma_f64 v[52:53], -v[32:33], v[74:75], v[52:53]
	ds_read2_b64 v[74:77], v57 offset1:1
	v_mov_b32_e32 v57, s6
	s_lshl_b32 s6, s7, 8
	s_add_i32 s7, s3, s6
	s_or_b32 s6, s4, 25
	s_or_b32 s4, s4, 26
	s_mulk_i32 s4, 0x108
	s_waitcnt lgkmcnt(0)
	v_fma_f64 v[52:53], -v[34:35], v[74:75], v[52:53]
	v_fma_f64 v[52:53], -v[44:45], v[68:69], v[52:53]
	ds_read2_b64 v[68:71], v57 offset1:1
	s_waitcnt lgkmcnt(0)
	v_fma_f64 v[52:53], -v[46:47], v[68:69], v[52:53]
	v_fma_f64 v[42:43], -v[48:49], v[42:43], v[52:53]
	;; [unrolled: 1-line block ×4, first 2 shown]
	ds_read2_b64 v[52:55], v99 offset0:25 offset1:26
	s_waitcnt lgkmcnt(0)
	v_fma_f64 v[42:43], -v[38:39], v[52:53], v[42:43]
	v_fma_f64 v[42:43], -v[20:21], v[58:59], v[42:43]
	ds_read2_b64 v[57:60], v97 offset0:25 offset1:26
	s_waitcnt lgkmcnt(0)
	v_fma_f64 v[42:43], -v[22:23], v[57:58], v[42:43]
	v_fma_f64 v[42:43], -v[24:25], v[62:63], v[42:43]
	ds_read2_b64 v[61:64], v98 offset0:25 offset1:26
	s_waitcnt lgkmcnt(0)
	v_fma_f64 v[42:43], -v[26:27], v[61:62], v[42:43]
	v_mov_b32_e32 v62, s8
	s_mul_i32 s8, s6, 0x108
	s_lshl_b32 s6, s6, 8
	v_mov_b32_e32 v52, s8
	s_add_i32 s3, s3, s6
	v_fma_f64 v[42:43], -v[28:29], v[66:67], v[42:43]
	ds_read2_b64 v[65:68], v62 offset0:25 offset1:26
	s_waitcnt lgkmcnt(0)
	v_fma_f64 v[42:43], -v[30:31], v[65:66], v[42:43]
	v_fma_f64 v[42:43], -v[40:41], v[72:73], v[42:43]
	ds_read2_b64 v[72:75], v52 offset1:1
	v_fma_f64 v[52:53], -v[0:1], v[120:121], v[92:93]
	ds_read_b128 v[92:95], v96 offset:720
	v_fma_f64 v[0:1], -v[0:1], v[122:123], v[90:91]
	s_waitcnt lgkmcnt(1)
	v_mul_f64 v[42:43], v[72:73], v[42:43]
	v_fma_f64 v[52:53], -v[2:3], v[110:111], v[52:53]
	ds_read_b128 v[108:111], v96 offset:1744
	global_store_dwordx4 v[88:89], v[40:43], off offset:192
	s_waitcnt lgkmcnt(1)
	v_fma_f64 v[52:53], -v[4:5], v[92:93], v[52:53]
	v_fma_f64 v[52:53], -v[6:7], v[84:85], v[52:53]
	ds_read_b128 v[84:87], v96 offset:1232
	s_waitcnt lgkmcnt(0)
	v_fma_f64 v[52:53], -v[8:9], v[84:85], v[52:53]
	v_fma_f64 v[52:53], -v[10:11], v[114:115], v[52:53]
	ds_read_b128 v[112:115], v101 offset:208
	v_fma_f64 v[52:53], -v[12:13], v[108:109], v[52:53]
	v_fma_f64 v[52:53], -v[14:15], v[78:79], v[52:53]
	ds_read_b128 v[78:81], v96 offset:2256
	s_waitcnt lgkmcnt(0)
	v_fma_f64 v[52:53], -v[16:17], v[78:79], v[52:53]
	v_fma_f64 v[52:53], -v[18:19], v[82:83], v[52:53]
	ds_read_b128 v[82:85], v96 offset:2768
	s_waitcnt lgkmcnt(0)
	;; [unrolled: 4-line block ×4, first 2 shown]
	v_fma_f64 v[52:53], -v[48:49], v[69:70], v[52:53]
	v_fma_f64 v[52:53], -v[50:51], v[118:119], v[52:53]
	ds_read_b128 v[116:119], v102 offset:208
	v_fma_f64 v[52:53], -v[36:37], v[112:113], v[52:53]
	v_fma_f64 v[52:53], -v[38:39], v[54:55], v[52:53]
	v_mov_b32_e32 v54, s7
	s_waitcnt lgkmcnt(0)
	v_fma_f64 v[52:53], -v[20:21], v[116:117], v[52:53]
	v_fma_f64 v[52:53], -v[22:23], v[59:60], v[52:53]
	ds_read_b128 v[58:61], v103 offset:208
	s_waitcnt lgkmcnt(0)
	v_fma_f64 v[52:53], -v[24:25], v[58:59], v[52:53]
	ds_read_b128 v[56:59], v56 offset:208
	v_fma_f64 v[52:53], -v[26:27], v[63:64], v[52:53]
	s_waitcnt lgkmcnt(0)
	v_fma_f64 v[52:53], -v[28:29], v[56:57], v[52:53]
	ds_read_b128 v[54:57], v54 offset:208
	v_fma_f64 v[52:53], -v[30:31], v[67:68], v[52:53]
	s_waitcnt lgkmcnt(0)
	v_fma_f64 v[52:53], -v[40:41], v[54:55], v[52:53]
	v_fma_f64 v[63:64], -v[42:43], v[74:75], v[52:53]
	v_mov_b32_e32 v52, s4
	s_mov_b32 s4, s2
	ds_read_b128 v[52:55], v52
	s_waitcnt lgkmcnt(0)
	v_mul_f64 v[52:53], v[52:53], v[63:64]
	ds_read2_b64 v[63:66], v96 offset0:59 offset1:123
	s_waitcnt lgkmcnt(0)
	v_fma_f64 v[0:1], -v[2:3], v[63:64], v[0:1]
	v_fma_f64 v[0:1], -v[4:5], v[94:95], v[0:1]
	;; [unrolled: 1-line block ×4, first 2 shown]
	ds_read2_b64 v[0:3], v96 offset0:187 offset1:251
	s_waitcnt lgkmcnt(0)
	v_fma_f64 v[0:1], -v[10:11], v[0:1], v[4:5]
	v_fma_f64 v[0:1], -v[12:13], v[110:111], v[0:1]
	;; [unrolled: 1-line block ×4, first 2 shown]
	v_add_u32_e32 v0, 0x1d8, v96
	ds_read2st64_b64 v[0:3], v0 offset0:4 offset1:5
	s_waitcnt lgkmcnt(0)
	v_fma_f64 v[0:1], -v[18:19], v[0:1], v[4:5]
	v_fma_f64 v[0:1], -v[32:33], v[84:85], v[0:1]
	;; [unrolled: 1-line block ×3, first 2 shown]
	ds_read_b64 v[2:3], v96 offset:3544
	v_fma_f64 v[0:1], -v[44:45], v[78:79], v[0:1]
	s_waitcnt lgkmcnt(0)
	v_fma_f64 v[0:1], -v[46:47], v[2:3], v[0:1]
	ds_read_b64 v[2:3], v100 offset:216
	v_fma_f64 v[0:1], -v[48:49], v[71:72], v[0:1]
	s_waitcnt lgkmcnt(0)
	v_fma_f64 v[0:1], -v[50:51], v[2:3], v[0:1]
	;; [unrolled: 4-line block ×6, first 2 shown]
	v_mov_b32_e32 v2, s3
	s_mul_i32 s3, s5, 0x108
	ds_read_b64 v[2:3], v2 offset:216
	v_fma_f64 v[0:1], -v[40:41], v[56:57], v[0:1]
	s_waitcnt lgkmcnt(0)
	v_fma_f64 v[0:1], -v[42:43], v[2:3], v[0:1]
	v_mov_b32_e32 v2, s3
	ds_read_b64 v[2:3], v2
	v_fma_f64 v[0:1], -v[52:53], v[54:55], v[0:1]
	s_waitcnt lgkmcnt(0)
	v_mul_f64 v[54:55], v[2:3], v[0:1]
	global_store_dwordx4 v[88:89], v[52:55], off offset:208
.LBB105_39:
	s_cmp_ge_i32 s4, s33
	s_cbranch_scc1 .LBB105_44
; %bb.40:
	s_lshl_b32 s2, s4, 3
	s_mov_b32 s5, 0
	s_branch .LBB105_42
.LBB105_41:                             ;   in Loop: Header=BB105_42 Depth=1
	s_mul_i32 s3, s4, 0x108
	v_mov_b32_e32 v4, s3
	ds_read_b64 v[4:5], v4
	s_add_i32 s4, s4, 1
	s_add_i32 s2, s2, 8
	s_cmp_ge_i32 s4, s33
	s_waitcnt lgkmcnt(0)
	v_mul_f64 v[2:3], v[4:5], v[2:3]
	global_store_dwordx2 v[0:1], v[2:3], off
	s_cbranch_scc1 .LBB105_44
.LBB105_42:                             ; =>This Loop Header: Depth=1
                                        ;     Child Loop BB105_43 Depth 2
	s_lshl_b64 s[6:7], s[4:5], 3
	v_mov_b32_e32 v1, s7
	v_add_co_u32_e32 v0, vcc, s6, v106
	v_addc_co_u32_e32 v1, vcc, v107, v1, vcc
	global_load_dwordx2 v[2:3], v[0:1], off
	v_mov_b32_e32 v4, v106
	s_cmp_eq_u32 s4, 0
	v_mov_b32_e32 v5, v107
	s_mov_b32 s3, s2
	s_mov_b32 s6, s4
	s_waitcnt vmcnt(0)
	v_mul_f64 v[2:3], s[0:1], v[2:3]
	s_cbranch_scc1 .LBB105_41
.LBB105_43:                             ;   Parent Loop BB105_42 Depth=1
                                        ; =>  This Inner Loop Header: Depth=2
	global_load_dwordx2 v[6:7], v[4:5], off
	v_mov_b32_e32 v8, s3
	ds_read_b64 v[8:9], v8
	s_add_i32 s6, s6, -1
	s_addk_i32 s3, 0x100
	v_add_co_u32_e32 v4, vcc, 8, v4
	s_cmp_lg_u32 s6, 0
	v_addc_co_u32_e32 v5, vcc, 0, v5, vcc
	s_waitcnt vmcnt(0) lgkmcnt(0)
	v_fma_f64 v[2:3], -v[6:7], v[8:9], v[2:3]
	s_cbranch_scc1 .LBB105_43
	s_branch .LBB105_41
.LBB105_44:
	s_endpgm
	.section	.rodata,"a",@progbits
	.p2align	6, 0x0
	.amdhsa_kernel _ZL30rocblas_trsm_small_left_deviceILi32ELi32ELb1EddPKdPdEv13rocblas_fill_18rocblas_operation_17rocblas_diagonal_iiT3_T4_lilT5_lili
		.amdhsa_group_segment_fixed_size 8192
		.amdhsa_private_segment_fixed_size 0
		.amdhsa_kernarg_size 360
		.amdhsa_user_sgpr_count 6
		.amdhsa_user_sgpr_private_segment_buffer 1
		.amdhsa_user_sgpr_dispatch_ptr 0
		.amdhsa_user_sgpr_queue_ptr 0
		.amdhsa_user_sgpr_kernarg_segment_ptr 1
		.amdhsa_user_sgpr_dispatch_id 0
		.amdhsa_user_sgpr_flat_scratch_init 0
		.amdhsa_user_sgpr_private_segment_size 0
		.amdhsa_uses_dynamic_stack 0
		.amdhsa_system_sgpr_private_segment_wavefront_offset 0
		.amdhsa_system_sgpr_workgroup_id_x 1
		.amdhsa_system_sgpr_workgroup_id_y 0
		.amdhsa_system_sgpr_workgroup_id_z 1
		.amdhsa_system_sgpr_workgroup_info 0
		.amdhsa_system_vgpr_workitem_id 0
		.amdhsa_next_free_vgpr 161
		.amdhsa_next_free_sgpr 98
		.amdhsa_reserve_vcc 1
		.amdhsa_reserve_flat_scratch 0
		.amdhsa_float_round_mode_32 0
		.amdhsa_float_round_mode_16_64 0
		.amdhsa_float_denorm_mode_32 3
		.amdhsa_float_denorm_mode_16_64 3
		.amdhsa_dx10_clamp 1
		.amdhsa_ieee_mode 1
		.amdhsa_fp16_overflow 0
		.amdhsa_exception_fp_ieee_invalid_op 0
		.amdhsa_exception_fp_denorm_src 0
		.amdhsa_exception_fp_ieee_div_zero 0
		.amdhsa_exception_fp_ieee_overflow 0
		.amdhsa_exception_fp_ieee_underflow 0
		.amdhsa_exception_fp_ieee_inexact 0
		.amdhsa_exception_int_div_zero 0
	.end_amdhsa_kernel
	.section	.text._ZL30rocblas_trsm_small_left_deviceILi32ELi32ELb1EddPKdPdEv13rocblas_fill_18rocblas_operation_17rocblas_diagonal_iiT3_T4_lilT5_lili,"axG",@progbits,_ZL30rocblas_trsm_small_left_deviceILi32ELi32ELb1EddPKdPdEv13rocblas_fill_18rocblas_operation_17rocblas_diagonal_iiT3_T4_lilT5_lili,comdat
.Lfunc_end105:
	.size	_ZL30rocblas_trsm_small_left_deviceILi32ELi32ELb1EddPKdPdEv13rocblas_fill_18rocblas_operation_17rocblas_diagonal_iiT3_T4_lilT5_lili, .Lfunc_end105-_ZL30rocblas_trsm_small_left_deviceILi32ELi32ELb1EddPKdPdEv13rocblas_fill_18rocblas_operation_17rocblas_diagonal_iiT3_T4_lilT5_lili
                                        ; -- End function
	.set _ZL30rocblas_trsm_small_left_deviceILi32ELi32ELb1EddPKdPdEv13rocblas_fill_18rocblas_operation_17rocblas_diagonal_iiT3_T4_lilT5_lili.num_vgpr, 161
	.set _ZL30rocblas_trsm_small_left_deviceILi32ELi32ELb1EddPKdPdEv13rocblas_fill_18rocblas_operation_17rocblas_diagonal_iiT3_T4_lilT5_lili.num_agpr, 0
	.set _ZL30rocblas_trsm_small_left_deviceILi32ELi32ELb1EddPKdPdEv13rocblas_fill_18rocblas_operation_17rocblas_diagonal_iiT3_T4_lilT5_lili.numbered_sgpr, 42
	.set _ZL30rocblas_trsm_small_left_deviceILi32ELi32ELb1EddPKdPdEv13rocblas_fill_18rocblas_operation_17rocblas_diagonal_iiT3_T4_lilT5_lili.num_named_barrier, 0
	.set _ZL30rocblas_trsm_small_left_deviceILi32ELi32ELb1EddPKdPdEv13rocblas_fill_18rocblas_operation_17rocblas_diagonal_iiT3_T4_lilT5_lili.private_seg_size, 0
	.set _ZL30rocblas_trsm_small_left_deviceILi32ELi32ELb1EddPKdPdEv13rocblas_fill_18rocblas_operation_17rocblas_diagonal_iiT3_T4_lilT5_lili.uses_vcc, 1
	.set _ZL30rocblas_trsm_small_left_deviceILi32ELi32ELb1EddPKdPdEv13rocblas_fill_18rocblas_operation_17rocblas_diagonal_iiT3_T4_lilT5_lili.uses_flat_scratch, 0
	.set _ZL30rocblas_trsm_small_left_deviceILi32ELi32ELb1EddPKdPdEv13rocblas_fill_18rocblas_operation_17rocblas_diagonal_iiT3_T4_lilT5_lili.has_dyn_sized_stack, 0
	.set _ZL30rocblas_trsm_small_left_deviceILi32ELi32ELb1EddPKdPdEv13rocblas_fill_18rocblas_operation_17rocblas_diagonal_iiT3_T4_lilT5_lili.has_recursion, 0
	.set _ZL30rocblas_trsm_small_left_deviceILi32ELi32ELb1EddPKdPdEv13rocblas_fill_18rocblas_operation_17rocblas_diagonal_iiT3_T4_lilT5_lili.has_indirect_call, 0
	.section	.AMDGPU.csdata,"",@progbits
; Kernel info:
; codeLenInByte = 34352
; TotalNumSgprs: 46
; NumVgprs: 161
; ScratchSize: 0
; MemoryBound: 1
; FloatMode: 240
; IeeeMode: 1
; LDSByteSize: 8192 bytes/workgroup (compile time only)
; SGPRBlocks: 12
; VGPRBlocks: 40
; NumSGPRsForWavesPerEU: 102
; NumVGPRsForWavesPerEU: 161
; Occupancy: 1
; WaveLimiterHint : 1
; COMPUTE_PGM_RSRC2:SCRATCH_EN: 0
; COMPUTE_PGM_RSRC2:USER_SGPR: 6
; COMPUTE_PGM_RSRC2:TRAP_HANDLER: 0
; COMPUTE_PGM_RSRC2:TGID_X_EN: 1
; COMPUTE_PGM_RSRC2:TGID_Y_EN: 0
; COMPUTE_PGM_RSRC2:TGID_Z_EN: 1
; COMPUTE_PGM_RSRC2:TIDIG_COMP_CNT: 0
	.section	.text._ZL31rocblas_trsm_small_right_deviceIddPKdPdLi32EEv13rocblas_fill_18rocblas_operation_17rocblas_diagonal_iiT0_T1_lilT2_lili,"axG",@progbits,_ZL31rocblas_trsm_small_right_deviceIddPKdPdLi32EEv13rocblas_fill_18rocblas_operation_17rocblas_diagonal_iiT0_T1_lilT2_lili,comdat
	.globl	_ZL31rocblas_trsm_small_right_deviceIddPKdPdLi32EEv13rocblas_fill_18rocblas_operation_17rocblas_diagonal_iiT0_T1_lilT2_lili ; -- Begin function _ZL31rocblas_trsm_small_right_deviceIddPKdPdLi32EEv13rocblas_fill_18rocblas_operation_17rocblas_diagonal_iiT0_T1_lilT2_lili
	.p2align	8
	.type	_ZL31rocblas_trsm_small_right_deviceIddPKdPdLi32EEv13rocblas_fill_18rocblas_operation_17rocblas_diagonal_iiT0_T1_lilT2_lili,@function
_ZL31rocblas_trsm_small_right_deviceIddPKdPdLi32EEv13rocblas_fill_18rocblas_operation_17rocblas_diagonal_iiT0_T1_lilT2_lili: ; @_ZL31rocblas_trsm_small_right_deviceIddPKdPdLi32EEv13rocblas_fill_18rocblas_operation_17rocblas_diagonal_iiT0_T1_lilT2_lili
; %bb.0:
	s_load_dwordx4 s[8:11], s[4:5], 0x0
	s_load_dword s22, s[4:5], 0x10
	s_load_dwordx4 s[12:15], s[4:5], 0x18
	s_load_dwordx2 s[20:21], s[4:5], 0x28
	s_load_dwordx4 s[0:3], s[4:5], 0x38
	s_load_dwordx2 s[16:17], s[4:5], 0x48
	s_waitcnt lgkmcnt(0)
	s_min_i32 s23, s22, 32
	v_cmp_gt_i32_e32 vcc, s23, v0
	s_and_saveexec_b64 s[18:19], vcc
	s_cbranch_execz .LBB106_5
; %bb.1:
	s_load_dword s24, s[4:5], 0x30
	s_mul_i32 s1, s1, s7
	s_mul_hi_u32 s25, s0, s7
	s_mul_i32 s0, s0, s7
	s_add_i32 s1, s25, s1
	s_waitcnt lgkmcnt(0)
	s_ashr_i32 s25, s24, 31
	s_lshl_b64 s[0:1], s[0:1], 3
	s_add_u32 s14, s14, s0
	s_addc_u32 s15, s15, s1
	s_lshl_b64 s[0:1], s[20:21], 3
	s_add_u32 s0, s14, s0
	s_addc_u32 s1, s15, s1
	v_lshlrev_b32_e32 v3, 3, v0
	v_mov_b32_e32 v2, s1
	v_add_co_u32_e32 v1, vcc, s0, v3
	s_lshl_b64 s[0:1], s[24:25], 3
	v_addc_co_u32_e32 v2, vcc, 0, v2, vcc
	v_mov_b32_e32 v4, s1
	v_mov_b32_e32 v5, v3
	s_mov_b32 s1, s23
.LBB106_2:                              ; =>This Inner Loop Header: Depth=1
	global_load_dwordx2 v[6:7], v[1:2], off
	v_add_co_u32_e32 v1, vcc, s0, v1
	s_add_i32 s1, s1, -1
	v_addc_co_u32_e32 v2, vcc, v2, v4, vcc
	s_cmp_eq_u32 s1, 0
	s_waitcnt vmcnt(0)
	ds_write_b64 v5, v[6:7]
	v_add_u32_e32 v5, 0x100, v5
	s_cbranch_scc0 .LBB106_2
; %bb.3:
	s_cmpk_eq_i32 s10, 0x84
	s_cbranch_scc0 .LBB106_5
; %bb.4:
	v_lshl_or_b32 v3, v0, 8, v3
	v_mov_b32_e32 v1, 0
	v_mov_b32_e32 v2, 0x3ff00000
	ds_write_b64 v3, v[1:2]
.LBB106_5:
	s_or_b64 exec, exec, s[18:19]
	s_load_dword s0, s[4:5], 0x68
	s_load_dwordx2 s[14:15], s[4:5], 0x58
	s_load_dword s10, s[4:5], 0x50
	s_waitcnt lgkmcnt(0)
	s_mul_i32 s1, s15, s7
	s_mul_hi_u32 s5, s14, s7
	s_mul_i32 s4, s14, s7
	s_add_i32 s5, s5, s1
	s_lshl_b64 s[4:5], s[4:5], 3
	s_add_u32 s1, s2, s4
	s_addc_u32 s4, s3, s5
	s_lshl_b64 s[2:3], s[16:17], 3
	s_add_u32 s2, s1, s2
	s_addc_u32 s3, s4, s3
	s_lshl_b32 s1, s6, 5
	s_add_i32 s0, s0, -1
	s_sub_i32 s1, s11, s1
	s_cmp_ge_u32 s6, s0
	s_cselect_b32 s4, s1, 32
	s_ashr_i32 s7, s6, 31
	s_lshl_b64 s[0:1], s[6:7], 8
	s_add_u32 s14, s2, s0
	s_addc_u32 s15, s3, s1
	v_cmp_gt_i32_e64 s[0:1], s4, v0
	s_and_saveexec_b64 s[2:3], s[0:1]
	s_cbranch_execz .LBB106_9
; %bb.6:
	s_cmp_lt_i32 s22, 1
	s_cbranch_scc1 .LBB106_9
; %bb.7:
	s_ashr_i32 s11, s10, 31
	v_lshlrev_b32_e32 v3, 3, v0
	v_mov_b32_e32 v2, s15
	v_add_co_u32_e32 v1, vcc, s14, v3
	s_lshl_b64 s[4:5], s[10:11], 3
	v_addc_co_u32_e32 v2, vcc, 0, v2, vcc
	v_or_b32_e32 v3, 0x2000, v3
	v_mov_b32_e32 v4, s5
	s_mov_b32 s5, s22
.LBB106_8:                              ; =>This Inner Loop Header: Depth=1
	global_load_dwordx2 v[5:6], v[1:2], off
	s_add_i32 s5, s5, -1
	v_add_co_u32_e32 v1, vcc, s4, v1
	v_addc_co_u32_e32 v2, vcc, v2, v4, vcc
	s_cmp_lg_u32 s5, 0
	s_waitcnt vmcnt(0)
	v_mul_f64 v[5:6], s[12:13], v[5:6]
	ds_write_b64 v3, v[5:6]
	v_add_u32_e32 v3, 0x100, v3
	s_cbranch_scc1 .LBB106_8
.LBB106_9:
	s_or_b64 exec, exec, s[2:3]
	s_cmpk_eq_i32 s9, 0x6f
	s_cselect_b64 s[2:3], -1, 0
	s_cmpk_lg_i32 s8, 0x79
	s_cselect_b64 s[4:5], -1, 0
	s_cmpk_eq_i32 s8, 0x79
	s_cselect_b64 s[6:7], -1, 0
	s_and_b64 s[6:7], s[6:7], s[2:3]
	s_andn2_b64 vcc, exec, s[6:7]
	s_mov_b64 s[6:7], -1
	s_waitcnt lgkmcnt(0)
	; wave barrier
	s_cbranch_vccz .LBB106_66
; %bb.10:
	s_cmpk_lg_i32 s8, 0x7a
	s_cselect_b64 s[12:13], -1, 0
	s_xor_b64 s[2:3], s[2:3], -1
	s_add_i32 s8, s23, -1
	s_or_b64 s[12:13], s[12:13], s[2:3]
	v_mov_b32_e32 v1, 0x2000
	s_cmp_gt_i32 s22, 3
	v_lshl_or_b32 v9, v0, 3, v1
	s_cselect_b64 s[2:3], -1, 0
	s_and_b64 vcc, exec, s[12:13]
	s_cbranch_vccz .LBB106_45
; %bb.11:
	s_andn2_b64 vcc, exec, s[4:5]
	s_mov_b64 s[4:5], -1
	s_cbranch_vccnz .LBB106_24
; %bb.12:
	s_andn2_b64 vcc, exec, s[2:3]
	s_mov_b32 s6, 0
	s_cbranch_vccnz .LBB106_18
; %bb.13:
	v_mov_b32_e32 v1, 0x2000
	v_lshl_or_b32 v10, v0, 3, v1
	s_mov_b32 s4, 0
	s_mov_b32 s5, 0
.LBB106_14:                             ; =>This Loop Header: Depth=1
                                        ;     Child Loop BB106_15 Depth 2
	s_lshl_b32 s7, s5, 8
	s_or_b32 s6, s5, 1
	v_add_u32_e32 v11, s7, v9
	v_lshl_add_u32 v13, s6, 8, v9
	s_or_b32 s9, s7, 0x300
	ds_read2st64_b64 v[1:4], v11 offset1:1
	v_add_u32_e32 v12, s9, v9
	ds_read_b64 v[7:8], v13
	ds_read_b64 v[5:6], v12
	s_cmp_eq_u32 s5, 0
	v_mov_b32_e32 v14, v10
	s_mov_b32 s9, s4
	s_mov_b32 s11, s5
	s_cbranch_scc1 .LBB106_16
.LBB106_15:                             ;   Parent Loop BB106_14 Depth=1
                                        ; =>  This Inner Loop Header: Depth=2
	v_mov_b32_e32 v19, s9
	ds_read_b64 v[23:24], v14
	ds_read_b128 v[15:18], v19
	ds_read_b128 v[19:22], v19 offset:16
	s_add_i32 s11, s11, -1
	s_addk_i32 s9, 0x100
	s_cmp_eq_u32 s11, 0
	s_waitcnt lgkmcnt(1)
	v_fma_f64 v[1:2], -v[23:24], v[15:16], v[1:2]
	v_fma_f64 v[7:8], -v[23:24], v[17:18], v[7:8]
	s_waitcnt lgkmcnt(0)
	v_fma_f64 v[3:4], -v[23:24], v[19:20], v[3:4]
	v_fma_f64 v[5:6], -v[23:24], v[21:22], v[5:6]
	v_add_u32_e32 v14, 0x100, v14
	s_cbranch_scc0 .LBB106_15
.LBB106_16:                             ;   in Loop: Header=BB106_14 Depth=1
	s_lshl_b32 s9, s5, 3
	s_add_i32 s7, s9, s7
	v_mov_b32_e32 v35, s7
	ds_read_b128 v[15:18], v35
	ds_read_b128 v[19:22], v35 offset:16
	s_lshl_b32 s6, s6, 3
	s_addk_i32 s7, 0x108
	s_sub_i32 s6, s7, s6
	s_waitcnt lgkmcnt(1)
	v_div_scale_f64 v[23:24], s[12:13], v[15:16], v[15:16], v[1:2]
	s_add_i32 s6, s6, s9
	s_add_i32 s4, s4, 32
	v_add_u32_e32 v14, 0x200, v11
	v_rcp_f64_e32 v[25:26], v[23:24]
	v_fma_f64 v[27:28], -v[23:24], v[25:26], 1.0
	v_fma_f64 v[25:26], v[25:26], v[27:28], v[25:26]
	v_div_scale_f64 v[27:28], vcc, v[1:2], v[15:16], v[1:2]
	v_fma_f64 v[29:30], -v[23:24], v[25:26], 1.0
	v_fma_f64 v[25:26], v[25:26], v[29:30], v[25:26]
	v_mul_f64 v[29:30], v[27:28], v[25:26]
	v_fma_f64 v[23:24], -v[23:24], v[29:30], v[27:28]
	v_div_fmas_f64 v[23:24], v[23:24], v[25:26], v[29:30]
	v_div_fixup_f64 v[1:2], v[23:24], v[15:16], v[1:2]
	v_fma_f64 v[7:8], -v[1:2], v[17:18], v[7:8]
	ds_read2_b64 v[15:18], v35 offset0:33 offset1:34
	ds_read_b128 v[23:26], v35 offset:528
	s_waitcnt lgkmcnt(2)
	v_fma_f64 v[3:4], -v[1:2], v[19:20], v[3:4]
	v_fma_f64 v[5:6], -v[1:2], v[21:22], v[5:6]
	s_waitcnt lgkmcnt(1)
	v_div_scale_f64 v[27:28], s[12:13], v[15:16], v[15:16], v[7:8]
	v_rcp_f64_e32 v[29:30], v[27:28]
	v_fma_f64 v[31:32], -v[27:28], v[29:30], 1.0
	v_fma_f64 v[29:30], v[29:30], v[31:32], v[29:30]
	v_div_scale_f64 v[31:32], vcc, v[7:8], v[15:16], v[7:8]
	v_fma_f64 v[33:34], -v[27:28], v[29:30], 1.0
	v_fma_f64 v[29:30], v[29:30], v[33:34], v[29:30]
	v_mul_f64 v[33:34], v[31:32], v[29:30]
	v_fma_f64 v[27:28], -v[27:28], v[33:34], v[31:32]
	v_div_fmas_f64 v[27:28], v[27:28], v[29:30], v[33:34]
	v_div_fixup_f64 v[7:8], v[27:28], v[15:16], v[7:8]
	v_fma_f64 v[3:4], -v[7:8], v[17:18], v[3:4]
	s_waitcnt lgkmcnt(0)
	v_div_scale_f64 v[15:16], s[12:13], v[23:24], v[23:24], v[3:4]
	v_rcp_f64_e32 v[17:18], v[15:16]
	v_fma_f64 v[19:20], -v[15:16], v[17:18], 1.0
	v_fma_f64 v[17:18], v[17:18], v[19:20], v[17:18]
	v_div_scale_f64 v[19:20], vcc, v[3:4], v[23:24], v[3:4]
	v_fma_f64 v[27:28], -v[15:16], v[17:18], 1.0
	v_fma_f64 v[17:18], v[17:18], v[27:28], v[17:18]
	v_mul_f64 v[27:28], v[19:20], v[17:18]
	v_fma_f64 v[15:16], -v[15:16], v[27:28], v[19:20]
	v_div_fmas_f64 v[15:16], v[15:16], v[17:18], v[27:28]
	v_mov_b32_e32 v17, s6
	ds_read_b64 v[17:18], v17 offset:24
	ds_read_b64 v[19:20], v35 offset:792
	s_waitcnt lgkmcnt(1)
	v_fma_f64 v[5:6], -v[7:8], v[17:18], v[5:6]
	v_div_fixup_f64 v[3:4], v[15:16], v[23:24], v[3:4]
	ds_write_b64 v11, v[1:2]
	ds_write_b64 v13, v[7:8]
	;; [unrolled: 1-line block ×3, first 2 shown]
	v_fma_f64 v[5:6], -v[3:4], v[25:26], v[5:6]
	s_waitcnt lgkmcnt(3)
	v_div_scale_f64 v[15:16], s[6:7], v[19:20], v[19:20], v[5:6]
	v_div_scale_f64 v[23:24], vcc, v[5:6], v[19:20], v[5:6]
	s_add_i32 s6, s5, 4
	s_add_i32 s5, s5, 7
	s_cmp_ge_i32 s5, s23
	v_rcp_f64_e32 v[17:18], v[15:16]
	v_fma_f64 v[21:22], -v[15:16], v[17:18], 1.0
	v_fma_f64 v[17:18], v[17:18], v[21:22], v[17:18]
	v_fma_f64 v[21:22], -v[15:16], v[17:18], 1.0
	v_fma_f64 v[17:18], v[17:18], v[21:22], v[17:18]
	v_mul_f64 v[21:22], v[23:24], v[17:18]
	v_fma_f64 v[15:16], -v[15:16], v[21:22], v[23:24]
	v_div_fmas_f64 v[15:16], v[15:16], v[17:18], v[21:22]
	v_div_fixup_f64 v[5:6], v[15:16], v[19:20], v[5:6]
	ds_write_b64 v12, v[5:6]
	s_cbranch_scc1 .LBB106_18
; %bb.17:                               ;   in Loop: Header=BB106_14 Depth=1
	s_mov_b32 s5, s6
	s_branch .LBB106_14
.LBB106_18:
	s_cmp_ge_i32 s6, s23
	s_cbranch_scc1 .LBB106_23
; %bb.19:
	v_mov_b32_e32 v1, 0x2000
	s_lshl_b32 s4, s6, 3
	v_lshl_or_b32 v3, v0, 3, v1
	s_branch .LBB106_21
.LBB106_20:                             ;   in Loop: Header=BB106_21 Depth=1
	s_lshl_b32 s7, s6, 3
	s_add_i32 s5, s7, s5
	v_mov_b32_e32 v5, s5
	ds_read_b64 v[5:6], v5
	s_add_i32 s6, s6, 1
	s_add_i32 s4, s4, 8
	s_cmp_ge_i32 s6, s23
	s_waitcnt lgkmcnt(0)
	v_div_scale_f64 v[7:8], s[12:13], v[5:6], v[5:6], v[1:2]
	v_div_scale_f64 v[14:15], vcc, v[1:2], v[5:6], v[1:2]
	v_rcp_f64_e32 v[10:11], v[7:8]
	v_fma_f64 v[12:13], -v[7:8], v[10:11], 1.0
	v_fma_f64 v[10:11], v[10:11], v[12:13], v[10:11]
	v_fma_f64 v[12:13], -v[7:8], v[10:11], 1.0
	v_fma_f64 v[10:11], v[10:11], v[12:13], v[10:11]
	v_mul_f64 v[12:13], v[14:15], v[10:11]
	v_fma_f64 v[7:8], -v[7:8], v[12:13], v[14:15]
	v_div_fmas_f64 v[7:8], v[7:8], v[10:11], v[12:13]
	v_div_fixup_f64 v[1:2], v[7:8], v[5:6], v[1:2]
	ds_write_b64 v4, v[1:2]
	s_cbranch_scc1 .LBB106_23
.LBB106_21:                             ; =>This Loop Header: Depth=1
                                        ;     Child Loop BB106_22 Depth 2
	s_lshl_b32 s5, s6, 8
	v_add_u32_e32 v4, s5, v9
	ds_read_b64 v[1:2], v4
	s_cmp_eq_u32 s6, 0
	v_mov_b32_e32 v5, v3
	s_mov_b32 s7, s4
	s_mov_b32 s9, s6
	s_cbranch_scc1 .LBB106_20
.LBB106_22:                             ;   Parent Loop BB106_21 Depth=1
                                        ; =>  This Inner Loop Header: Depth=2
	v_mov_b32_e32 v8, s7
	ds_read_b64 v[6:7], v5
	ds_read_b64 v[10:11], v8
	s_add_i32 s9, s9, -1
	s_addk_i32 s7, 0x100
	s_cmp_eq_u32 s9, 0
	v_add_u32_e32 v5, 0x100, v5
	s_waitcnt lgkmcnt(0)
	v_fma_f64 v[1:2], -v[6:7], v[10:11], v[1:2]
	s_cbranch_scc0 .LBB106_22
	s_branch .LBB106_20
.LBB106_23:
	s_mov_b64 s[4:5], 0
.LBB106_24:
	s_and_b64 vcc, exec, s[4:5]
	s_cbranch_vccz .LBB106_44
; %bb.25:
	s_andn2_b64 vcc, exec, s[2:3]
	s_mov_b32 s6, s8
	s_cbranch_vccnz .LBB106_31
; %bb.26:
	v_lshlrev_b32_e32 v1, 3, v0
	s_mul_i32 s4, s23, 0x108
	v_lshl_or_b32 v1, s23, 8, v1
	s_addk_i32 s4, 0xfee0
	v_add_u32_e32 v10, 0x1f00, v1
	s_mov_b32 s5, s8
.LBB106_27:                             ; =>This Loop Header: Depth=1
                                        ;     Child Loop BB106_28 Depth 2
	s_add_i32 s11, s5, -3
	v_lshl_add_u32 v11, s5, 8, v9
	s_add_i32 s9, s5, -1
	s_add_i32 s6, s5, -2
	s_lshl_b32 s7, s11, 8
	v_lshl_add_u32 v12, s9, 8, v9
	v_lshl_add_u32 v14, s6, 8, v9
	v_add_u32_e32 v13, s7, v9
	ds_read_b64 v[7:8], v11
	ds_read_b64 v[5:6], v12
	;; [unrolled: 1-line block ×4, first 2 shown]
	s_cmp_le_i32 s8, s5
	v_mov_b32_e32 v15, v10
	s_mov_b32 s12, s4
	s_mov_b32 s13, s8
	s_cbranch_scc1 .LBB106_29
.LBB106_28:                             ;   Parent Loop BB106_27 Depth=1
                                        ; =>  This Inner Loop Header: Depth=2
	v_mov_b32_e32 v20, s12
	ds_read_b64 v[24:25], v15
	ds_read2_b64 v[16:19], v20 offset0:2 offset1:3
	ds_read2_b64 v[20:23], v20 offset1:1
	s_add_i32 s13, s13, -1
	s_addk_i32 s12, 0xff00
	s_cmp_le_i32 s13, s5
	s_waitcnt lgkmcnt(1)
	v_fma_f64 v[7:8], -v[24:25], v[18:19], v[7:8]
	v_fma_f64 v[5:6], -v[24:25], v[16:17], v[5:6]
	s_waitcnt lgkmcnt(0)
	v_fma_f64 v[3:4], -v[24:25], v[22:23], v[3:4]
	v_fma_f64 v[1:2], -v[24:25], v[20:21], v[1:2]
	v_add_u32_e32 v15, 0xffffff00, v15
	s_cbranch_scc0 .LBB106_28
.LBB106_29:                             ;   in Loop: Header=BB106_27 Depth=1
	s_lshl_b32 s16, s5, 3
	s_lshl_b32 s13, s5, 8
	s_add_i32 s17, s16, s13
	s_add_i32 s13, s17, -8
	v_mov_b32_e32 v15, s13
	ds_read2_b64 v[15:18], v15 offset1:1
	s_lshl_b32 s12, s9, 8
	s_add_i32 s12, s16, s12
	s_add_i32 s18, s12, -8
	v_mov_b32_e32 v19, s18
	ds_read_b64 v[19:20], v19
	s_waitcnt lgkmcnt(1)
	v_div_scale_f64 v[21:22], s[12:13], v[17:18], v[17:18], v[7:8]
	s_lshl_b32 s9, s9, 3
	s_lshl_b32 s11, s11, 3
	s_sub_i32 s9, s18, s9
	s_add_i32 s9, s9, s11
	s_sub_i32 s4, s4, 32
	v_rcp_f64_e32 v[23:24], v[21:22]
	v_fma_f64 v[25:26], -v[21:22], v[23:24], 1.0
	v_fma_f64 v[23:24], v[23:24], v[25:26], v[23:24]
	v_div_scale_f64 v[25:26], vcc, v[7:8], v[17:18], v[7:8]
	v_fma_f64 v[27:28], -v[21:22], v[23:24], 1.0
	v_fma_f64 v[23:24], v[23:24], v[27:28], v[23:24]
	v_mul_f64 v[27:28], v[25:26], v[23:24]
	v_fma_f64 v[21:22], -v[21:22], v[27:28], v[25:26]
	v_div_fmas_f64 v[21:22], v[21:22], v[23:24], v[27:28]
	v_div_fixup_f64 v[21:22], v[21:22], v[17:18], v[7:8]
	v_fma_f64 v[23:24], -v[21:22], v[15:16], v[5:6]
	s_waitcnt lgkmcnt(0)
	v_div_scale_f64 v[5:6], s[12:13], v[19:20], v[19:20], v[23:24]
	s_sub_i32 s12, s17, 24
	v_rcp_f64_e32 v[7:8], v[5:6]
	v_fma_f64 v[15:16], -v[5:6], v[7:8], 1.0
	v_fma_f64 v[7:8], v[7:8], v[15:16], v[7:8]
	v_div_scale_f64 v[15:16], vcc, v[23:24], v[19:20], v[23:24]
	v_fma_f64 v[17:18], -v[5:6], v[7:8], 1.0
	v_fma_f64 v[7:8], v[7:8], v[17:18], v[7:8]
	v_mul_f64 v[17:18], v[15:16], v[7:8]
	v_fma_f64 v[5:6], -v[5:6], v[17:18], v[15:16]
	v_mov_b32_e32 v15, s9
	s_lshl_b32 s9, s6, 8
	s_lshl_b32 s6, s6, 3
	s_add_i32 s9, s16, s9
	s_sub_i32 s6, s9, s6
	s_add_i32 s6, s6, s11
	s_add_i32 s6, s6, -16
	v_div_fmas_f64 v[25:26], v[5:6], v[7:8], v[17:18]
	v_mov_b32_e32 v5, s12
	ds_read2_b64 v[5:8], v5 offset1:1
	ds_read2_b64 v[15:18], v15 offset1:1
	s_add_i32 s16, s16, s7
	s_waitcnt lgkmcnt(1)
	v_fma_f64 v[3:4], -v[21:22], v[7:8], v[3:4]
	v_fma_f64 v[1:2], -v[21:22], v[5:6], v[1:2]
	v_div_fixup_f64 v[7:8], v[25:26], v[19:20], v[23:24]
	s_waitcnt lgkmcnt(0)
	v_fma_f64 v[3:4], -v[7:8], v[17:18], v[3:4]
	v_mov_b32_e32 v17, s6
	ds_read2_b64 v[17:20], v17 offset1:1
	s_sub_i32 s6, s16, 24
	v_mov_b32_e32 v23, s6
	ds_read_b64 v[23:24], v23
	v_fma_f64 v[1:2], -v[7:8], v[15:16], v[1:2]
	s_waitcnt lgkmcnt(1)
	v_div_scale_f64 v[25:26], s[6:7], v[19:20], v[19:20], v[3:4]
	v_rcp_f64_e32 v[27:28], v[25:26]
	v_fma_f64 v[29:30], -v[25:26], v[27:28], 1.0
	v_fma_f64 v[27:28], v[27:28], v[29:30], v[27:28]
	v_div_scale_f64 v[29:30], vcc, v[3:4], v[19:20], v[3:4]
	v_fma_f64 v[31:32], -v[25:26], v[27:28], 1.0
	v_fma_f64 v[27:28], v[27:28], v[31:32], v[27:28]
	v_mul_f64 v[31:32], v[29:30], v[27:28]
	v_fma_f64 v[25:26], -v[25:26], v[31:32], v[29:30]
	v_div_fmas_f64 v[25:26], v[25:26], v[27:28], v[31:32]
	v_div_fixup_f64 v[3:4], v[25:26], v[19:20], v[3:4]
	ds_write_b64 v11, v[21:22]
	ds_write_b64 v12, v[7:8]
	ds_write_b64 v14, v[3:4]
	v_fma_f64 v[1:2], -v[3:4], v[17:18], v[1:2]
	s_waitcnt lgkmcnt(3)
	v_div_scale_f64 v[5:6], s[6:7], v[23:24], v[23:24], v[1:2]
	v_div_scale_f64 v[19:20], vcc, v[1:2], v[23:24], v[1:2]
	s_add_i32 s6, s5, -4
	s_cmp_lt_i32 s5, 7
	v_rcp_f64_e32 v[15:16], v[5:6]
	v_fma_f64 v[17:18], -v[5:6], v[15:16], 1.0
	v_fma_f64 v[15:16], v[15:16], v[17:18], v[15:16]
	v_fma_f64 v[17:18], -v[5:6], v[15:16], 1.0
	v_fma_f64 v[15:16], v[15:16], v[17:18], v[15:16]
	v_mul_f64 v[17:18], v[19:20], v[15:16]
	v_fma_f64 v[5:6], -v[5:6], v[17:18], v[19:20]
	v_div_fmas_f64 v[5:6], v[5:6], v[15:16], v[17:18]
	v_div_fixup_f64 v[1:2], v[5:6], v[23:24], v[1:2]
	ds_write_b64 v13, v[1:2]
	s_cbranch_scc1 .LBB106_31
; %bb.30:                               ;   in Loop: Header=BB106_27 Depth=1
	s_mov_b32 s5, s6
	s_branch .LBB106_27
.LBB106_31:
	s_cmp_lt_i32 s6, 0
	s_cbranch_scc1 .LBB106_44
; %bb.32:
	s_bitcmp1_b32 s6, 0
	s_cselect_b64 s[4:5], -1, 0
	s_and_b64 vcc, exec, s[4:5]
	s_mov_b32 s4, s6
	s_cbranch_vccnz .LBB106_37
; %bb.33:
	s_lshl_b32 s4, s6, 8
	v_add_u32_e32 v3, s4, v9
	ds_read_b64 v[1:2], v3
	s_cmp_le_i32 s8, s6
	s_cbranch_scc1 .LBB106_36
; %bb.34:
	s_lshl_b32 s7, s23, 8
	s_lshl_b32 s5, s6, 3
	s_add_i32 s5, s7, s5
	v_lshl_or_b32 v4, v0, 3, s7
	s_addk_i32 s5, 0xff00
	v_add_u32_e32 v4, 0x1f00, v4
	s_mov_b32 s7, s8
.LBB106_35:                             ; =>This Inner Loop Header: Depth=1
	v_mov_b32_e32 v7, s5
	ds_read_b64 v[5:6], v4
	ds_read_b64 v[7:8], v7
	s_add_i32 s7, s7, -1
	s_addk_i32 s5, 0xff00
	s_cmp_gt_u32 s7, s6
	v_add_u32_e32 v4, 0xffffff00, v4
	s_waitcnt lgkmcnt(0)
	v_fma_f64 v[1:2], -v[5:6], v[7:8], v[1:2]
	s_cbranch_scc1 .LBB106_35
.LBB106_36:
	s_lshl_b32 s5, s6, 3
	s_add_i32 s4, s5, s4
	v_mov_b32_e32 v4, s4
	ds_read_b64 v[4:5], v4
	s_waitcnt lgkmcnt(0)
	v_div_scale_f64 v[6:7], s[4:5], v[4:5], v[4:5], v[1:2]
	s_add_i32 s4, s6, -1
	v_rcp_f64_e32 v[10:11], v[6:7]
	v_fma_f64 v[12:13], -v[6:7], v[10:11], 1.0
	v_fma_f64 v[10:11], v[10:11], v[12:13], v[10:11]
	v_div_scale_f64 v[12:13], vcc, v[1:2], v[4:5], v[1:2]
	v_fma_f64 v[14:15], -v[6:7], v[10:11], 1.0
	v_fma_f64 v[10:11], v[10:11], v[14:15], v[10:11]
	v_mul_f64 v[14:15], v[12:13], v[10:11]
	v_fma_f64 v[6:7], -v[6:7], v[14:15], v[12:13]
	v_div_fmas_f64 v[6:7], v[6:7], v[10:11], v[14:15]
	v_div_fixup_f64 v[1:2], v[6:7], v[4:5], v[1:2]
	ds_write_b64 v3, v[1:2]
.LBB106_37:
	s_cmp_eq_u32 s6, 0
	s_cbranch_scc1 .LBB106_44
; %bb.38:
	s_lshl_b32 s6, s23, 8
	s_lshl_b32 s5, s4, 3
	s_add_i32 s7, s6, s5
	v_lshl_or_b32 v1, v0, 3, s6
	s_add_i32 s5, s7, 0xffffff00
	v_add_u32_e32 v5, 0x1f00, v1
	s_add_i32 s6, s7, 0xfffffef8
	s_branch .LBB106_40
.LBB106_39:                             ;   in Loop: Header=BB106_40 Depth=1
	s_add_i32 s9, s9, s11
	s_add_i32 s9, s9, -8
	v_mov_b32_e32 v1, s9
	ds_read_b64 v[1:2], v1
	s_add_i32 s4, s4, -2
	s_add_i32 s5, s5, -16
	;; [unrolled: 1-line block ×3, first 2 shown]
	s_cmp_eq_u32 s7, 0
	s_waitcnt lgkmcnt(0)
	v_div_scale_f64 v[10:11], s[12:13], v[1:2], v[1:2], v[3:4]
	v_div_scale_f64 v[16:17], vcc, v[3:4], v[1:2], v[3:4]
	v_rcp_f64_e32 v[12:13], v[10:11]
	v_fma_f64 v[14:15], -v[10:11], v[12:13], 1.0
	v_fma_f64 v[12:13], v[12:13], v[14:15], v[12:13]
	v_fma_f64 v[14:15], -v[10:11], v[12:13], 1.0
	v_fma_f64 v[12:13], v[12:13], v[14:15], v[12:13]
	v_mul_f64 v[14:15], v[16:17], v[12:13]
	v_fma_f64 v[10:11], -v[10:11], v[14:15], v[16:17]
	v_div_fmas_f64 v[10:11], v[10:11], v[12:13], v[14:15]
	v_div_fixup_f64 v[1:2], v[10:11], v[1:2], v[3:4]
	ds_write_b64 v7, v[1:2]
	s_cbranch_scc1 .LBB106_44
.LBB106_40:                             ; =>This Loop Header: Depth=1
                                        ;     Child Loop BB106_41 Depth 2
                                        ;     Child Loop BB106_43 Depth 2
	s_lshl_b32 s7, s4, 8
	v_add_u32_e32 v6, s7, v9
	ds_read_b64 v[1:2], v6
	s_cmp_le_i32 s8, s4
	v_mov_b32_e32 v3, v5
	s_mov_b32 s9, s5
	s_mov_b32 s11, s8
	s_cbranch_scc1 .LBB106_42
.LBB106_41:                             ;   Parent Loop BB106_40 Depth=1
                                        ; =>  This Inner Loop Header: Depth=2
	v_mov_b32_e32 v4, s9
	ds_read_b64 v[7:8], v3
	ds_read_b64 v[10:11], v4
	s_add_i32 s11, s11, -1
	s_addk_i32 s9, 0xff00
	s_cmp_le_u32 s11, s4
	v_add_u32_e32 v3, 0xffffff00, v3
	s_waitcnt lgkmcnt(0)
	v_fma_f64 v[1:2], -v[7:8], v[10:11], v[1:2]
	s_cbranch_scc0 .LBB106_41
.LBB106_42:                             ;   in Loop: Header=BB106_40 Depth=1
	s_lshl_b32 s9, s4, 3
	s_add_i32 s7, s9, s7
	v_mov_b32_e32 v3, s7
	ds_read_b64 v[10:11], v3
	s_add_i32 s7, s4, -1
	s_lshl_b32 s11, s7, 8
	v_add_u32_e32 v7, s11, v9
	ds_read_b64 v[3:4], v7
	s_waitcnt lgkmcnt(1)
	v_div_scale_f64 v[12:13], s[12:13], v[10:11], v[10:11], v[1:2]
	s_mov_b32 s12, s6
	s_cmp_le_i32 s23, s4
	s_mov_b32 s13, s8
	v_rcp_f64_e32 v[14:15], v[12:13]
	v_fma_f64 v[16:17], -v[12:13], v[14:15], 1.0
	v_fma_f64 v[14:15], v[14:15], v[16:17], v[14:15]
	v_div_scale_f64 v[16:17], vcc, v[1:2], v[10:11], v[1:2]
	v_fma_f64 v[18:19], -v[12:13], v[14:15], 1.0
	v_fma_f64 v[14:15], v[14:15], v[18:19], v[14:15]
	v_mul_f64 v[18:19], v[16:17], v[14:15]
	v_fma_f64 v[12:13], -v[12:13], v[18:19], v[16:17]
	v_div_fmas_f64 v[12:13], v[12:13], v[14:15], v[18:19]
	v_div_fixup_f64 v[10:11], v[12:13], v[10:11], v[1:2]
	v_mov_b32_e32 v1, v5
	ds_write_b64 v6, v[10:11]
	s_cbranch_scc1 .LBB106_39
.LBB106_43:                             ;   Parent Loop BB106_40 Depth=1
                                        ; =>  This Inner Loop Header: Depth=2
	v_mov_b32_e32 v2, s12
	ds_read_b64 v[10:11], v1
	ds_read_b64 v[12:13], v2
	s_add_i32 s13, s13, -1
	s_addk_i32 s12, 0xff00
	s_cmp_gt_u32 s13, s7
	v_add_u32_e32 v1, 0xffffff00, v1
	s_waitcnt lgkmcnt(0)
	v_fma_f64 v[3:4], -v[10:11], v[12:13], v[3:4]
	s_cbranch_scc1 .LBB106_43
	s_branch .LBB106_39
.LBB106_44:
	s_mov_b64 s[6:7], 0
.LBB106_45:
	s_andn2_b64 vcc, exec, s[6:7]
	s_cbranch_vccnz .LBB106_65
; %bb.46:
	s_andn2_b64 vcc, exec, s[2:3]
	s_mov_b32 s4, s8
	s_cbranch_vccnz .LBB106_52
; %bb.47:
	v_lshlrev_b32_e32 v1, 3, v0
	v_lshl_or_b32 v1, s23, 8, v1
	s_mul_i32 s2, s23, 0x108
	v_add_u32_e32 v10, 0x1f00, v1
	s_addk_i32 s2, 0xfbf8
	s_mov_b32 s3, s8
.LBB106_48:                             ; =>This Loop Header: Depth=1
                                        ;     Child Loop BB106_49 Depth 2
	v_lshl_add_u32 v11, s3, 8, v9
	s_add_i32 s6, s3, -1
	s_add_i32 s5, s3, -2
	;; [unrolled: 1-line block ×3, first 2 shown]
	v_lshl_add_u32 v12, s6, 8, v9
	v_lshl_add_u32 v14, s5, 8, v9
	;; [unrolled: 1-line block ×3, first 2 shown]
	ds_read_b64 v[7:8], v11
	ds_read_b64 v[5:6], v12
	;; [unrolled: 1-line block ×4, first 2 shown]
	s_cmp_le_i32 s8, s3
	s_mov_b32 s7, s2
	v_mov_b32_e32 v15, v10
	s_mov_b32 s9, s8
	s_cbranch_scc1 .LBB106_50
.LBB106_49:                             ;   Parent Loop BB106_48 Depth=1
                                        ; =>  This Inner Loop Header: Depth=2
	v_mov_b32_e32 v20, s7
	ds_read_b64 v[24:25], v15
	ds_read2_b64 v[16:19], v20 offset0:64 offset1:96
	ds_read2_b64 v[20:23], v20 offset1:32
	s_add_i32 s9, s9, -1
	s_add_i32 s7, s7, -8
	s_cmp_le_i32 s9, s3
	s_waitcnt lgkmcnt(1)
	v_fma_f64 v[7:8], -v[24:25], v[18:19], v[7:8]
	v_fma_f64 v[5:6], -v[24:25], v[16:17], v[5:6]
	s_waitcnt lgkmcnt(0)
	v_fma_f64 v[3:4], -v[24:25], v[22:23], v[3:4]
	v_fma_f64 v[1:2], -v[24:25], v[20:21], v[1:2]
	v_add_u32_e32 v15, 0xffffff00, v15
	s_cbranch_scc0 .LBB106_49
.LBB106_50:                             ;   in Loop: Header=BB106_48 Depth=1
	s_mul_i32 s12, s3, 0x108
	v_mov_b32_e32 v15, s12
	ds_read_b64 v[19:20], v15
	s_lshl_b32 s11, s6, 5
	s_lshl_b32 s11, s11, 3
	;; [unrolled: 1-line block ×3, first 2 shown]
	s_add_i32 s6, s11, s6
	s_waitcnt lgkmcnt(0)
	v_div_scale_f64 v[21:22], s[12:13], v[19:20], v[19:20], v[7:8]
	v_mov_b32_e32 v15, s6
	ds_read2_b64 v[15:18], v15 offset1:1
	s_lshl_b32 s9, s5, 5
	s_lshl_b32 s6, s9, 3
	;; [unrolled: 1-line block ×3, first 2 shown]
	s_add_i32 s11, s6, s9
	s_lshl_b32 s5, s5, 3
	s_add_i32 s5, s6, s5
	s_lshl_b32 s7, s4, 5
	s_lshl_b32 s4, s4, 3
	s_addk_i32 s2, 0xfc00
	v_rcp_f64_e32 v[23:24], v[21:22]
	v_fma_f64 v[25:26], -v[21:22], v[23:24], 1.0
	v_fma_f64 v[23:24], v[23:24], v[25:26], v[23:24]
	v_div_scale_f64 v[25:26], vcc, v[7:8], v[19:20], v[7:8]
	v_fma_f64 v[27:28], -v[21:22], v[23:24], 1.0
	v_fma_f64 v[23:24], v[23:24], v[27:28], v[23:24]
	v_mul_f64 v[27:28], v[25:26], v[23:24]
	v_fma_f64 v[21:22], -v[21:22], v[27:28], v[25:26]
	v_div_fmas_f64 v[21:22], v[21:22], v[23:24], v[27:28]
	v_div_fixup_f64 v[23:24], v[21:22], v[19:20], v[7:8]
	s_waitcnt lgkmcnt(0)
	v_fma_f64 v[17:18], -v[23:24], v[17:18], v[5:6]
	v_div_scale_f64 v[5:6], s[12:13], v[15:16], v[15:16], v[17:18]
	v_rcp_f64_e32 v[7:8], v[5:6]
	v_fma_f64 v[19:20], -v[5:6], v[7:8], 1.0
	v_fma_f64 v[7:8], v[7:8], v[19:20], v[7:8]
	v_div_scale_f64 v[19:20], vcc, v[17:18], v[15:16], v[17:18]
	v_fma_f64 v[21:22], -v[5:6], v[7:8], 1.0
	v_fma_f64 v[7:8], v[7:8], v[21:22], v[7:8]
	v_mul_f64 v[21:22], v[19:20], v[7:8]
	v_fma_f64 v[5:6], -v[5:6], v[21:22], v[19:20]
	v_div_fmas_f64 v[19:20], v[5:6], v[7:8], v[21:22]
	v_mov_b32_e32 v5, s11
	ds_read_b64 v[21:22], v5
	v_mov_b32_e32 v5, s5
	ds_read2_b64 v[5:8], v5 offset1:1
	s_lshl_b32 s5, s7, 3
	s_add_i32 s6, s5, s9
	s_waitcnt lgkmcnt(1)
	v_fma_f64 v[3:4], -v[23:24], v[21:22], v[3:4]
	s_add_i32 s6, s6, -8
	s_add_i32 s4, s5, s4
	v_div_fixup_f64 v[25:26], v[19:20], v[15:16], v[17:18]
	s_waitcnt lgkmcnt(0)
	v_fma_f64 v[3:4], -v[25:26], v[7:8], v[3:4]
	v_div_scale_f64 v[7:8], s[12:13], v[5:6], v[5:6], v[3:4]
	v_rcp_f64_e32 v[15:16], v[7:8]
	v_fma_f64 v[17:18], -v[7:8], v[15:16], 1.0
	v_fma_f64 v[15:16], v[15:16], v[17:18], v[15:16]
	v_div_scale_f64 v[17:18], vcc, v[3:4], v[5:6], v[3:4]
	v_fma_f64 v[19:20], -v[7:8], v[15:16], 1.0
	v_fma_f64 v[15:16], v[15:16], v[19:20], v[15:16]
	v_mul_f64 v[19:20], v[17:18], v[15:16]
	v_fma_f64 v[7:8], -v[7:8], v[19:20], v[17:18]
	v_div_fmas_f64 v[7:8], v[7:8], v[15:16], v[19:20]
	v_mov_b32_e32 v15, s6
	ds_read2_b64 v[15:18], v15 offset1:1
	v_mov_b32_e32 v19, s4
	ds_read2_b64 v[19:22], v19 offset1:1
	s_waitcnt lgkmcnt(1)
	v_fma_f64 v[1:2], -v[23:24], v[17:18], v[1:2]
	v_fma_f64 v[1:2], -v[25:26], v[15:16], v[1:2]
	v_div_fixup_f64 v[3:4], v[7:8], v[5:6], v[3:4]
	ds_write_b64 v11, v[23:24]
	ds_write_b64 v12, v[25:26]
	;; [unrolled: 1-line block ×3, first 2 shown]
	s_waitcnt lgkmcnt(3)
	v_fma_f64 v[1:2], -v[3:4], v[21:22], v[1:2]
	v_div_scale_f64 v[5:6], s[4:5], v[19:20], v[19:20], v[1:2]
	v_div_scale_f64 v[17:18], vcc, v[1:2], v[19:20], v[1:2]
	s_add_i32 s4, s3, -4
	s_cmp_lt_i32 s3, 7
	v_rcp_f64_e32 v[7:8], v[5:6]
	v_fma_f64 v[15:16], -v[5:6], v[7:8], 1.0
	v_fma_f64 v[7:8], v[7:8], v[15:16], v[7:8]
	v_fma_f64 v[15:16], -v[5:6], v[7:8], 1.0
	v_fma_f64 v[7:8], v[7:8], v[15:16], v[7:8]
	v_mul_f64 v[15:16], v[17:18], v[7:8]
	v_fma_f64 v[5:6], -v[5:6], v[15:16], v[17:18]
	v_div_fmas_f64 v[5:6], v[5:6], v[7:8], v[15:16]
	v_div_fixup_f64 v[1:2], v[5:6], v[19:20], v[1:2]
	ds_write_b64 v13, v[1:2]
	s_cbranch_scc1 .LBB106_52
; %bb.51:                               ;   in Loop: Header=BB106_48 Depth=1
	s_mov_b32 s3, s4
	s_branch .LBB106_48
.LBB106_52:
	s_cmp_lt_i32 s4, 0
	s_cbranch_scc1 .LBB106_65
; %bb.53:
	s_bitcmp1_b32 s4, 0
	s_cselect_b64 s[2:3], -1, 0
	s_and_b64 vcc, exec, s[2:3]
	s_mov_b32 s2, s4
	s_cbranch_vccnz .LBB106_58
; %bb.54:
	v_lshl_add_u32 v3, s4, 8, v9
	ds_read_b64 v[1:2], v3
	s_cmp_le_i32 s8, s4
	s_cbranch_scc1 .LBB106_57
; %bb.55:
	s_lshl_b32 s2, s4, 8
	s_lshl_b32 s3, s23, 3
	v_lshlrev_b32_e32 v4, 3, v0
	s_add_i32 s2, s2, s3
	v_lshl_or_b32 v4, s23, 8, v4
	s_add_i32 s2, s2, -8
	v_add_u32_e32 v4, 0x1f00, v4
	s_mov_b32 s3, s8
.LBB106_56:                             ; =>This Inner Loop Header: Depth=1
	v_mov_b32_e32 v7, s2
	ds_read_b64 v[5:6], v4
	ds_read_b64 v[7:8], v7
	s_add_i32 s3, s3, -1
	s_add_i32 s2, s2, -8
	s_cmp_gt_u32 s3, s4
	v_add_u32_e32 v4, 0xffffff00, v4
	s_waitcnt lgkmcnt(0)
	v_fma_f64 v[1:2], -v[5:6], v[7:8], v[1:2]
	s_cbranch_scc1 .LBB106_56
.LBB106_57:
	s_mul_i32 s2, s4, 0x108
	v_mov_b32_e32 v4, s2
	ds_read_b64 v[4:5], v4
	s_waitcnt lgkmcnt(0)
	v_div_scale_f64 v[6:7], s[2:3], v[4:5], v[4:5], v[1:2]
	s_add_i32 s2, s4, -1
	v_rcp_f64_e32 v[10:11], v[6:7]
	v_fma_f64 v[12:13], -v[6:7], v[10:11], 1.0
	v_fma_f64 v[10:11], v[10:11], v[12:13], v[10:11]
	v_div_scale_f64 v[12:13], vcc, v[1:2], v[4:5], v[1:2]
	v_fma_f64 v[14:15], -v[6:7], v[10:11], 1.0
	v_fma_f64 v[10:11], v[10:11], v[14:15], v[10:11]
	v_mul_f64 v[14:15], v[12:13], v[10:11]
	v_fma_f64 v[6:7], -v[6:7], v[14:15], v[12:13]
	v_div_fmas_f64 v[6:7], v[6:7], v[10:11], v[14:15]
	v_div_fixup_f64 v[1:2], v[6:7], v[4:5], v[1:2]
	ds_write_b64 v3, v[1:2]
.LBB106_58:
	s_cmp_eq_u32 s4, 0
	s_cbranch_scc1 .LBB106_65
; %bb.59:
	v_lshlrev_b32_e32 v1, 3, v0
	s_lshl_b32 s3, s2, 8
	s_lshl_b32 s4, s23, 3
	v_lshl_or_b32 v1, s23, 8, v1
	s_add_i32 s4, s3, s4
	v_add_u32_e32 v5, 0x1f00, v1
	s_add_i32 s3, s4, -8
	s_addk_i32 s4, 0xfef8
	s_branch .LBB106_61
.LBB106_60:                             ;   in Loop: Header=BB106_61 Depth=1
	s_addk_i32 s6, 0xfef8
	v_mov_b32_e32 v1, s6
	ds_read_b64 v[1:2], v1
	s_add_i32 s2, s2, -2
	s_addk_i32 s3, 0xfe00
	s_addk_i32 s4, 0xfe00
	s_cmp_eq_u32 s5, 0
	s_waitcnt lgkmcnt(0)
	v_div_scale_f64 v[10:11], s[6:7], v[1:2], v[1:2], v[3:4]
	v_div_scale_f64 v[16:17], vcc, v[3:4], v[1:2], v[3:4]
	v_rcp_f64_e32 v[12:13], v[10:11]
	v_fma_f64 v[14:15], -v[10:11], v[12:13], 1.0
	v_fma_f64 v[12:13], v[12:13], v[14:15], v[12:13]
	v_fma_f64 v[14:15], -v[10:11], v[12:13], 1.0
	v_fma_f64 v[12:13], v[12:13], v[14:15], v[12:13]
	v_mul_f64 v[14:15], v[16:17], v[12:13]
	v_fma_f64 v[10:11], -v[10:11], v[14:15], v[16:17]
	v_div_fmas_f64 v[10:11], v[10:11], v[12:13], v[14:15]
	v_div_fixup_f64 v[1:2], v[10:11], v[1:2], v[3:4]
	ds_write_b64 v7, v[1:2]
	s_cbranch_scc1 .LBB106_65
.LBB106_61:                             ; =>This Loop Header: Depth=1
                                        ;     Child Loop BB106_62 Depth 2
                                        ;     Child Loop BB106_64 Depth 2
	v_lshl_add_u32 v6, s2, 8, v9
	ds_read_b64 v[1:2], v6
	s_cmp_le_i32 s8, s2
	s_mov_b32 s5, s3
	v_mov_b32_e32 v3, v5
	s_mov_b32 s6, s8
	s_cbranch_scc1 .LBB106_63
.LBB106_62:                             ;   Parent Loop BB106_61 Depth=1
                                        ; =>  This Inner Loop Header: Depth=2
	v_mov_b32_e32 v4, s5
	ds_read_b64 v[7:8], v3
	ds_read_b64 v[10:11], v4
	s_add_i32 s6, s6, -1
	s_add_i32 s5, s5, -8
	s_cmp_le_u32 s6, s2
	v_add_u32_e32 v3, 0xffffff00, v3
	s_waitcnt lgkmcnt(0)
	v_fma_f64 v[1:2], -v[7:8], v[10:11], v[1:2]
	s_cbranch_scc0 .LBB106_62
.LBB106_63:                             ;   in Loop: Header=BB106_61 Depth=1
	s_mul_i32 s6, s2, 0x108
	v_mov_b32_e32 v3, s6
	ds_read_b64 v[10:11], v3
	s_add_i32 s5, s2, -1
	v_lshl_add_u32 v7, s5, 8, v9
	ds_read_b64 v[3:4], v7
	s_mov_b32 s7, s4
	s_waitcnt lgkmcnt(1)
	v_div_scale_f64 v[12:13], s[12:13], v[10:11], v[10:11], v[1:2]
	s_cmp_le_i32 s23, s2
	s_mov_b32 s9, s8
	v_rcp_f64_e32 v[14:15], v[12:13]
	v_fma_f64 v[16:17], -v[12:13], v[14:15], 1.0
	v_fma_f64 v[14:15], v[14:15], v[16:17], v[14:15]
	v_div_scale_f64 v[16:17], vcc, v[1:2], v[10:11], v[1:2]
	v_fma_f64 v[18:19], -v[12:13], v[14:15], 1.0
	v_fma_f64 v[14:15], v[14:15], v[18:19], v[14:15]
	v_mul_f64 v[18:19], v[16:17], v[14:15]
	v_fma_f64 v[12:13], -v[12:13], v[18:19], v[16:17]
	v_div_fmas_f64 v[12:13], v[12:13], v[14:15], v[18:19]
	v_div_fixup_f64 v[10:11], v[12:13], v[10:11], v[1:2]
	v_mov_b32_e32 v1, v5
	ds_write_b64 v6, v[10:11]
	s_cbranch_scc1 .LBB106_60
.LBB106_64:                             ;   Parent Loop BB106_61 Depth=1
                                        ; =>  This Inner Loop Header: Depth=2
	v_mov_b32_e32 v2, s7
	ds_read_b64 v[10:11], v1
	ds_read_b64 v[12:13], v2
	s_add_i32 s9, s9, -1
	s_add_i32 s7, s7, -8
	s_cmp_gt_u32 s9, s5
	v_add_u32_e32 v1, 0xffffff00, v1
	s_waitcnt lgkmcnt(0)
	v_fma_f64 v[3:4], -v[10:11], v[12:13], v[3:4]
	s_cbranch_scc1 .LBB106_64
	s_branch .LBB106_60
.LBB106_65:
	s_mov_b64 s[6:7], 0
.LBB106_66:
	s_andn2_b64 vcc, exec, s[6:7]
	s_cbranch_vccnz .LBB106_78
; %bb.67:
	v_mov_b32_e32 v1, 0x2000
	v_lshl_or_b32 v9, v0, 3, v1
	s_cmp_lt_i32 s22, 4
	s_mov_b32 s4, 0
	s_cbranch_scc1 .LBB106_73
; %bb.68:
	s_mov_b32 s2, 0
	s_mov_b32 s3, 0
.LBB106_69:                             ; =>This Loop Header: Depth=1
                                        ;     Child Loop BB106_70 Depth 2
	s_or_b32 s5, s3, 3
	v_lshl_add_u32 v10, s3, 8, v9
	s_or_b32 s6, s3, 1
	s_or_b32 s4, s3, 2
	v_lshl_add_u32 v12, s6, 8, v9
	v_lshl_add_u32 v13, s4, 8, v9
	;; [unrolled: 1-line block ×3, first 2 shown]
	ds_read_b64 v[7:8], v10
	ds_read_b64 v[5:6], v12
	;; [unrolled: 1-line block ×4, first 2 shown]
	s_cmp_eq_u32 s3, 0
	s_mov_b32 s7, s2
	v_mov_b32_e32 v14, v9
	s_mov_b32 s8, s3
	s_cbranch_scc1 .LBB106_71
.LBB106_70:                             ;   Parent Loop BB106_69 Depth=1
                                        ; =>  This Inner Loop Header: Depth=2
	v_mov_b32_e32 v19, s7
	ds_read_b64 v[23:24], v14
	ds_read2_b64 v[15:18], v19 offset1:32
	ds_read2_b64 v[19:22], v19 offset0:64 offset1:96
	s_add_i32 s8, s8, -1
	s_add_i32 s7, s7, 8
	s_cmp_eq_u32 s8, 0
	s_waitcnt lgkmcnt(1)
	v_fma_f64 v[7:8], -v[23:24], v[15:16], v[7:8]
	v_fma_f64 v[5:6], -v[23:24], v[17:18], v[5:6]
	s_waitcnt lgkmcnt(0)
	v_fma_f64 v[3:4], -v[23:24], v[19:20], v[3:4]
	v_fma_f64 v[1:2], -v[23:24], v[21:22], v[1:2]
	v_add_u32_e32 v14, 0x100, v14
	s_cbranch_scc0 .LBB106_70
.LBB106_71:                             ;   in Loop: Header=BB106_69 Depth=1
	s_mul_i32 s8, s3, 0x108
	v_mov_b32_e32 v14, s8
	ds_read_b64 v[18:19], v14
	s_lshl_b32 s7, s6, 5
	s_lshl_b32 s7, s7, 3
	;; [unrolled: 1-line block ×3, first 2 shown]
	s_add_i32 s7, s7, s11
	s_waitcnt lgkmcnt(0)
	v_div_scale_f64 v[20:21], s[8:9], v[18:19], v[18:19], v[7:8]
	v_mov_b32_e32 v14, s7
	ds_read_b128 v[14:17], v14
	s_lshl_b32 s6, s4, 5
	s_lshl_b32 s6, s6, 3
	s_add_i32 s7, s6, s11
	s_lshl_b32 s4, s4, 3
	s_add_i32 s4, s6, s4
	s_lshl_b32 s5, s5, 5
	s_addk_i32 s2, 0x400
	v_rcp_f64_e32 v[22:23], v[20:21]
	v_fma_f64 v[24:25], -v[20:21], v[22:23], 1.0
	v_fma_f64 v[22:23], v[22:23], v[24:25], v[22:23]
	v_div_scale_f64 v[24:25], vcc, v[7:8], v[18:19], v[7:8]
	v_fma_f64 v[26:27], -v[20:21], v[22:23], 1.0
	v_fma_f64 v[22:23], v[22:23], v[26:27], v[22:23]
	v_mul_f64 v[26:27], v[24:25], v[22:23]
	v_fma_f64 v[20:21], -v[20:21], v[26:27], v[24:25]
	v_div_fmas_f64 v[20:21], v[20:21], v[22:23], v[26:27]
	v_div_fixup_f64 v[18:19], v[20:21], v[18:19], v[7:8]
	s_waitcnt lgkmcnt(0)
	v_fma_f64 v[14:15], -v[18:19], v[14:15], v[5:6]
	v_div_scale_f64 v[5:6], s[8:9], v[16:17], v[16:17], v[14:15]
	v_rcp_f64_e32 v[7:8], v[5:6]
	v_fma_f64 v[20:21], -v[5:6], v[7:8], 1.0
	v_fma_f64 v[7:8], v[7:8], v[20:21], v[7:8]
	v_div_scale_f64 v[20:21], vcc, v[14:15], v[16:17], v[14:15]
	v_fma_f64 v[22:23], -v[5:6], v[7:8], 1.0
	v_fma_f64 v[7:8], v[7:8], v[22:23], v[7:8]
	v_mul_f64 v[22:23], v[20:21], v[7:8]
	v_fma_f64 v[5:6], -v[5:6], v[22:23], v[20:21]
	v_div_fmas_f64 v[20:21], v[5:6], v[7:8], v[22:23]
	v_mov_b32_e32 v5, s7
	ds_read_b128 v[5:8], v5
	v_mov_b32_e32 v22, s4
	ds_read_b64 v[22:23], v22
	s_lshl_b32 s4, s5, 3
	s_add_i32 s4, s4, s11
	s_waitcnt lgkmcnt(1)
	v_fma_f64 v[3:4], -v[18:19], v[5:6], v[3:4]
	v_div_fixup_f64 v[20:21], v[20:21], v[16:17], v[14:15]
	v_fma_f64 v[7:8], -v[20:21], v[7:8], v[3:4]
	s_waitcnt lgkmcnt(0)
	v_div_scale_f64 v[3:4], s[6:7], v[22:23], v[22:23], v[7:8]
	v_rcp_f64_e32 v[5:6], v[3:4]
	v_fma_f64 v[14:15], -v[3:4], v[5:6], 1.0
	v_fma_f64 v[5:6], v[5:6], v[14:15], v[5:6]
	v_div_scale_f64 v[14:15], vcc, v[7:8], v[22:23], v[7:8]
	v_fma_f64 v[16:17], -v[3:4], v[5:6], 1.0
	v_fma_f64 v[5:6], v[5:6], v[16:17], v[5:6]
	v_mul_f64 v[16:17], v[14:15], v[5:6]
	v_fma_f64 v[3:4], -v[3:4], v[16:17], v[14:15]
	v_mov_b32_e32 v14, s4
	v_div_fmas_f64 v[24:25], v[3:4], v[5:6], v[16:17]
	ds_read_b128 v[3:6], v14
	ds_read_b128 v[14:17], v14 offset:16
	s_waitcnt lgkmcnt(1)
	v_fma_f64 v[1:2], -v[18:19], v[3:4], v[1:2]
	v_fma_f64 v[1:2], -v[20:21], v[5:6], v[1:2]
	v_div_fixup_f64 v[3:4], v[24:25], v[22:23], v[7:8]
	ds_write_b64 v10, v[18:19]
	ds_write_b64 v12, v[20:21]
	;; [unrolled: 1-line block ×3, first 2 shown]
	s_waitcnt lgkmcnt(3)
	v_fma_f64 v[1:2], -v[3:4], v[14:15], v[1:2]
	v_div_scale_f64 v[5:6], s[4:5], v[16:17], v[16:17], v[1:2]
	v_div_scale_f64 v[22:23], vcc, v[1:2], v[16:17], v[1:2]
	s_add_i32 s4, s3, 4
	s_add_i32 s3, s3, 7
	s_cmp_ge_i32 s3, s23
	v_rcp_f64_e32 v[7:8], v[5:6]
	v_fma_f64 v[14:15], -v[5:6], v[7:8], 1.0
	v_fma_f64 v[7:8], v[7:8], v[14:15], v[7:8]
	v_fma_f64 v[14:15], -v[5:6], v[7:8], 1.0
	v_fma_f64 v[7:8], v[7:8], v[14:15], v[7:8]
	v_mul_f64 v[14:15], v[22:23], v[7:8]
	v_fma_f64 v[5:6], -v[5:6], v[14:15], v[22:23]
	v_div_fmas_f64 v[5:6], v[5:6], v[7:8], v[14:15]
	v_div_fixup_f64 v[1:2], v[5:6], v[16:17], v[1:2]
	ds_write_b64 v11, v[1:2]
	s_cbranch_scc1 .LBB106_73
; %bb.72:                               ;   in Loop: Header=BB106_69 Depth=1
	s_mov_b32 s3, s4
	s_branch .LBB106_69
.LBB106_73:
	s_cmp_ge_i32 s4, s23
	s_cbranch_scc1 .LBB106_78
; %bb.74:
	v_mov_b32_e32 v1, 0x2000
	v_lshl_or_b32 v3, v0, 3, v1
	s_lshl_b32 s2, s4, 8
	s_branch .LBB106_76
.LBB106_75:                             ;   in Loop: Header=BB106_76 Depth=1
	s_mul_i32 s3, s4, 0x108
	v_mov_b32_e32 v5, s3
	ds_read_b64 v[5:6], v5
	s_add_i32 s4, s4, 1
	s_addk_i32 s2, 0x100
	s_cmp_ge_i32 s4, s23
	s_waitcnt lgkmcnt(0)
	v_div_scale_f64 v[7:8], s[6:7], v[5:6], v[5:6], v[1:2]
	v_div_scale_f64 v[14:15], vcc, v[1:2], v[5:6], v[1:2]
	v_rcp_f64_e32 v[10:11], v[7:8]
	v_fma_f64 v[12:13], -v[7:8], v[10:11], 1.0
	v_fma_f64 v[10:11], v[10:11], v[12:13], v[10:11]
	v_fma_f64 v[12:13], -v[7:8], v[10:11], 1.0
	v_fma_f64 v[10:11], v[10:11], v[12:13], v[10:11]
	v_mul_f64 v[12:13], v[14:15], v[10:11]
	v_fma_f64 v[7:8], -v[7:8], v[12:13], v[14:15]
	v_div_fmas_f64 v[7:8], v[7:8], v[10:11], v[12:13]
	v_div_fixup_f64 v[1:2], v[7:8], v[5:6], v[1:2]
	ds_write_b64 v4, v[1:2]
	s_cbranch_scc1 .LBB106_78
.LBB106_76:                             ; =>This Loop Header: Depth=1
                                        ;     Child Loop BB106_77 Depth 2
	v_lshl_add_u32 v4, s4, 8, v9
	ds_read_b64 v[1:2], v4
	s_cmp_eq_u32 s4, 0
	s_mov_b32 s3, s2
	v_mov_b32_e32 v5, v3
	s_mov_b32 s5, s4
	s_cbranch_scc1 .LBB106_75
.LBB106_77:                             ;   Parent Loop BB106_76 Depth=1
                                        ; =>  This Inner Loop Header: Depth=2
	v_mov_b32_e32 v8, s3
	ds_read_b64 v[6:7], v5
	ds_read_b64 v[10:11], v8
	s_add_i32 s5, s5, -1
	s_add_i32 s3, s3, 8
	s_cmp_eq_u32 s5, 0
	v_add_u32_e32 v5, 0x100, v5
	s_waitcnt lgkmcnt(0)
	v_fma_f64 v[1:2], -v[6:7], v[10:11], v[1:2]
	s_cbranch_scc0 .LBB106_77
	s_branch .LBB106_75
.LBB106_78:
	s_and_saveexec_b64 s[2:3], s[0:1]
	s_cbranch_execz .LBB106_82
; %bb.79:
	s_cmp_lt_i32 s22, 1
	s_cbranch_scc1 .LBB106_82
; %bb.80:
	s_ashr_i32 s11, s10, 31
	v_lshlrev_b32_e32 v2, 3, v0
	v_mov_b32_e32 v1, s15
	v_add_co_u32_e32 v0, vcc, s14, v2
	s_lshl_b64 s[0:1], s[10:11], 3
	v_addc_co_u32_e32 v1, vcc, 0, v1, vcc
	v_or_b32_e32 v2, 0x2000, v2
	v_mov_b32_e32 v3, s1
.LBB106_81:                             ; =>This Inner Loop Header: Depth=1
	ds_read_b64 v[4:5], v2
	s_add_i32 s22, s22, -1
	v_add_u32_e32 v2, 0x100, v2
	s_cmp_lg_u32 s22, 0
	s_waitcnt lgkmcnt(0)
	global_store_dwordx2 v[0:1], v[4:5], off
	v_add_co_u32_e32 v0, vcc, s0, v0
	v_addc_co_u32_e32 v1, vcc, v1, v3, vcc
	s_cbranch_scc1 .LBB106_81
.LBB106_82:
	s_endpgm
	.section	.rodata,"a",@progbits
	.p2align	6, 0x0
	.amdhsa_kernel _ZL31rocblas_trsm_small_right_deviceIddPKdPdLi32EEv13rocblas_fill_18rocblas_operation_17rocblas_diagonal_iiT0_T1_lilT2_lili
		.amdhsa_group_segment_fixed_size 16384
		.amdhsa_private_segment_fixed_size 0
		.amdhsa_kernarg_size 360
		.amdhsa_user_sgpr_count 6
		.amdhsa_user_sgpr_private_segment_buffer 1
		.amdhsa_user_sgpr_dispatch_ptr 0
		.amdhsa_user_sgpr_queue_ptr 0
		.amdhsa_user_sgpr_kernarg_segment_ptr 1
		.amdhsa_user_sgpr_dispatch_id 0
		.amdhsa_user_sgpr_flat_scratch_init 0
		.amdhsa_user_sgpr_private_segment_size 0
		.amdhsa_uses_dynamic_stack 0
		.amdhsa_system_sgpr_private_segment_wavefront_offset 0
		.amdhsa_system_sgpr_workgroup_id_x 1
		.amdhsa_system_sgpr_workgroup_id_y 0
		.amdhsa_system_sgpr_workgroup_id_z 1
		.amdhsa_system_sgpr_workgroup_info 0
		.amdhsa_system_vgpr_workitem_id 0
		.amdhsa_next_free_vgpr 129
		.amdhsa_next_free_sgpr 98
		.amdhsa_reserve_vcc 1
		.amdhsa_reserve_flat_scratch 0
		.amdhsa_float_round_mode_32 0
		.amdhsa_float_round_mode_16_64 0
		.amdhsa_float_denorm_mode_32 3
		.amdhsa_float_denorm_mode_16_64 3
		.amdhsa_dx10_clamp 1
		.amdhsa_ieee_mode 1
		.amdhsa_fp16_overflow 0
		.amdhsa_exception_fp_ieee_invalid_op 0
		.amdhsa_exception_fp_denorm_src 0
		.amdhsa_exception_fp_ieee_div_zero 0
		.amdhsa_exception_fp_ieee_overflow 0
		.amdhsa_exception_fp_ieee_underflow 0
		.amdhsa_exception_fp_ieee_inexact 0
		.amdhsa_exception_int_div_zero 0
	.end_amdhsa_kernel
	.section	.text._ZL31rocblas_trsm_small_right_deviceIddPKdPdLi32EEv13rocblas_fill_18rocblas_operation_17rocblas_diagonal_iiT0_T1_lilT2_lili,"axG",@progbits,_ZL31rocblas_trsm_small_right_deviceIddPKdPdLi32EEv13rocblas_fill_18rocblas_operation_17rocblas_diagonal_iiT0_T1_lilT2_lili,comdat
.Lfunc_end106:
	.size	_ZL31rocblas_trsm_small_right_deviceIddPKdPdLi32EEv13rocblas_fill_18rocblas_operation_17rocblas_diagonal_iiT0_T1_lilT2_lili, .Lfunc_end106-_ZL31rocblas_trsm_small_right_deviceIddPKdPdLi32EEv13rocblas_fill_18rocblas_operation_17rocblas_diagonal_iiT0_T1_lilT2_lili
                                        ; -- End function
	.set _ZL31rocblas_trsm_small_right_deviceIddPKdPdLi32EEv13rocblas_fill_18rocblas_operation_17rocblas_diagonal_iiT0_T1_lilT2_lili.num_vgpr, 36
	.set _ZL31rocblas_trsm_small_right_deviceIddPKdPdLi32EEv13rocblas_fill_18rocblas_operation_17rocblas_diagonal_iiT0_T1_lilT2_lili.num_agpr, 0
	.set _ZL31rocblas_trsm_small_right_deviceIddPKdPdLi32EEv13rocblas_fill_18rocblas_operation_17rocblas_diagonal_iiT0_T1_lilT2_lili.numbered_sgpr, 26
	.set _ZL31rocblas_trsm_small_right_deviceIddPKdPdLi32EEv13rocblas_fill_18rocblas_operation_17rocblas_diagonal_iiT0_T1_lilT2_lili.num_named_barrier, 0
	.set _ZL31rocblas_trsm_small_right_deviceIddPKdPdLi32EEv13rocblas_fill_18rocblas_operation_17rocblas_diagonal_iiT0_T1_lilT2_lili.private_seg_size, 0
	.set _ZL31rocblas_trsm_small_right_deviceIddPKdPdLi32EEv13rocblas_fill_18rocblas_operation_17rocblas_diagonal_iiT0_T1_lilT2_lili.uses_vcc, 1
	.set _ZL31rocblas_trsm_small_right_deviceIddPKdPdLi32EEv13rocblas_fill_18rocblas_operation_17rocblas_diagonal_iiT0_T1_lilT2_lili.uses_flat_scratch, 0
	.set _ZL31rocblas_trsm_small_right_deviceIddPKdPdLi32EEv13rocblas_fill_18rocblas_operation_17rocblas_diagonal_iiT0_T1_lilT2_lili.has_dyn_sized_stack, 0
	.set _ZL31rocblas_trsm_small_right_deviceIddPKdPdLi32EEv13rocblas_fill_18rocblas_operation_17rocblas_diagonal_iiT0_T1_lilT2_lili.has_recursion, 0
	.set _ZL31rocblas_trsm_small_right_deviceIddPKdPdLi32EEv13rocblas_fill_18rocblas_operation_17rocblas_diagonal_iiT0_T1_lilT2_lili.has_indirect_call, 0
	.section	.AMDGPU.csdata,"",@progbits
; Kernel info:
; codeLenInByte = 6036
; TotalNumSgprs: 30
; NumVgprs: 36
; ScratchSize: 0
; MemoryBound: 0
; FloatMode: 240
; IeeeMode: 1
; LDSByteSize: 16384 bytes/workgroup (compile time only)
; SGPRBlocks: 12
; VGPRBlocks: 32
; NumSGPRsForWavesPerEU: 102
; NumVGPRsForWavesPerEU: 129
; Occupancy: 1
; WaveLimiterHint : 0
; COMPUTE_PGM_RSRC2:SCRATCH_EN: 0
; COMPUTE_PGM_RSRC2:USER_SGPR: 6
; COMPUTE_PGM_RSRC2:TRAP_HANDLER: 0
; COMPUTE_PGM_RSRC2:TGID_X_EN: 1
; COMPUTE_PGM_RSRC2:TGID_Y_EN: 0
; COMPUTE_PGM_RSRC2:TGID_Z_EN: 1
; COMPUTE_PGM_RSRC2:TIDIG_COMP_CNT: 0
	.section	.text._ZL38rocblas_trsm_small_left_device_sharedBILi64ELi32ELb0EddPKdPdEv13rocblas_fill_18rocblas_operation_17rocblas_diagonal_iiT3_T4_lilT5_lili,"axG",@progbits,_ZL38rocblas_trsm_small_left_device_sharedBILi64ELi32ELb0EddPKdPdEv13rocblas_fill_18rocblas_operation_17rocblas_diagonal_iiT3_T4_lilT5_lili,comdat
	.globl	_ZL38rocblas_trsm_small_left_device_sharedBILi64ELi32ELb0EddPKdPdEv13rocblas_fill_18rocblas_operation_17rocblas_diagonal_iiT3_T4_lilT5_lili ; -- Begin function _ZL38rocblas_trsm_small_left_device_sharedBILi64ELi32ELb0EddPKdPdEv13rocblas_fill_18rocblas_operation_17rocblas_diagonal_iiT3_T4_lilT5_lili
	.p2align	8
	.type	_ZL38rocblas_trsm_small_left_device_sharedBILi64ELi32ELb0EddPKdPdEv13rocblas_fill_18rocblas_operation_17rocblas_diagonal_iiT3_T4_lilT5_lili,@function
_ZL38rocblas_trsm_small_left_device_sharedBILi64ELi32ELb0EddPKdPdEv13rocblas_fill_18rocblas_operation_17rocblas_diagonal_iiT3_T4_lilT5_lili: ; @_ZL38rocblas_trsm_small_left_device_sharedBILi64ELi32ELb0EddPKdPdEv13rocblas_fill_18rocblas_operation_17rocblas_diagonal_iiT3_T4_lilT5_lili
; %bb.0:
	s_load_dwordx4 s[8:11], s[4:5], 0x4
	s_load_dwordx4 s[12:15], s[4:5], 0x18
	s_load_dwordx2 s[20:21], s[4:5], 0x28
	s_load_dwordx4 s[0:3], s[4:5], 0x38
	s_load_dwordx2 s[16:17], s[4:5], 0x48
	s_waitcnt lgkmcnt(0)
	s_min_i32 s22, s10, 64
	v_cmp_gt_i32_e32 vcc, s22, v0
	s_and_saveexec_b64 s[18:19], vcc
	s_cbranch_execz .LBB107_6
; %bb.1:
	s_load_dword s24, s[4:5], 0x30
	s_mul_i32 s1, s1, s7
	s_mul_hi_u32 s23, s0, s7
	s_mul_i32 s0, s0, s7
	s_add_i32 s1, s23, s1
	s_waitcnt lgkmcnt(0)
	s_ashr_i32 s25, s24, 31
	s_lshl_b64 s[0:1], s[0:1], 3
	s_add_u32 s14, s14, s0
	s_addc_u32 s15, s15, s1
	s_lshl_b64 s[0:1], s[20:21], 3
	s_add_u32 s0, s14, s0
	s_addc_u32 s1, s15, s1
	v_lshlrev_b32_e32 v3, 3, v0
	v_mov_b32_e32 v2, s1
	v_add_co_u32_e32 v1, vcc, s0, v3
	s_lshl_b64 s[0:1], s[24:25], 3
	v_addc_co_u32_e32 v2, vcc, 0, v2, vcc
	v_mov_b32_e32 v4, s1
	v_mov_b32_e32 v5, v3
	s_mov_b32 s1, s22
.LBB107_2:                              ; =>This Inner Loop Header: Depth=1
	global_load_dwordx2 v[6:7], v[1:2], off
	v_add_co_u32_e32 v1, vcc, s0, v1
	s_add_i32 s1, s1, -1
	v_addc_co_u32_e32 v2, vcc, v2, v4, vcc
	s_cmp_eq_u32 s1, 0
	s_waitcnt vmcnt(0)
	ds_write_b64 v5, v[6:7]
	v_add_u32_e32 v5, 0x200, v5
	s_cbranch_scc0 .LBB107_2
; %bb.3:
	v_lshlrev_b32_e32 v4, 9, v0
	v_mov_b32_e32 v1, 0
	s_cmpk_lg_i32 s9, 0x84
	v_mov_b32_e32 v2, 0x3ff00000
	v_add_u32_e32 v3, v3, v4
	s_cbranch_scc0 .LBB107_5
; %bb.4:
	ds_read_b64 v[1:2], v3
	s_waitcnt lgkmcnt(0)
	v_div_scale_f64 v[4:5], s[0:1], v[1:2], v[1:2], 1.0
	v_div_scale_f64 v[10:11], vcc, 1.0, v[1:2], 1.0
	v_rcp_f64_e32 v[6:7], v[4:5]
	v_fma_f64 v[8:9], -v[4:5], v[6:7], 1.0
	v_fma_f64 v[6:7], v[6:7], v[8:9], v[6:7]
	v_fma_f64 v[8:9], -v[4:5], v[6:7], 1.0
	v_fma_f64 v[6:7], v[6:7], v[8:9], v[6:7]
	v_mul_f64 v[8:9], v[10:11], v[6:7]
	v_fma_f64 v[4:5], -v[4:5], v[8:9], v[10:11]
	v_div_fmas_f64 v[4:5], v[4:5], v[6:7], v[8:9]
	v_div_fixup_f64 v[1:2], v[4:5], v[1:2], 1.0
.LBB107_5:
	ds_write_b64 v3, v[1:2]
.LBB107_6:
	s_or_b64 exec, exec, s[18:19]
	s_load_dword s0, s[4:5], 0x68
	s_load_dwordx2 s[14:15], s[4:5], 0x58
	s_load_dword s9, s[4:5], 0x50
	s_waitcnt lgkmcnt(0)
	s_mul_i32 s1, s15, s7
	s_mul_hi_u32 s5, s14, s7
	s_mul_i32 s4, s14, s7
	s_add_i32 s5, s5, s1
	s_lshl_b64 s[4:5], s[4:5], 3
	s_add_u32 s1, s2, s4
	s_addc_u32 s4, s3, s5
	s_lshl_b64 s[2:3], s[16:17], 3
	s_add_u32 s2, s1, s2
	s_addc_u32 s3, s4, s3
	s_lshl_b32 s4, s6, 6
	s_add_i32 s0, s0, -1
	s_sub_i32 s1, s11, s4
	s_cmp_ge_u32 s6, s0
	s_cselect_b32 s5, s1, 64
	s_mul_hi_i32 s1, s9, s4
	s_mul_i32 s0, s9, s4
	s_lshl_b64 s[0:1], s[0:1], 3
	s_add_u32 s6, s2, s0
	s_addc_u32 s7, s3, s1
	s_cmp_gt_i32 s10, 0
	v_cmp_gt_i32_e64 s[0:1], s5, v0
	s_cselect_b64 s[2:3], -1, 0
	s_and_b64 s[14:15], s[0:1], s[2:3]
	s_and_saveexec_b64 s[4:5], s[14:15]
	s_cbranch_execz .LBB107_9
; %bb.7:
	v_mad_i64_i32 v[1:2], s[14:15], s9, v0, 0
	v_mov_b32_e32 v3, s7
	s_mov_b32 s11, s22
	v_lshlrev_b64 v[1:2], 3, v[1:2]
	v_add_co_u32_e32 v1, vcc, s6, v1
	v_addc_co_u32_e32 v2, vcc, v3, v2, vcc
	v_mov_b32_e32 v3, 0x8000
	v_lshl_or_b32 v3, v0, 3, v3
.LBB107_8:                              ; =>This Inner Loop Header: Depth=1
	global_load_dwordx2 v[4:5], v[1:2], off
	s_add_i32 s11, s11, -1
	v_add_co_u32_e32 v1, vcc, 8, v1
	v_addc_co_u32_e32 v2, vcc, 0, v2, vcc
	s_cmp_lg_u32 s11, 0
	s_waitcnt vmcnt(0)
	v_mul_f64 v[4:5], s[12:13], v[4:5]
	ds_write_b64 v3, v[4:5]
	v_add_u32_e32 v3, 0x200, v3
	s_cbranch_scc1 .LBB107_8
.LBB107_9:
	s_or_b64 exec, exec, s[4:5]
	v_mov_b32_e32 v1, 0x8000
	s_cmpk_eq_i32 s8, 0x6f
	v_lshl_or_b32 v65, v0, 3, v1
	s_mov_b64 s[4:5], -1
	s_waitcnt lgkmcnt(0)
	; wave barrier
	s_cbranch_scc1 .LBB107_35
; %bb.10:
	s_cmp_lt_i32 s10, 32
	s_mov_b32 s8, 0
	s_cbranch_scc1 .LBB107_16
; %bb.11:
	v_mov_b32_e32 v1, 0x8000
	v_lshl_or_b32 v66, v0, 3, v1
	s_mov_b32 s4, 0
	s_mov_b32 s5, 0
.LBB107_12:                             ; =>This Loop Header: Depth=1
                                        ;     Child Loop BB107_13 Depth 2
	s_lshl_b32 s8, s5, 9
	v_add_u32_e32 v68, s8, v65
	ds_read2st64_b64 v[61:64], v68 offset1:1
	ds_read2st64_b64 v[57:60], v68 offset0:2 offset1:3
	ds_read2st64_b64 v[53:56], v68 offset0:4 offset1:5
	;; [unrolled: 1-line block ×15, first 2 shown]
	s_cmp_eq_u32 s5, 0
	v_mov_b32_e32 v67, v66
	s_mov_b32 s11, s5
	s_mov_b32 s12, s4
	s_cbranch_scc1 .LBB107_14
.LBB107_13:                             ;   Parent Loop BB107_12 Depth=1
                                        ; =>  This Inner Loop Header: Depth=2
	v_mov_b32_e32 v129, s12
	ds_read_b64 v[133:134], v67
	ds_read2st64_b64 v[69:72], v129 offset1:1
	ds_read2st64_b64 v[73:76], v129 offset0:2 offset1:3
	ds_read2st64_b64 v[77:80], v129 offset0:4 offset1:5
	;; [unrolled: 1-line block ×15, first 2 shown]
	s_add_i32 s12, s12, 8
	s_add_i32 s11, s11, -1
	s_cmp_eq_u32 s11, 0
	s_waitcnt lgkmcnt(14)
	v_fma_f64 v[61:62], -v[133:134], v[69:70], v[61:62]
	v_fma_f64 v[63:64], -v[133:134], v[71:72], v[63:64]
	;; [unrolled: 1-line block ×4, first 2 shown]
	s_waitcnt lgkmcnt(13)
	v_fma_f64 v[53:54], -v[133:134], v[77:78], v[53:54]
	v_fma_f64 v[55:56], -v[133:134], v[79:80], v[55:56]
	s_waitcnt lgkmcnt(12)
	v_fma_f64 v[49:50], -v[133:134], v[81:82], v[49:50]
	v_fma_f64 v[51:52], -v[133:134], v[83:84], v[51:52]
	;; [unrolled: 3-line block ×14, first 2 shown]
	v_add_u32_e32 v67, 0x200, v67
	s_cbranch_scc0 .LBB107_13
.LBB107_14:                             ;   in Loop: Header=BB107_12 Depth=1
	s_lshl_b32 s13, s5, 3
	s_add_i32 s11, s13, s8
	v_mov_b32_e32 v67, s11
	ds_read2_b64 v[69:72], v67 offset1:130
	s_or_b32 s31, s8, 0x200
	s_add_i32 s11, s13, s31
	s_or_b32 s27, s8, 0x400
	s_or_b32 s28, s8, 0x600
	s_waitcnt lgkmcnt(0)
	v_mul_f64 v[61:62], v[69:70], v[61:62]
	v_mov_b32_e32 v69, s11
	ds_read_b128 v[73:76], v69
	s_add_i32 s11, s13, s27
	v_mov_b32_e32 v69, s11
	ds_read_b128 v[77:80], v69
	s_add_i32 s14, s13, s28
	s_or_b32 s26, s8, 0x800
	s_waitcnt lgkmcnt(1)
	v_fma_f64 v[63:64], -v[61:62], v[73:74], v[63:64]
	s_add_i32 s16, s13, s26
	s_waitcnt lgkmcnt(0)
	v_fma_f64 v[69:70], -v[61:62], v[77:78], v[57:58]
	v_mov_b32_e32 v85, s16
	s_or_b32 s29, s8, 0xa00
	s_add_i32 s16, s13, s29
	v_mov_b32_e32 v89, s16
	s_or_b32 s23, s8, 0xc00
	v_mul_f64 v[57:58], v[75:76], v[63:64]
	v_mov_b32_e32 v63, s14
	ds_read_b128 v[73:76], v63
	ds_read_b128 v[81:84], v63 offset:16
	s_add_i32 s17, s13, s23
	v_mov_b32_e32 v97, s17
	s_or_b32 s15, s8, 0xe00
	s_waitcnt lgkmcnt(1)
	v_fma_f64 v[59:60], -v[61:62], v[73:74], v[59:60]
	v_fma_f64 v[63:64], -v[57:58], v[79:80], v[69:70]
	ds_read_b128 v[77:80], v85
	ds_read_b128 v[85:88], v85 offset:16
	s_add_i32 s16, s13, s15
	v_mov_b32_e32 v105, s16
	s_or_b32 s11, s8, 0x1000
	s_waitcnt lgkmcnt(1)
	v_fma_f64 v[77:78], -v[61:62], v[77:78], v[53:54]
	v_fma_f64 v[59:60], -v[57:58], v[75:76], v[59:60]
	v_mul_f64 v[53:54], v[71:72], v[63:64]
	ds_read_b128 v[69:72], v89
	ds_read_b128 v[73:76], v89 offset:16
	ds_read_b128 v[89:92], v89 offset:32
	ds_read_b128 v[93:96], v97
	s_add_i32 s17, s13, s11
	v_add_u32_e32 v101, 0x800, v67
	v_mov_b32_e32 v106, s17
	s_waitcnt lgkmcnt(3)
	v_fma_f64 v[55:56], -v[61:62], v[69:70], v[55:56]
	v_fma_f64 v[63:64], -v[57:58], v[79:80], v[77:78]
	;; [unrolled: 1-line block ×3, first 2 shown]
	s_waitcnt lgkmcnt(0)
	v_fma_f64 v[93:94], -v[61:62], v[93:94], v[49:50]
	ds_read_b128 v[77:80], v105
	s_or_b32 s12, s8, 0x1200
	s_add_i32 s16, s13, s12
	s_or_b32 s14, s8, 0x1400
	v_fma_f64 v[55:56], -v[57:58], v[71:72], v[55:56]
	v_fma_f64 v[63:64], -v[53:54], v[85:86], v[63:64]
	v_mul_f64 v[49:50], v[83:84], v[59:60]
	s_waitcnt lgkmcnt(0)
	v_fma_f64 v[51:52], -v[61:62], v[77:78], v[51:52]
	ds_read_b128 v[69:72], v105 offset:16
	ds_read_b128 v[81:84], v106
	v_fma_f64 v[59:60], -v[57:58], v[95:96], v[93:94]
	s_add_i32 s17, s13, s14
	s_addk_i32 s4, 0x4000
	v_fma_f64 v[55:56], -v[53:54], v[73:74], v[55:56]
	s_waitcnt lgkmcnt(0)
	v_fma_f64 v[81:82], -v[61:62], v[81:82], v[45:46]
	v_fma_f64 v[63:64], -v[49:50], v[87:88], v[63:64]
	ds_read_b128 v[85:88], v97 offset:16
	ds_read_b128 v[93:96], v97 offset:32
	;; [unrolled: 1-line block ×3, first 2 shown]
	ds_read2_b64 v[101:104], v101 offset0:4 offset1:134
	v_fma_f64 v[51:52], -v[57:58], v[79:80], v[51:52]
	s_waitcnt lgkmcnt(3)
	v_fma_f64 v[59:60], -v[53:54], v[85:86], v[59:60]
	v_fma_f64 v[55:56], -v[49:50], v[75:76], v[55:56]
	s_waitcnt lgkmcnt(0)
	v_mul_f64 v[45:46], v[101:102], v[63:64]
	v_mov_b32_e32 v101, s16
	ds_read_b128 v[73:76], v101
	ds_read_b128 v[77:80], v101 offset:16
	v_fma_f64 v[51:52], -v[53:54], v[69:70], v[51:52]
	v_fma_f64 v[63:64], -v[57:58], v[83:84], v[81:82]
	;; [unrolled: 1-line block ×3, first 2 shown]
	s_waitcnt lgkmcnt(1)
	v_fma_f64 v[69:70], -v[61:62], v[73:74], v[47:48]
	v_mov_b32_e32 v102, s17
	v_fma_f64 v[55:56], -v[45:46], v[89:90], v[55:56]
	s_or_b32 s16, s8, 0x1600
	s_add_i32 s17, s13, s16
	v_fma_f64 v[51:52], -v[49:50], v[71:72], v[51:52]
	v_fma_f64 v[63:64], -v[53:54], v[97:98], v[63:64]
	;; [unrolled: 1-line block ×3, first 2 shown]
	v_mul_f64 v[47:48], v[91:92], v[55:56]
	v_fma_f64 v[55:56], -v[57:58], v[75:76], v[69:70]
	ds_read_b128 v[69:72], v105 offset:32
	ds_read_b128 v[73:76], v105 offset:48
	;; [unrolled: 1-line block ×3, first 2 shown]
	ds_read_b128 v[85:88], v102
	v_mov_b32_e32 v105, s17
	v_fma_f64 v[63:64], -v[49:50], v[99:100], v[63:64]
	s_waitcnt lgkmcnt(3)
	v_fma_f64 v[51:52], -v[45:46], v[69:70], v[51:52]
	ds_read_b128 v[89:92], v106 offset:48
	s_waitcnt lgkmcnt(1)
	v_fma_f64 v[41:42], -v[61:62], v[85:86], v[41:42]
	v_fma_f64 v[59:60], -v[47:48], v[95:96], v[59:60]
	;; [unrolled: 1-line block ×3, first 2 shown]
	s_or_b32 s17, s8, 0x1800
	s_add_i32 s18, s13, s17
	v_fma_f64 v[63:64], -v[45:46], v[81:82], v[63:64]
	v_fma_f64 v[81:82], -v[47:48], v[71:72], v[51:52]
	;; [unrolled: 1-line block ×3, first 2 shown]
	v_mul_f64 v[51:52], v[103:104], v[59:60]
	v_fma_f64 v[55:56], -v[49:50], v[79:80], v[55:56]
	ds_read_b128 v[69:72], v101 offset:32
	ds_read_b128 v[77:80], v101 offset:48
	;; [unrolled: 1-line block ×3, first 2 shown]
	ds_read_b128 v[93:96], v105
	v_mov_b32_e32 v103, s18
	v_fma_f64 v[59:60], -v[47:48], v[83:84], v[63:64]
	ds_read_b128 v[97:100], v105 offset:16
	s_or_b32 s18, s8, 0x1a00
	s_waitcnt lgkmcnt(1)
	v_fma_f64 v[43:44], -v[61:62], v[93:94], v[43:44]
	v_fma_f64 v[63:64], -v[51:52], v[73:74], v[81:82]
	;; [unrolled: 1-line block ×4, first 2 shown]
	ds_read_b128 v[81:84], v102 offset:32
	v_fma_f64 v[59:60], -v[51:52], v[89:90], v[59:60]
	s_add_i32 s19, s13, s18
	v_fma_f64 v[43:44], -v[57:58], v[95:96], v[43:44]
	v_mul_f64 v[41:42], v[75:76], v[63:64]
	v_fma_f64 v[55:56], -v[47:48], v[71:72], v[55:56]
	v_fma_f64 v[63:64], -v[49:50], v[87:88], v[69:70]
	ds_read_b128 v[73:76], v103
	ds_read_b128 v[85:88], v103 offset:16
	v_add_u32_e32 v69, 0x1000, v67
	ds_read2_b64 v[69:72], v69 offset0:8 offset1:138
	s_waitcnt lgkmcnt(4)
	v_fma_f64 v[43:44], -v[53:54], v[97:98], v[43:44]
	v_fma_f64 v[59:60], -v[41:42], v[91:92], v[59:60]
	;; [unrolled: 1-line block ×3, first 2 shown]
	ds_read_b128 v[89:92], v101 offset:64
	s_waitcnt lgkmcnt(4)
	v_fma_f64 v[63:64], -v[45:46], v[81:82], v[63:64]
	v_mov_b32_e32 v101, s19
	s_or_b32 s19, s8, 0x1c00
	s_add_i32 s20, s13, s19
	v_fma_f64 v[43:44], -v[49:50], v[99:100], v[43:44]
	v_fma_f64 v[55:56], -v[41:42], v[79:80], v[55:56]
	ds_read_b128 v[77:80], v102 offset:48
	s_waitcnt lgkmcnt(4)
	v_fma_f64 v[73:74], -v[61:62], v[73:74], v[37:38]
	s_waitcnt lgkmcnt(2)
	v_mul_f64 v[37:38], v[69:70], v[59:60]
	v_fma_f64 v[59:60], -v[47:48], v[83:84], v[63:64]
	v_fma_f64 v[63:64], -v[57:58], v[75:76], v[73:74]
	ds_read_b128 v[73:76], v105 offset:32
	ds_read_b128 v[81:84], v102 offset:64
	s_waitcnt lgkmcnt(2)
	v_fma_f64 v[59:60], -v[51:52], v[77:78], v[59:60]
	ds_read_b128 v[97:100], v101
	v_fma_f64 v[55:56], -v[37:38], v[89:90], v[55:56]
	s_waitcnt lgkmcnt(2)
	v_fma_f64 v[43:44], -v[45:46], v[73:74], v[43:44]
	ds_read_b128 v[93:96], v105 offset:48
	v_mov_b32_e32 v102, s20
	v_fma_f64 v[63:64], -v[53:54], v[85:86], v[63:64]
	s_or_b32 s20, s8, 0x1e00
	v_fma_f64 v[59:60], -v[41:42], v[79:80], v[59:60]
	ds_read_b128 v[77:80], v103 offset:32
	s_add_i32 s21, s13, s20
	v_fma_f64 v[43:44], -v[47:48], v[75:76], v[43:44]
	ds_read_b128 v[73:76], v101 offset:16
	s_waitcnt lgkmcnt(3)
	v_fma_f64 v[69:70], -v[61:62], v[97:98], v[39:40]
	v_fma_f64 v[63:64], -v[49:50], v[87:88], v[63:64]
	v_mul_f64 v[39:40], v[91:92], v[55:56]
	v_fma_f64 v[55:56], -v[37:38], v[81:82], v[59:60]
	ds_read_b128 v[89:92], v102
	ds_read_b128 v[85:88], v103 offset:48
	s_waitcnt lgkmcnt(4)
	v_fma_f64 v[43:44], -v[51:52], v[93:94], v[43:44]
	v_mov_b32_e32 v109, s21
	v_fma_f64 v[59:60], -v[57:58], v[99:100], v[69:70]
	s_waitcnt lgkmcnt(3)
	v_fma_f64 v[63:64], -v[45:46], v[77:78], v[63:64]
	s_waitcnt lgkmcnt(1)
	v_fma_f64 v[33:34], -v[61:62], v[89:90], v[33:34]
	v_fma_f64 v[55:56], -v[39:40], v[83:84], v[55:56]
	s_or_b32 s21, s8, 0x2000
	s_add_i32 s24, s13, s21
	v_fma_f64 v[43:44], -v[41:42], v[95:96], v[43:44]
	ds_read_b128 v[93:96], v105 offset:64
	v_fma_f64 v[59:60], -v[53:54], v[73:74], v[59:60]
	v_fma_f64 v[63:64], -v[47:48], v[79:80], v[63:64]
	ds_read_b128 v[77:80], v105 offset:80
	ds_read_b128 v[81:84], v101 offset:48
	v_mov_b32_e32 v110, s24
	s_or_b32 s24, s8, 0x2200
	s_waitcnt lgkmcnt(2)
	v_fma_f64 v[43:44], -v[37:38], v[93:94], v[43:44]
	s_add_i32 s25, s13, s24
	v_fma_f64 v[59:60], -v[49:50], v[75:76], v[59:60]
	v_fma_f64 v[63:64], -v[51:52], v[85:86], v[63:64]
	;; [unrolled: 1-line block ×3, first 2 shown]
	ds_read_b128 v[73:76], v101 offset:32
	v_mul_f64 v[33:34], v[71:72], v[55:56]
	ds_read_b128 v[69:72], v102 offset:16
	ds_read_b128 v[89:92], v102 offset:32
	v_fma_f64 v[43:44], -v[39:40], v[95:96], v[43:44]
	s_waitcnt lgkmcnt(2)
	v_fma_f64 v[55:56], -v[45:46], v[73:74], v[59:60]
	v_fma_f64 v[63:64], -v[41:42], v[87:88], v[63:64]
	s_waitcnt lgkmcnt(1)
	v_fma_f64 v[59:60], -v[53:54], v[69:70], v[85:86]
	ds_read_b128 v[85:88], v109
	ds_read_b128 v[93:96], v103 offset:64
	v_mov_b32_e32 v111, s25
	s_or_b32 s25, s8, 0x2400
	s_add_i32 s30, s13, s25
	s_waitcnt lgkmcnt(1)
	v_fma_f64 v[35:36], -v[61:62], v[85:86], v[35:36]
	v_fma_f64 v[55:56], -v[47:48], v[75:76], v[55:56]
	;; [unrolled: 1-line block ×4, first 2 shown]
	ds_read_b128 v[69:72], v109 offset:16
	ds_read_b128 v[73:76], v103 offset:80
	s_waitcnt lgkmcnt(2)
	v_fma_f64 v[63:64], -v[37:38], v[93:94], v[63:64]
	v_mov_b32_e32 v112, s30
	v_fma_f64 v[77:78], -v[57:58], v[87:88], v[35:36]
	v_fma_f64 v[55:56], -v[51:52], v[81:82], v[55:56]
	v_mul_f64 v[35:36], v[79:80], v[43:44]
	v_fma_f64 v[59:60], -v[45:46], v[89:90], v[59:60]
	s_or_b32 s30, s8, 0x2600
	s_add_i32 s33, s13, s30
	v_fma_f64 v[63:64], -v[39:40], v[95:96], v[63:64]
	v_mov_b32_e32 v113, s33
	s_or_b32 s33, s8, 0x2800
	v_fma_f64 v[55:56], -v[41:42], v[83:84], v[55:56]
	s_add_i32 s34, s13, s33
	v_fma_f64 v[43:44], -v[47:48], v[91:92], v[59:60]
	s_waitcnt lgkmcnt(1)
	v_fma_f64 v[59:60], -v[53:54], v[69:70], v[77:78]
	ds_read_b128 v[77:80], v102 offset:48
	ds_read_b128 v[81:84], v101 offset:64
	;; [unrolled: 1-line block ×4, first 2 shown]
	ds_read_b128 v[93:96], v110
	s_waitcnt lgkmcnt(5)
	v_fma_f64 v[63:64], -v[33:34], v[73:74], v[63:64]
	ds_read_b128 v[97:100], v110 offset:16
	s_waitcnt lgkmcnt(4)
	v_fma_f64 v[55:56], -v[37:38], v[81:82], v[55:56]
	v_fma_f64 v[43:44], -v[51:52], v[77:78], v[43:44]
	;; [unrolled: 1-line block ×3, first 2 shown]
	ds_read_b128 v[69:72], v109 offset:32
	s_waitcnt lgkmcnt(2)
	v_fma_f64 v[29:30], -v[61:62], v[93:94], v[29:30]
	v_mov_b32_e32 v114, s34
	v_fma_f64 v[63:64], -v[35:36], v[75:76], v[63:64]
	s_or_b32 s34, s8, 0x2a00
	v_fma_f64 v[55:56], -v[39:40], v[83:84], v[55:56]
	v_fma_f64 v[43:44], -v[41:42], v[79:80], v[43:44]
	s_waitcnt lgkmcnt(0)
	v_fma_f64 v[59:60], -v[45:46], v[69:70], v[59:60]
	v_add_u32_e32 v69, 0x1800, v67
	v_fma_f64 v[81:82], -v[57:58], v[95:96], v[29:30]
	ds_read2_b64 v[73:76], v69 offset0:12 offset1:142
	ds_read_b128 v[77:80], v109 offset:48
	s_add_i32 s35, s13, s34
	v_fma_f64 v[55:56], -v[33:34], v[85:86], v[55:56]
	v_fma_f64 v[43:44], -v[37:38], v[89:90], v[43:44]
	;; [unrolled: 1-line block ×3, first 2 shown]
	s_waitcnt lgkmcnt(1)
	v_mul_f64 v[29:30], v[73:74], v[63:64]
	v_fma_f64 v[63:64], -v[53:54], v[97:98], v[81:82]
	ds_read_b128 v[69:72], v101 offset:96
	ds_read_b128 v[81:84], v111
	v_mov_b32_e32 v115, s35
	v_fma_f64 v[55:56], -v[35:36], v[87:88], v[55:56]
	v_fma_f64 v[43:44], -v[39:40], v[91:92], v[43:44]
	s_waitcnt lgkmcnt(2)
	v_fma_f64 v[59:60], -v[51:52], v[77:78], v[59:60]
	s_waitcnt lgkmcnt(0)
	v_fma_f64 v[31:32], -v[61:62], v[81:82], v[31:32]
	v_fma_f64 v[63:64], -v[49:50], v[99:100], v[63:64]
	ds_read_b128 v[85:88], v102 offset:80
	ds_read_b128 v[89:92], v102 offset:96
	;; [unrolled: 1-line block ×3, first 2 shown]
	s_or_b32 s35, s8, 0x2c00
	s_add_i32 s36, s13, s35
	v_fma_f64 v[55:56], -v[29:30], v[69:70], v[55:56]
	s_waitcnt lgkmcnt(2)
	v_fma_f64 v[43:44], -v[33:34], v[85:86], v[43:44]
	v_fma_f64 v[59:60], -v[41:42], v[79:80], v[59:60]
	ds_read_b128 v[77:80], v110 offset:32
	ds_read_b128 v[97:100], v109 offset:64
	;; [unrolled: 1-line block ×4, first 2 shown]
	v_fma_f64 v[31:32], -v[57:58], v[83:84], v[31:32]
	s_waitcnt lgkmcnt(3)
	v_fma_f64 v[63:64], -v[45:46], v[77:78], v[63:64]
	ds_read_b128 v[81:84], v112
	v_mov_b32_e32 v116, s36
	s_or_b32 s36, s8, 0x2e00
	v_fma_f64 v[43:44], -v[35:36], v[87:88], v[43:44]
	s_waitcnt lgkmcnt(3)
	v_fma_f64 v[59:60], -v[37:38], v[97:98], v[59:60]
	ds_read_b128 v[85:88], v112 offset:32
	v_fma_f64 v[31:32], -v[53:54], v[93:94], v[31:32]
	v_fma_f64 v[63:64], -v[47:48], v[79:80], v[63:64]
	ds_read_b128 v[77:80], v112 offset:16
	s_waitcnt lgkmcnt(2)
	v_fma_f64 v[69:70], -v[61:62], v[81:82], v[25:26]
	v_mul_f64 v[25:26], v[71:72], v[55:56]
	v_fma_f64 v[43:44], -v[29:30], v[89:90], v[43:44]
	v_fma_f64 v[59:60], -v[39:40], v[99:100], v[59:60]
	s_add_i32 s37, s13, s36
	v_fma_f64 v[31:32], -v[49:50], v[95:96], v[31:32]
	v_fma_f64 v[55:56], -v[51:52], v[105:106], v[63:64]
	ds_read_b128 v[93:96], v110 offset:80
	v_fma_f64 v[63:64], -v[57:58], v[83:84], v[69:70]
	ds_read_b128 v[69:72], v111 offset:32
	ds_read_b128 v[81:84], v111 offset:48
	v_fma_f64 v[59:60], -v[33:34], v[101:102], v[59:60]
	v_fma_f64 v[43:44], -v[25:26], v[91:92], v[43:44]
	ds_read_b128 v[89:92], v110 offset:64
	s_waitcnt lgkmcnt(2)
	v_fma_f64 v[31:32], -v[45:46], v[69:70], v[31:32]
	v_fma_f64 v[55:56], -v[41:42], v[107:108], v[55:56]
	;; [unrolled: 1-line block ×3, first 2 shown]
	v_mov_b32_e32 v117, s37
	s_or_b32 s37, s8, 0x3000
	v_fma_f64 v[59:60], -v[35:36], v[103:104], v[59:60]
	s_add_i32 s38, s13, s37
	v_fma_f64 v[31:32], -v[47:48], v[71:72], v[31:32]
	s_waitcnt lgkmcnt(0)
	v_fma_f64 v[55:56], -v[37:38], v[89:90], v[55:56]
	v_fma_f64 v[63:64], -v[49:50], v[79:80], v[63:64]
	ds_read_b128 v[69:72], v113
	ds_read_b128 v[77:80], v109 offset:96
	ds_read_b128 v[97:100], v113 offset:16
	;; [unrolled: 1-line block ×3, first 2 shown]
	s_waitcnt lgkmcnt(3)
	v_fma_f64 v[69:70], -v[61:62], v[69:70], v[27:28]
	v_mul_f64 v[27:28], v[75:76], v[43:44]
	v_fma_f64 v[31:32], -v[51:52], v[81:82], v[31:32]
	v_fma_f64 v[63:64], -v[45:46], v[85:86], v[63:64]
	s_waitcnt lgkmcnt(2)
	v_fma_f64 v[59:60], -v[29:30], v[77:78], v[59:60]
	v_fma_f64 v[55:56], -v[39:40], v[91:92], v[55:56]
	;; [unrolled: 1-line block ×5, first 2 shown]
	ds_read_b128 v[69:72], v112 offset:48
	v_fma_f64 v[59:60], -v[25:26], v[79:80], v[59:60]
	ds_read_b128 v[73:76], v111 offset:64
	ds_read_b128 v[77:80], v112 offset:64
	;; [unrolled: 1-line block ×3, first 2 shown]
	ds_read_b128 v[85:88], v114
	v_fma_f64 v[55:56], -v[33:34], v[93:94], v[55:56]
	s_waitcnt lgkmcnt(4)
	v_fma_f64 v[43:44], -v[51:52], v[69:70], v[43:44]
	v_fma_f64 v[63:64], -v[53:54], v[97:98], v[63:64]
	s_waitcnt lgkmcnt(3)
	v_fma_f64 v[31:32], -v[37:38], v[73:74], v[31:32]
	s_waitcnt lgkmcnt(0)
	v_fma_f64 v[21:22], -v[61:62], v[85:86], v[21:22]
	v_fma_f64 v[59:60], -v[27:28], v[101:102], v[59:60]
	;; [unrolled: 1-line block ×5, first 2 shown]
	ds_read_b128 v[69:72], v114 offset:16
	ds_read_b128 v[89:92], v113 offset:32
	;; [unrolled: 1-line block ×3, first 2 shown]
	v_fma_f64 v[21:22], -v[57:58], v[87:88], v[21:22]
	v_fma_f64 v[31:32], -v[39:40], v[75:76], v[31:32]
	ds_read_b128 v[73:76], v113 offset:48
	ds_read_b128 v[97:100], v110 offset:112
	ds_read_b128 v[85:88], v111 offset:96
	s_waitcnt lgkmcnt(4)
	v_fma_f64 v[63:64], -v[45:46], v[89:90], v[63:64]
	v_fma_f64 v[43:44], -v[37:38], v[77:78], v[43:44]
	s_waitcnt lgkmcnt(3)
	v_fma_f64 v[55:56], -v[29:30], v[93:94], v[55:56]
	v_fma_f64 v[69:70], -v[53:54], v[69:70], v[21:22]
	;; [unrolled: 1-line block ×3, first 2 shown]
	v_mul_f64 v[21:22], v[103:104], v[59:60]
	v_fma_f64 v[63:64], -v[47:48], v[91:92], v[63:64]
	v_fma_f64 v[43:44], -v[39:40], v[79:80], v[43:44]
	ds_read_b128 v[77:80], v112 offset:80
	v_fma_f64 v[55:56], -v[25:26], v[95:96], v[55:56]
	v_fma_f64 v[31:32], -v[35:36], v[83:84], v[31:32]
	ds_read_b128 v[81:84], v112 offset:96
	s_waitcnt lgkmcnt(4)
	v_fma_f64 v[59:60], -v[51:52], v[73:74], v[63:64]
	v_fma_f64 v[63:64], -v[49:50], v[71:72], v[69:70]
	s_waitcnt lgkmcnt(1)
	v_fma_f64 v[43:44], -v[33:34], v[77:78], v[43:44]
	ds_read_b128 v[69:72], v111 offset:112
	ds_read_b128 v[89:92], v114 offset:32
	v_fma_f64 v[55:56], -v[27:28], v[97:98], v[55:56]
	v_fma_f64 v[31:32], -v[29:30], v[85:86], v[31:32]
	;; [unrolled: 1-line block ×3, first 2 shown]
	s_waitcnt lgkmcnt(0)
	v_fma_f64 v[63:64], -v[45:46], v[89:90], v[63:64]
	v_fma_f64 v[43:44], -v[35:36], v[79:80], v[43:44]
	ds_read_b128 v[73:76], v114 offset:48
	ds_read_b128 v[77:80], v113 offset:64
	ds_read_b128 v[93:96], v115
	ds_read_b128 v[101:104], v113 offset:80
	v_fma_f64 v[55:56], -v[21:22], v[99:100], v[55:56]
	v_fma_f64 v[31:32], -v[25:26], v[87:88], v[31:32]
	ds_read_b128 v[85:88], v111 offset:128
	s_waitcnt lgkmcnt(3)
	v_fma_f64 v[59:60], -v[37:38], v[77:78], v[59:60]
	v_fma_f64 v[63:64], -v[47:48], v[91:92], v[63:64]
	s_waitcnt lgkmcnt(2)
	v_fma_f64 v[23:24], -v[61:62], v[93:94], v[23:24]
	v_add_u32_e32 v77, 0x2000, v67
	ds_read_b128 v[89:92], v115 offset:16
	v_fma_f64 v[43:44], -v[29:30], v[81:82], v[43:44]
	v_fma_f64 v[31:32], -v[27:28], v[69:70], v[31:32]
	;; [unrolled: 1-line block ×5, first 2 shown]
	ds_read2_b64 v[77:80], v77 offset0:16 offset1:146
	v_fma_f64 v[43:44], -v[25:26], v[83:84], v[43:44]
	ds_read_b128 v[81:84], v112 offset:112
	v_fma_f64 v[31:32], -v[21:22], v[71:72], v[31:32]
	s_waitcnt lgkmcnt(1)
	v_mul_f64 v[23:24], v[77:78], v[55:56]
	v_fma_f64 v[55:56], -v[33:34], v[101:102], v[59:60]
	v_fma_f64 v[59:60], -v[41:42], v[75:76], v[63:64]
	;; [unrolled: 1-line block ×3, first 2 shown]
	ds_read_b128 v[69:72], v114 offset:64
	ds_read_b128 v[73:76], v112 offset:128
	;; [unrolled: 1-line block ×3, first 2 shown]
	s_waitcnt lgkmcnt(3)
	v_fma_f64 v[43:44], -v[27:28], v[81:82], v[43:44]
	v_fma_f64 v[31:32], -v[23:24], v[85:86], v[31:32]
	;; [unrolled: 1-line block ×3, first 2 shown]
	s_waitcnt lgkmcnt(2)
	v_fma_f64 v[59:60], -v[37:38], v[69:70], v[59:60]
	v_fma_f64 v[63:64], -v[49:50], v[91:92], v[63:64]
	ds_read_b128 v[89:92], v115 offset:32
	ds_read_b128 v[97:100], v116
	ds_read_b128 v[101:104], v113 offset:96
	ds_read_b128 v[105:108], v115 offset:48
	;; [unrolled: 1-line block ×3, first 2 shown]
	v_fma_f64 v[43:44], -v[21:22], v[83:84], v[43:44]
	s_waitcnt lgkmcnt(3)
	v_fma_f64 v[17:18], -v[61:62], v[97:98], v[17:18]
	s_waitcnt lgkmcnt(2)
	v_fma_f64 v[55:56], -v[29:30], v[101:102], v[55:56]
	v_fma_f64 v[59:60], -v[39:40], v[71:72], v[59:60]
	;; [unrolled: 1-line block ×3, first 2 shown]
	ds_read_b128 v[69:72], v116 offset:16
	ds_read_b128 v[81:84], v116 offset:32
	v_fma_f64 v[43:44], -v[23:24], v[73:74], v[43:44]
	v_fma_f64 v[77:78], -v[57:58], v[99:100], v[17:18]
	v_mul_f64 v[17:18], v[87:88], v[31:32]
	v_fma_f64 v[59:60], -v[33:34], v[93:94], v[59:60]
	v_fma_f64 v[63:64], -v[47:48], v[91:92], v[63:64]
	ds_read_b128 v[85:88], v114 offset:96
	ds_read_b128 v[89:92], v114 offset:112
	v_fma_f64 v[55:56], -v[25:26], v[103:104], v[55:56]
	ds_read_b128 v[97:100], v115 offset:80
	ds_read_b128 v[101:104], v117 offset:16
	v_fma_f64 v[43:44], -v[17:18], v[75:76], v[43:44]
	v_fma_f64 v[59:60], -v[35:36], v[95:96], v[59:60]
	s_waitcnt lgkmcnt(7)
	v_fma_f64 v[31:32], -v[51:52], v[105:106], v[63:64]
	s_waitcnt lgkmcnt(5)
	v_fma_f64 v[63:64], -v[53:54], v[69:70], v[77:78]
	ds_read_b128 v[93:96], v115 offset:64
	ds_read_b128 v[73:76], v113 offset:128
	v_fma_f64 v[55:56], -v[27:28], v[109:110], v[55:56]
	s_waitcnt lgkmcnt(5)
	v_fma_f64 v[59:60], -v[29:30], v[85:86], v[59:60]
	v_fma_f64 v[31:32], -v[41:42], v[107:108], v[31:32]
	v_fma_f64 v[63:64], -v[49:50], v[71:72], v[63:64]
	ds_read_b128 v[69:72], v117
	v_fma_f64 v[55:56], -v[21:22], v[111:112], v[55:56]
	s_waitcnt lgkmcnt(0)
	v_fma_f64 v[19:20], -v[61:62], v[69:70], v[19:20]
	v_fma_f64 v[59:60], -v[25:26], v[87:88], v[59:60]
	v_fma_f64 v[63:64], -v[45:46], v[81:82], v[63:64]
	v_fma_f64 v[81:82], -v[57:58], v[71:72], v[19:20]
	ds_read_b128 v[69:72], v113 offset:144
	v_mov_b32_e32 v113, s38
	ds_read_b128 v[85:88], v113
	v_fma_f64 v[31:32], -v[37:38], v[93:94], v[31:32]
	v_mul_f64 v[19:20], v[79:80], v[43:44]
	v_fma_f64 v[43:44], -v[47:48], v[83:84], v[63:64]
	ds_read_b128 v[77:80], v116 offset:48
	v_fma_f64 v[63:64], -v[53:54], v[101:102], v[81:82]
	v_fma_f64 v[59:60], -v[27:28], v[89:90], v[59:60]
	s_waitcnt lgkmcnt(1)
	v_fma_f64 v[13:14], -v[61:62], v[85:86], v[13:14]
	ds_read_b128 v[81:84], v116 offset:64
	v_fma_f64 v[31:32], -v[39:40], v[95:96], v[31:32]
	v_fma_f64 v[55:56], -v[23:24], v[73:74], v[55:56]
	s_waitcnt lgkmcnt(1)
	v_fma_f64 v[43:44], -v[51:52], v[77:78], v[43:44]
	s_or_b32 s38, s8, 0x3200
	v_fma_f64 v[63:64], -v[49:50], v[103:104], v[63:64]
	v_fma_f64 v[59:60], -v[21:22], v[91:92], v[59:60]
	ds_read_b128 v[89:92], v117 offset:32
	ds_read_b128 v[93:96], v113 offset:16
	v_fma_f64 v[13:14], -v[57:58], v[87:88], v[13:14]
	v_fma_f64 v[31:32], -v[33:34], v[97:98], v[31:32]
	;; [unrolled: 1-line block ×4, first 2 shown]
	s_add_i32 s39, s13, s38
	s_waitcnt lgkmcnt(1)
	v_fma_f64 v[63:64], -v[45:46], v[89:90], v[63:64]
	s_waitcnt lgkmcnt(0)
	v_fma_f64 v[13:14], -v[53:54], v[93:94], v[13:14]
	v_fma_f64 v[31:32], -v[35:36], v[99:100], v[31:32]
	ds_read_b128 v[77:80], v115 offset:96
	ds_read_b128 v[97:100], v117 offset:48
	v_fma_f64 v[43:44], -v[37:38], v[81:82], v[43:44]
	v_fma_f64 v[55:56], -v[19:20], v[69:70], v[55:56]
	;; [unrolled: 1-line block ×3, first 2 shown]
	ds_read_b128 v[101:104], v114 offset:128
	ds_read_b128 v[105:108], v115 offset:112
	;; [unrolled: 1-line block ×4, first 2 shown]
	s_waitcnt lgkmcnt(5)
	v_fma_f64 v[31:32], -v[29:30], v[77:78], v[31:32]
	v_fma_f64 v[13:14], -v[49:50], v[95:96], v[13:14]
	;; [unrolled: 1-line block ×3, first 2 shown]
	ds_read_b128 v[81:84], v116 offset:96
	s_waitcnt lgkmcnt(5)
	v_fma_f64 v[63:64], -v[51:52], v[97:98], v[63:64]
	s_waitcnt lgkmcnt(4)
	v_fma_f64 v[59:60], -v[23:24], v[101:102], v[59:60]
	v_mov_b32_e32 v114, s39
	v_fma_f64 v[31:32], -v[25:26], v[79:80], v[31:32]
	ds_read_b128 v[77:80], v116 offset:80
	s_waitcnt lgkmcnt(2)
	v_fma_f64 v[13:14], -v[45:46], v[85:86], v[13:14]
	v_fma_f64 v[59:60], -v[17:18], v[103:104], v[59:60]
	s_waitcnt lgkmcnt(0)
	v_fma_f64 v[43:44], -v[33:34], v[77:78], v[43:44]
	v_fma_f64 v[77:78], -v[27:28], v[105:106], v[31:32]
	v_mul_f64 v[31:32], v[71:72], v[55:56]
	v_fma_f64 v[55:56], -v[41:42], v[99:100], v[63:64]
	ds_read_b128 v[69:72], v117 offset:64
	ds_read_b128 v[89:92], v113 offset:48
	v_fma_f64 v[13:14], -v[47:48], v[87:88], v[13:14]
	v_fma_f64 v[59:60], -v[19:20], v[73:74], v[59:60]
	;; [unrolled: 1-line block ×4, first 2 shown]
	ds_read_b128 v[77:80], v117 offset:80
	s_waitcnt lgkmcnt(2)
	v_fma_f64 v[55:56], -v[37:38], v[69:70], v[55:56]
	ds_read_b128 v[93:96], v115 offset:128
	ds_read_b128 v[97:100], v115 offset:144
	ds_read_b128 v[85:88], v114
	s_waitcnt lgkmcnt(4)
	v_fma_f64 v[73:74], -v[51:52], v[89:90], v[13:14]
	v_fma_f64 v[43:44], -v[29:30], v[81:82], v[43:44]
	;; [unrolled: 1-line block ×3, first 2 shown]
	s_waitcnt lgkmcnt(2)
	v_fma_f64 v[63:64], -v[23:24], v[93:94], v[63:64]
	v_add_u32_e32 v93, 0x2800, v67
	v_fma_f64 v[55:56], -v[39:40], v[71:72], v[55:56]
	ds_read_b128 v[69:72], v114 offset:16
	s_waitcnt lgkmcnt(1)
	v_fma_f64 v[81:82], -v[61:62], v[85:86], v[15:16]
	v_fma_f64 v[85:86], -v[41:42], v[91:92], v[73:74]
	;; [unrolled: 1-line block ×3, first 2 shown]
	ds_read_b128 v[13:16], v116 offset:112
	v_fma_f64 v[63:64], -v[17:18], v[95:96], v[63:64]
	v_fma_f64 v[55:56], -v[33:34], v[77:78], v[55:56]
	;; [unrolled: 1-line block ×3, first 2 shown]
	ds_read_b128 v[73:76], v113 offset:64
	ds_read_b128 v[81:84], v116 offset:128
	s_waitcnt lgkmcnt(2)
	v_fma_f64 v[13:14], -v[27:28], v[13:14], v[43:44]
	ds_write_b64 v68, v[61:62]
	v_fma_f64 v[63:64], -v[19:20], v[97:98], v[63:64]
	v_fma_f64 v[43:44], -v[35:36], v[79:80], v[55:56]
	s_waitcnt lgkmcnt(2)
	v_fma_f64 v[55:56], -v[37:38], v[73:74], v[85:86]
	v_fma_f64 v[69:70], -v[53:54], v[69:70], v[89:90]
	ds_read_b128 v[85:88], v117 offset:96
	ds_read_b128 v[77:80], v113 offset:80
	v_fma_f64 v[97:98], -v[21:22], v[15:16], v[13:14]
	ds_read_b128 v[13:16], v114 offset:32
	ds_read2_b64 v[89:92], v93 offset0:20 offset1:150
	ds_read_b128 v[93:96], v117 offset:112
	s_waitcnt lgkmcnt(4)
	v_fma_f64 v[85:86], -v[29:30], v[85:86], v[43:44]
	v_fma_f64 v[101:102], -v[49:50], v[71:72], v[69:70]
	;; [unrolled: 1-line block ×3, first 2 shown]
	s_waitcnt lgkmcnt(1)
	v_mul_f64 v[43:44], v[89:90], v[59:60]
	v_fma_f64 v[59:60], -v[31:32], v[99:100], v[63:64]
	v_fma_f64 v[63:64], -v[23:24], v[81:82], v[97:98]
	ds_read_b128 v[73:76], v115 offset:160
	ds_read_b128 v[69:72], v114 offset:48
	v_fma_f64 v[81:82], -v[25:26], v[87:88], v[85:86]
	v_fma_f64 v[13:14], -v[45:46], v[13:14], v[101:102]
	;; [unrolled: 1-line block ×3, first 2 shown]
	v_add_u32_e32 v115, s31, v65
	s_or_b32 s31, s8, 0x3400
	s_add_i32 s39, s13, s31
	s_waitcnt lgkmcnt(1)
	v_fma_f64 v[59:60], -v[43:44], v[73:74], v[59:60]
	v_fma_f64 v[63:64], -v[17:18], v[83:84], v[63:64]
	;; [unrolled: 1-line block ×5, first 2 shown]
	v_mov_b32_e32 v68, s39
	ds_read_b128 v[13:16], v114 offset:192
	ds_read_b128 v[77:80], v68
	ds_read_b128 v[81:84], v116 offset:144
	ds_read_b128 v[85:88], v116 offset:160
	;; [unrolled: 1-line block ×4, first 2 shown]
	s_waitcnt lgkmcnt(4)
	v_fma_f64 v[9:10], -v[61:62], v[77:78], v[9:10]
	v_fma_f64 v[73:74], -v[21:22], v[95:96], v[73:74]
	;; [unrolled: 1-line block ×3, first 2 shown]
	s_waitcnt lgkmcnt(3)
	v_fma_f64 v[63:64], -v[19:20], v[81:82], v[63:64]
	ds_read_b128 v[93:96], v113 offset:112
	s_waitcnt lgkmcnt(2)
	v_fma_f64 v[55:56], -v[29:30], v[97:98], v[55:56]
	ds_read_b128 v[105:108], v68 offset:16
	ds_read_b128 v[109:112], v68 offset:32
	v_fma_f64 v[9:10], -v[57:58], v[79:80], v[9:10]
	ds_read_b128 v[77:80], v114 offset:64
	v_fma_f64 v[81:82], -v[41:42], v[71:72], v[69:70]
	s_waitcnt lgkmcnt(4)
	v_fma_f64 v[73:74], -v[23:24], v[101:102], v[73:74]
	ds_read_b128 v[69:72], v117 offset:144
	v_fma_f64 v[89:90], -v[25:26], v[99:100], v[55:56]
	v_mul_f64 v[55:56], v[75:76], v[59:60]
	ds_read_b128 v[97:100], v114 offset:80
	s_waitcnt lgkmcnt(4)
	v_fma_f64 v[9:10], -v[53:54], v[105:106], v[9:10]
	v_fma_f64 v[63:64], -v[31:32], v[83:84], v[63:64]
	s_waitcnt lgkmcnt(2)
	v_fma_f64 v[77:78], -v[37:38], v[77:78], v[81:82]
	v_fma_f64 v[73:74], -v[17:18], v[103:104], v[73:74]
	v_add_u32_e32 v81, s27, v65
	v_fma_f64 v[75:76], -v[27:28], v[93:94], v[89:90]
	ds_write_b64 v81, v[53:54]
	ds_write_b64 v115, v[57:58]
	v_fma_f64 v[9:10], -v[49:50], v[107:108], v[9:10]
	v_fma_f64 v[63:64], -v[43:44], v[85:86], v[63:64]
	;; [unrolled: 1-line block ×3, first 2 shown]
	s_waitcnt lgkmcnt(3)
	v_fma_f64 v[69:70], -v[19:20], v[69:70], v[73:74]
	v_add_u32_e32 v73, s28, v65
	ds_write_b64 v73, v[49:50]
	v_fma_f64 v[81:82], -v[21:22], v[95:96], v[75:76]
	ds_read_b128 v[73:76], v113 offset:128
	v_fma_f64 v[9:10], -v[45:46], v[109:110], v[9:10]
	v_fma_f64 v[63:64], -v[55:56], v[87:88], v[63:64]
	s_waitcnt lgkmcnt(4)
	v_fma_f64 v[59:60], -v[33:34], v[97:98], v[59:60]
	v_fma_f64 v[89:90], -v[31:32], v[71:72], v[69:70]
	ds_read_b128 v[69:72], v117 offset:160
	ds_read_b128 v[77:80], v113 offset:144
	s_waitcnt lgkmcnt(2)
	v_fma_f64 v[73:74], -v[23:24], v[73:74], v[81:82]
	ds_read_b128 v[81:84], v114 offset:96
	ds_read_b128 v[85:88], v117 offset:176
	;; [unrolled: 1-line block ×3, first 2 shown]
	v_fma_f64 v[9:10], -v[47:48], v[111:112], v[9:10]
	ds_read_b128 v[101:104], v68 offset:64
	v_fma_f64 v[59:60], -v[35:36], v[99:100], v[59:60]
	s_waitcnt lgkmcnt(5)
	v_fma_f64 v[69:70], -v[43:44], v[69:70], v[89:90]
	ds_read_b128 v[97:100], v114 offset:112
	v_add_u32_e32 v89, s29, v65
	v_fma_f64 v[73:74], -v[17:18], v[75:76], v[73:74]
	ds_write_b64 v89, v[47:48]
	s_waitcnt lgkmcnt(3)
	v_fma_f64 v[9:10], -v[51:52], v[93:94], v[9:10]
	v_fma_f64 v[81:82], -v[29:30], v[81:82], v[59:60]
	v_add_u32_e32 v59, s26, v65
	s_or_b32 s26, s8, 0x3600
	s_add_i32 s27, s13, s26
	ds_write_b64 v59, v[45:46]
	v_mul_f64 v[59:60], v[91:92], v[63:64]
	v_fma_f64 v[9:10], -v[41:42], v[95:96], v[9:10]
	v_fma_f64 v[63:64], -v[55:56], v[71:72], v[69:70]
	;; [unrolled: 1-line block ×3, first 2 shown]
	v_mov_b32_e32 v69, s27
	v_fma_f64 v[81:82], -v[19:20], v[77:78], v[73:74]
	ds_read_b128 v[70:73], v69
	s_or_b32 s27, s8, 0x3800
	s_add_i32 s28, s13, s27
	s_waitcnt lgkmcnt(4)
	v_fma_f64 v[89:90], -v[37:38], v[101:102], v[9:10]
	v_fma_f64 v[63:64], -v[59:60], v[85:86], v[63:64]
	s_waitcnt lgkmcnt(3)
	v_fma_f64 v[83:84], -v[27:28], v[97:98], v[75:76]
	s_waitcnt lgkmcnt(0)
	v_fma_f64 v[70:71], -v[61:62], v[70:71], v[11:12]
	v_fma_f64 v[91:92], -v[31:32], v[79:80], v[81:82]
	ds_read_b128 v[74:77], v69 offset:16
	ds_read_b128 v[9:12], v113 offset:160
	;; [unrolled: 1-line block ×3, first 2 shown]
	v_fma_f64 v[95:96], -v[39:40], v[103:104], v[89:90]
	v_mul_f64 v[63:64], v[87:88], v[63:64]
	v_fma_f64 v[93:94], -v[21:22], v[99:100], v[83:84]
	v_fma_f64 v[97:98], -v[57:58], v[72:73], v[70:71]
	ds_read_b128 v[82:85], v114 offset:128
	ds_read_b128 v[86:89], v114 offset:144
	s_waitcnt lgkmcnt(3)
	v_fma_f64 v[9:10], -v[43:44], v[9:10], v[91:92]
	ds_read_b128 v[70:73], v68 offset:80
	s_waitcnt lgkmcnt(2)
	v_fma_f64 v[82:83], -v[23:24], v[82:83], v[93:94]
	;; [unrolled: 3-line block ×3, first 2 shown]
	v_fma_f64 v[74:75], -v[53:54], v[74:75], v[97:98]
	v_mov_b32_e32 v70, s28
	v_fma_f64 v[96:97], -v[55:56], v[11:12], v[9:10]
	ds_read_b128 v[9:12], v70
	v_fma_f64 v[98:99], -v[17:18], v[84:85], v[82:83]
	ds_read_b128 v[82:85], v69 offset:32
	v_fma_f64 v[94:95], -v[35:36], v[72:73], v[94:95]
	v_fma_f64 v[100:101], -v[49:50], v[76:77], v[74:75]
	ds_read_b128 v[71:74], v70 offset:16
	s_waitcnt lgkmcnt(2)
	v_fma_f64 v[5:6], -v[61:62], v[9:10], v[5:6]
	v_fma_f64 v[9:10], -v[59:60], v[78:79], v[96:97]
	ds_read_b128 v[75:78], v69 offset:48
	v_fma_f64 v[86:87], -v[19:20], v[86:87], v[98:99]
	v_add_u32_e32 v79, s23, v65
	v_fma_f64 v[90:91], -v[29:30], v[90:91], v[94:95]
	s_waitcnt lgkmcnt(2)
	v_fma_f64 v[96:97], -v[45:46], v[82:83], v[100:101]
	ds_write_b64 v79, v[51:52]
	v_fma_f64 v[5:6], -v[57:58], v[11:12], v[5:6]
	v_fma_f64 v[107:108], -v[63:64], v[80:81], v[9:10]
	v_add_u32_e32 v9, 0x3000, v67
	v_fma_f64 v[94:95], -v[31:32], v[88:89], v[86:87]
	ds_read_b128 v[79:82], v114 offset:160
	v_fma_f64 v[98:99], -v[25:26], v[92:93], v[90:91]
	v_fma_f64 v[96:97], -v[47:48], v[84:85], v[96:97]
	ds_read2_b64 v[9:12], v9 offset0:24 offset1:154
	ds_read_b128 v[83:86], v68 offset:112
	ds_read_b128 v[87:90], v114 offset:176
	s_waitcnt lgkmcnt(6)
	v_fma_f64 v[5:6], -v[53:54], v[71:72], v[5:6]
	s_or_b32 s23, s8, 0x3a00
	s_add_i32 s28, s13, s23
	v_mov_b32_e32 v111, s28
	s_waitcnt lgkmcnt(3)
	v_fma_f64 v[79:80], -v[43:44], v[79:80], v[94:95]
	s_waitcnt lgkmcnt(1)
	v_fma_f64 v[83:84], -v[27:28], v[83:84], v[98:99]
	v_fma_f64 v[75:76], -v[51:52], v[75:76], v[96:97]
	ds_read_b128 v[95:98], v111
	v_fma_f64 v[5:6], -v[49:50], v[73:74], v[5:6]
	ds_read_b128 v[71:74], v70 offset:32
	ds_read_b128 v[91:94], v68 offset:128
	;; [unrolled: 1-line block ×3, first 2 shown]
	s_waitcnt lgkmcnt(3)
	v_fma_f64 v[95:96], -v[61:62], v[95:96], v[7:8]
	s_or_b32 s28, s8, 0x3c00
	v_fma_f64 v[109:110], -v[41:42], v[77:78], v[75:76]
	s_add_i32 s29, s13, s28
	s_waitcnt lgkmcnt(2)
	v_fma_f64 v[71:72], -v[45:46], v[71:72], v[5:6]
	ds_read_b128 v[75:78], v70 offset:48
	ds_read_b128 v[99:102], v111 offset:16
	v_mul_f64 v[5:6], v[9:10], v[107:108]
	v_fma_f64 v[107:108], -v[55:56], v[81:82], v[79:80]
	v_fma_f64 v[83:84], -v[21:22], v[85:86], v[83:84]
	ds_read_b128 v[7:10], v69 offset:80
	s_waitcnt lgkmcnt(3)
	v_fma_f64 v[85:86], -v[37:38], v[103:104], v[109:110]
	v_fma_f64 v[103:104], -v[47:48], v[73:74], v[71:72]
	v_mov_b32_e32 v112, s29
	ds_read_b128 v[71:74], v111 offset:224
	ds_read_b128 v[79:82], v112
	v_fma_f64 v[95:96], -v[57:58], v[97:98], v[95:96]
	s_or_b32 s8, s8, 0x3e00
	s_add_i32 s13, s13, s8
	v_mov_b32_e32 v113, s13
	s_waitcnt lgkmcnt(0)
	v_fma_f64 v[1:2], -v[61:62], v[79:80], v[1:2]
	v_fma_f64 v[91:92], -v[23:24], v[91:92], v[83:84]
	;; [unrolled: 1-line block ×3, first 2 shown]
	ds_read_b128 v[83:86], v113
	v_fma_f64 v[95:96], -v[53:54], v[99:100], v[95:96]
	v_fma_f64 v[75:76], -v[51:52], v[75:76], v[103:104]
	;; [unrolled: 1-line block ×4, first 2 shown]
	ds_read_b128 v[79:82], v113 offset:16
	s_waitcnt lgkmcnt(1)
	v_fma_f64 v[61:62], -v[61:62], v[83:84], v[3:4]
	ds_read_b128 v[1:4], v112 offset:16
	v_fma_f64 v[107:108], -v[49:50], v[101:102], v[95:96]
	v_fma_f64 v[7:8], -v[33:34], v[7:8], v[97:98]
	v_fma_f64 v[109:110], -v[41:42], v[77:78], v[75:76]
	ds_read_b128 v[75:78], v70 offset:64
	ds_read_b128 v[95:98], v111 offset:32
	;; [unrolled: 1-line block ×3, first 2 shown]
	s_waitcnt lgkmcnt(3)
	v_fma_f64 v[1:2], -v[53:54], v[1:2], v[103:104]
	v_fma_f64 v[91:92], -v[17:18], v[93:94], v[91:92]
	;; [unrolled: 1-line block ×3, first 2 shown]
	ds_read_b128 v[103:106], v111 offset:48
	ds_read_b128 v[83:86], v70 offset:80
	s_waitcnt lgkmcnt(3)
	v_fma_f64 v[61:62], -v[45:46], v[95:96], v[107:108]
	v_fma_f64 v[75:76], -v[37:38], v[75:76], v[109:110]
	v_fma_f64 v[95:96], -v[35:36], v[9:10], v[7:8]
	v_fma_f64 v[93:94], -v[49:50], v[3:4], v[1:2]
	v_fma_f64 v[107:108], -v[63:64], v[89:90], v[87:88]
	v_fma_f64 v[53:54], -v[53:54], v[79:80], v[57:58]
	ds_read_b128 v[1:4], v68 offset:144
	ds_read_b128 v[7:10], v68 offset:160
	;; [unrolled: 1-line block ×3, first 2 shown]
	v_fma_f64 v[57:58], -v[47:48], v[97:98], v[61:62]
	v_fma_f64 v[61:62], -v[39:40], v[77:78], v[75:76]
	ds_read_b128 v[75:78], v69 offset:112
	s_waitcnt lgkmcnt(6)
	v_fma_f64 v[93:94], -v[45:46], v[99:100], v[93:94]
	s_waitcnt lgkmcnt(3)
	v_fma_f64 v[1:2], -v[19:20], v[1:2], v[91:92]
	v_fma_f64 v[49:50], -v[49:50], v[81:82], v[53:54]
	ds_read_b128 v[79:82], v113 offset:32
	s_waitcnt lgkmcnt(2)
	v_fma_f64 v[53:54], -v[29:30], v[87:88], v[95:96]
	v_fma_f64 v[57:58], -v[51:52], v[103:104], v[57:58]
	;; [unrolled: 1-line block ×3, first 2 shown]
	ds_read_b128 v[95:98], v112 offset:48
	v_fma_f64 v[83:84], -v[47:48], v[101:102], v[93:94]
	ds_read_b128 v[91:94], v113 offset:48
	s_waitcnt lgkmcnt(2)
	v_fma_f64 v[45:46], -v[45:46], v[79:80], v[49:50]
	v_fma_f64 v[13:14], -v[5:6], v[13:14], v[107:108]
	;; [unrolled: 1-line block ×4, first 2 shown]
	ds_read_b128 v[87:90], v111 offset:64
	ds_read_b128 v[99:102], v112 offset:64
	v_fma_f64 v[61:62], -v[35:36], v[85:86], v[61:62]
	s_waitcnt lgkmcnt(3)
	v_fma_f64 v[57:58], -v[51:52], v[95:96], v[83:84]
	v_fma_f64 v[85:86], -v[31:32], v[3:4], v[1:2]
	;; [unrolled: 1-line block ×3, first 2 shown]
	ds_read_b128 v[1:4], v70 offset:96
	ds_read_b128 v[79:82], v70 offset:112
	s_waitcnt lgkmcnt(3)
	v_fma_f64 v[49:50], -v[37:38], v[87:88], v[49:50]
	v_fma_f64 v[53:54], -v[27:28], v[75:76], v[53:54]
	ds_read_b128 v[45:48], v111 offset:80
	v_fma_f64 v[57:58], -v[41:42], v[97:98], v[57:58]
	s_waitcnt lgkmcnt(2)
	v_fma_f64 v[1:2], -v[29:30], v[1:2], v[61:62]
	v_fma_f64 v[51:52], -v[51:52], v[91:92], v[83:84]
	;; [unrolled: 1-line block ×3, first 2 shown]
	v_add_u32_e32 v103, s15, v65
	v_fma_f64 v[49:50], -v[39:40], v[89:90], v[49:50]
	v_fma_f64 v[53:54], -v[21:22], v[77:78], v[53:54]
	;; [unrolled: 1-line block ×6, first 2 shown]
	s_waitcnt lgkmcnt(0)
	v_fma_f64 v[45:46], -v[33:34], v[45:46], v[49:50]
	ds_read_b128 v[1:4], v113 offset:64
	ds_read_b128 v[49:52], v69 offset:128
	;; [unrolled: 1-line block ×4, first 2 shown]
	v_fma_f64 v[57:58], -v[39:40], v[101:102], v[57:58]
	ds_read_b128 v[83:86], v113 offset:80
	s_waitcnt lgkmcnt(3)
	v_fma_f64 v[49:50], -v[23:24], v[49:50], v[53:54]
	v_fma_f64 v[1:2], -v[37:38], v[1:2], v[61:62]
	;; [unrolled: 1-line block ×4, first 2 shown]
	ds_read_b128 v[45:48], v112 offset:96
	ds_read_b128 v[91:94], v111 offset:96
	s_waitcnt lgkmcnt(3)
	v_fma_f64 v[57:58], -v[33:34], v[87:88], v[57:58]
	ds_read_b128 v[7:10], v70 offset:128
	v_fma_f64 v[87:88], -v[17:18], v[51:52], v[49:50]
	v_fma_f64 v[79:80], -v[39:40], v[3:4], v[1:2]
	ds_read_b128 v[1:4], v111 offset:112
	s_waitcnt lgkmcnt(2)
	v_fma_f64 v[61:62], -v[29:30], v[91:92], v[61:62]
	v_fma_f64 v[53:54], -v[21:22], v[81:82], v[53:54]
	ds_read_b128 v[49:52], v68 offset:176
	v_fma_f64 v[57:58], -v[35:36], v[89:90], v[57:58]
	v_fma_f64 v[75:76], -v[19:20], v[75:76], v[87:88]
	ds_read_b128 v[87:90], v68 offset:192
	s_waitcnt lgkmcnt(1)
	v_fma_f64 v[49:50], -v[59:60], v[49:50], v[95:96]
	v_fma_f64 v[61:62], -v[25:26], v[93:94], v[61:62]
	;; [unrolled: 1-line block ×4, first 2 shown]
	ds_read_b128 v[75:78], v113 offset:96
	v_fma_f64 v[83:84], -v[33:34], v[83:84], v[79:80]
	ds_read_b128 v[79:82], v70 offset:144
	v_fma_f64 v[7:8], -v[23:24], v[7:8], v[53:54]
	v_fma_f64 v[1:2], -v[27:28], v[1:2], v[61:62]
	;; [unrolled: 1-line block ×5, first 2 shown]
	ds_read_b128 v[7:10], v113 offset:112
	ds_read_b128 v[45:48], v112 offset:112
	;; [unrolled: 1-line block ×4, first 2 shown]
	v_fma_f64 v[99:100], -v[21:22], v[3:4], v[1:2]
	ds_write_b64 v103, v[41:42]
	s_waitcnt lgkmcnt(3)
	v_fma_f64 v[45:46], -v[27:28], v[45:46], v[95:96]
	v_fma_f64 v[53:54], -v[29:30], v[75:76], v[53:54]
	ds_read_b128 v[95:98], v111 offset:128
	s_waitcnt lgkmcnt(3)
	v_fma_f64 v[57:58], -v[43:44], v[83:84], v[57:58]
	v_fma_f64 v[61:62], -v[19:20], v[79:80], v[61:62]
	ds_read_b128 v[1:4], v112 offset:128
	v_fma_f64 v[41:42], -v[21:22], v[47:48], v[45:46]
	v_fma_f64 v[53:54], -v[25:26], v[77:78], v[53:54]
	ds_read_b128 v[75:78], v111 offset:144
	s_waitcnt lgkmcnt(2)
	v_fma_f64 v[79:80], -v[23:24], v[95:96], v[99:100]
	v_fma_f64 v[45:46], -v[63:64], v[51:52], v[49:50]
	;; [unrolled: 1-line block ×5, first 2 shown]
	v_mul_f64 v[53:54], v[15:16], v[13:14]
	v_fma_f64 v[51:52], -v[17:18], v[97:98], v[79:80]
	ds_read_b128 v[13:16], v70 offset:160
	v_fma_f64 v[79:80], -v[59:60], v[91:92], v[49:50]
	v_fma_f64 v[57:58], -v[21:22], v[9:10], v[7:8]
	ds_read_b128 v[7:10], v70 offset:176
	s_waitcnt lgkmcnt(2)
	v_fma_f64 v[61:62], -v[19:20], v[75:76], v[51:52]
	ds_read_b128 v[49:52], v112 offset:144
	v_fma_f64 v[1:2], -v[23:24], v[1:2], v[41:42]
	v_fma_f64 v[41:42], -v[5:6], v[87:88], v[45:46]
	s_waitcnt lgkmcnt(2)
	v_fma_f64 v[13:14], -v[43:44], v[13:14], v[47:48]
	ds_read_b128 v[45:48], v113 offset:128
	v_fma_f64 v[85:86], -v[63:64], v[93:94], v[79:80]
	v_fma_f64 v[61:62], -v[31:32], v[77:78], v[61:62]
	;; [unrolled: 1-line block ×3, first 2 shown]
	ds_read_b128 v[1:4], v113 offset:144
	s_waitcnt lgkmcnt(1)
	v_fma_f64 v[45:46], -v[23:24], v[45:46], v[57:58]
	v_fma_f64 v[57:58], -v[55:56], v[15:16], v[13:14]
	ds_read_b128 v[13:16], v112 offset:160
	v_fma_f64 v[41:42], -v[53:54], v[89:90], v[41:42]
	v_fma_f64 v[49:50], -v[19:20], v[49:50], v[75:76]
	ds_read_b128 v[75:78], v111 offset:160
	;; [unrolled: 3-line block ×3, first 2 shown]
	ds_read_b128 v[79:82], v111 offset:176
	v_mul_f64 v[41:42], v[11:12], v[41:42]
	s_waitcnt lgkmcnt(2)
	v_fma_f64 v[61:62], -v[43:44], v[75:76], v[61:62]
	v_fma_f64 v[57:58], -v[31:32], v[51:52], v[49:50]
	ds_read_b128 v[49:52], v69 offset:208
	v_fma_f64 v[1:2], -v[19:20], v[1:2], v[83:84]
	v_fma_f64 v[68:69], -v[63:64], v[9:10], v[7:8]
	s_waitcnt lgkmcnt(2)
	v_fma_f64 v[45:46], -v[5:6], v[45:46], v[85:86]
	ds_read_b128 v[7:10], v70 offset:192
	v_fma_f64 v[61:62], -v[55:56], v[77:78], v[61:62]
	v_add_u32_e32 v85, s11, v65
	v_fma_f64 v[57:58], -v[43:44], v[13:14], v[57:58]
	v_fma_f64 v[75:76], -v[31:32], v[3:4], v[1:2]
	ds_read_b128 v[1:4], v70 offset:208
	ds_read_b128 v[11:14], v113 offset:160
	s_waitcnt lgkmcnt(2)
	v_fma_f64 v[7:8], -v[5:6], v[7:8], v[68:69]
	v_fma_f64 v[83:84], -v[53:54], v[47:48], v[45:46]
	v_fma_f64 v[61:62], -v[59:60], v[79:80], v[61:62]
	ds_write_b64 v85, v[37:38]
	v_fma_f64 v[15:16], -v[55:56], v[15:16], v[57:58]
	ds_read_b128 v[45:48], v113 offset:176
	s_waitcnt lgkmcnt(2)
	v_fma_f64 v[11:12], -v[43:44], v[11:12], v[75:76]
	ds_read_b128 v[75:78], v112 offset:176
	v_add_u32_e32 v57, s12, v65
	v_fma_f64 v[37:38], -v[41:42], v[49:50], v[83:84]
	v_fma_f64 v[49:50], -v[63:64], v[81:82], v[61:62]
	ds_read_b128 v[79:82], v112 offset:192
	s_waitcnt lgkmcnt(1)
	v_fma_f64 v[15:16], -v[59:60], v[75:76], v[15:16]
	ds_read_b128 v[83:86], v111 offset:192
	v_fma_f64 v[11:12], -v[55:56], v[13:14], v[11:12]
	v_fma_f64 v[13:14], -v[53:54], v[9:10], v[7:8]
	ds_read_b128 v[7:10], v111 offset:208
	v_mul_f64 v[51:52], v[51:52], v[37:38]
	s_waitcnt lgkmcnt(1)
	v_fma_f64 v[49:50], -v[5:6], v[83:84], v[49:50]
	ds_write_b64 v57, v[39:40]
	v_fma_f64 v[15:16], -v[63:64], v[77:78], v[15:16]
	v_fma_f64 v[1:2], -v[41:42], v[1:2], v[13:14]
	v_add_u32_e32 v13, s14, v65
	ds_write_b64 v13, v[33:34]
	v_add_u32_e32 v33, s16, v65
	ds_write_b64 v33, v[35:36]
	ds_read_b128 v[33:36], v113 offset:208
	v_fma_f64 v[11:12], -v[59:60], v[45:46], v[11:12]
	v_fma_f64 v[13:14], -v[53:54], v[85:86], v[49:50]
	;; [unrolled: 1-line block ×4, first 2 shown]
	ds_read_b128 v[1:4], v113 offset:192
	v_fma_f64 v[37:38], -v[63:64], v[47:48], v[11:12]
	s_waitcnt lgkmcnt(5)
	v_fma_f64 v[7:8], -v[41:42], v[7:8], v[13:14]
	v_fma_f64 v[15:16], -v[53:54], v[81:82], v[15:16]
	v_add_u32_e32 v11, 0x3800, v67
	ds_read2_b64 v[11:14], v11 offset0:28 offset1:158
	v_add_u32_e32 v47, s17, v65
	ds_write_b64 v47, v[29:30]
	s_waitcnt lgkmcnt(2)
	v_fma_f64 v[1:2], -v[5:6], v[1:2], v[37:38]
	ds_read_b128 v[37:40], v112 offset:208
	s_waitcnt lgkmcnt(2)
	v_mul_f64 v[11:12], v[11:12], v[45:46]
	v_fma_f64 v[45:46], -v[51:52], v[9:10], v[7:8]
	ds_read_b128 v[7:10], v112 offset:224
	s_waitcnt lgkmcnt(1)
	v_fma_f64 v[15:16], -v[41:42], v[37:38], v[15:16]
	v_fma_f64 v[1:2], -v[53:54], v[3:4], v[1:2]
	v_add_u32_e32 v3, s18, v65
	ds_write_b64 v3, v[25:26]
	v_add_u32_e32 v3, s19, v65
	ds_write_b64 v3, v[27:28]
	v_fma_f64 v[3:4], -v[11:12], v[71:72], v[45:46]
	v_fma_f64 v[15:16], -v[51:52], v[39:40], v[15:16]
	v_add_u32_e32 v25, s20, v65
	v_fma_f64 v[1:2], -v[41:42], v[33:34], v[1:2]
	ds_write_b64 v25, v[21:22]
	v_add_u32_e32 v21, s21, v65
	ds_write_b64 v21, v[23:24]
	v_add_u32_e32 v23, s24, v65
	v_mul_f64 v[21:22], v[73:74], v[3:4]
	s_waitcnt lgkmcnt(4)
	v_fma_f64 v[7:8], -v[11:12], v[7:8], v[15:16]
	ds_write_b64 v23, v[17:18]
	v_fma_f64 v[15:16], -v[51:52], v[35:36], v[1:2]
	v_add_u32_e32 v1, s25, v65
	ds_write_b64 v1, v[19:20]
	ds_read_b128 v[1:4], v113 offset:224
	v_add_u32_e32 v17, s30, v65
	ds_write_b64 v17, v[31:32]
	v_fma_f64 v[17:18], -v[21:22], v[9:10], v[7:8]
	ds_read_b128 v[7:10], v113 offset:240
	s_waitcnt lgkmcnt(2)
	v_fma_f64 v[1:2], -v[11:12], v[1:2], v[15:16]
	v_add_u32_e32 v15, s33, v65
	ds_write_b64 v15, v[43:44]
	v_add_u32_e32 v15, s34, v65
	ds_write_b64 v15, v[55:56]
	v_add_u32_e32 v15, s35, v65
	v_mul_f64 v[13:14], v[13:14], v[17:18]
	ds_write_b64 v15, v[59:60]
	v_fma_f64 v[1:2], -v[21:22], v[3:4], v[1:2]
	v_add_u32_e32 v3, s36, v65
	ds_write_b64 v3, v[63:64]
	v_add_u32_e32 v3, s37, v65
	ds_write_b64 v3, v[5:6]
	;; [unrolled: 2-line block ×3, first 2 shown]
	v_add_u32_e32 v3, s31, v65
	s_waitcnt lgkmcnt(6)
	v_fma_f64 v[1:2], -v[13:14], v[7:8], v[1:2]
	ds_write_b64 v3, v[41:42]
	v_add_u32_e32 v3, s26, v65
	ds_write_b64 v3, v[51:52]
	v_add_u32_e32 v3, s27, v65
	;; [unrolled: 2-line block ×3, first 2 shown]
	ds_write_b64 v3, v[21:22]
	v_mul_f64 v[1:2], v[9:10], v[1:2]
	v_add_u32_e32 v3, s28, v65
	ds_write_b64 v3, v[13:14]
	v_add_u32_e32 v3, s8, v65
	s_add_i32 s8, s5, 32
	s_add_i32 s5, s5, 63
	s_cmp_ge_i32 s5, s22
	ds_write_b64 v3, v[1:2]
	s_cbranch_scc1 .LBB107_16
; %bb.15:                               ;   in Loop: Header=BB107_12 Depth=1
	s_mov_b32 s5, s8
	s_branch .LBB107_12
.LBB107_16:
	s_cmp_lt_i32 s8, s22
	s_cbranch_scc0 .LBB107_34
; %bb.17:
	s_add_i32 s4, s8, 3
	s_cmp_ge_i32 s4, s22
	s_cbranch_scc1 .LBB107_28
; %bb.18:
	v_mov_b32_e32 v1, 0x8000
	s_add_i32 s4, s8, -1
	s_lshl_b32 s5, s8, 9
	v_lshl_or_b32 v9, v0, 3, v1
	s_mov_b32 s11, 0
	s_mov_b32 s12, s8
.LBB107_19:                             ; =>This Loop Header: Depth=1
                                        ;     Child Loop BB107_22 Depth 2
                                        ;     Child Loop BB107_25 Depth 2
	s_lshl_b32 s13, s8, 9
	v_add_u32_e32 v10, s13, v65
	ds_read2st64_b64 v[5:8], v10 offset1:1
	ds_read2st64_b64 v[1:4], v10 offset0:2 offset1:3
	s_cmp_eq_u32 s8, 0
	s_cbranch_scc1 .LBB107_26
; %bb.20:                               ;   in Loop: Header=BB107_19 Depth=1
	s_lshl_b32 s14, s11, 2
	s_add_i32 s14, s4, s14
	s_cmp_lt_u32 s14, 7
	s_mov_b32 s14, 0
	s_cbranch_scc1 .LBB107_23
; %bb.21:                               ;   in Loop: Header=BB107_19 Depth=1
	s_and_b32 s14, s8, -8
	s_mov_b32 s15, 0
	v_mov_b32_e32 v11, v9
	s_mov_b32 s16, s5
.LBB107_22:                             ;   Parent Loop BB107_19 Depth=1
                                        ; =>  This Inner Loop Header: Depth=2
	v_mov_b32_e32 v52, s16
	ds_read2st64_b64 v[12:15], v11 offset1:1
	ds_read2st64_b64 v[16:19], v11 offset0:2 offset1:3
	ds_read_b128 v[20:23], v52
	ds_read_b128 v[24:27], v52 offset:16
	ds_read_b128 v[28:31], v52 offset:512
	;; [unrolled: 1-line block ×7, first 2 shown]
	s_waitcnt lgkmcnt(7)
	v_fma_f64 v[5:6], -v[12:13], v[20:21], v[5:6]
	s_waitcnt lgkmcnt(5)
	v_fma_f64 v[7:8], -v[12:13], v[28:29], v[7:8]
	;; [unrolled: 2-line block ×4, first 2 shown]
	s_add_i32 s15, s15, 8
	s_add_i32 s16, s16, 64
	s_cmp_lg_u32 s14, s15
	v_fma_f64 v[5:6], -v[14:15], v[22:23], v[5:6]
	v_fma_f64 v[7:8], -v[14:15], v[30:31], v[7:8]
	;; [unrolled: 1-line block ×4, first 2 shown]
	ds_read2st64_b64 v[1:4], v11 offset0:4 offset1:5
	ds_read2st64_b64 v[12:15], v11 offset0:6 offset1:7
	v_add_u32_e32 v11, 0x1000, v11
	v_fma_f64 v[24:25], -v[16:17], v[24:25], v[5:6]
	v_fma_f64 v[32:33], -v[16:17], v[32:33], v[7:8]
	;; [unrolled: 1-line block ×3, first 2 shown]
	s_waitcnt lgkmcnt(2)
	v_fma_f64 v[16:17], -v[16:17], v[48:49], v[22:23]
	ds_read_b128 v[5:8], v52 offset:32
	ds_read_b128 v[20:23], v52 offset:48
	;; [unrolled: 1-line block ×4, first 2 shown]
	v_fma_f64 v[44:45], -v[18:19], v[26:27], v[24:25]
	v_fma_f64 v[46:47], -v[18:19], v[34:35], v[32:33]
	;; [unrolled: 1-line block ×4, first 2 shown]
	ds_read_b128 v[16:19], v52 offset:1056
	ds_read_b128 v[24:27], v52 offset:1072
	ds_read_b128 v[32:35], v52 offset:1568
	ds_read_b128 v[40:43], v52 offset:1584
	s_waitcnt lgkmcnt(7)
	v_fma_f64 v[5:6], -v[1:2], v[5:6], v[44:45]
	s_waitcnt lgkmcnt(5)
	v_fma_f64 v[28:29], -v[1:2], v[28:29], v[46:47]
	;; [unrolled: 2-line block ×4, first 2 shown]
	v_fma_f64 v[5:6], -v[3:4], v[7:8], v[5:6]
	v_fma_f64 v[7:8], -v[3:4], v[30:31], v[28:29]
	;; [unrolled: 1-line block ×7, first 2 shown]
	s_waitcnt lgkmcnt(0)
	v_fma_f64 v[12:13], -v[12:13], v[40:41], v[1:2]
	v_fma_f64 v[5:6], -v[14:15], v[22:23], v[3:4]
	v_fma_f64 v[7:8], -v[14:15], v[38:39], v[7:8]
	v_fma_f64 v[1:2], -v[14:15], v[26:27], v[16:17]
	v_fma_f64 v[3:4], -v[14:15], v[42:43], v[12:13]
	s_cbranch_scc1 .LBB107_22
.LBB107_23:                             ;   in Loop: Header=BB107_19 Depth=1
	s_and_b32 s15, s8, 7
	s_cmp_eq_u32 s15, 0
	s_cbranch_scc1 .LBB107_26
; %bb.24:                               ;   in Loop: Header=BB107_19 Depth=1
	s_and_b32 s15, s12, 7
	s_lshl_b32 s16, s14, 3
	v_lshl_add_u32 v11, s14, 9, v9
.LBB107_25:                             ;   Parent Loop BB107_19 Depth=1
                                        ; =>  This Inner Loop Header: Depth=2
	s_add_i32 s14, s5, s16
	v_mov_b32_e32 v16, s14
	ds_read_b64 v[20:21], v11
	ds_read2st64_b64 v[12:15], v16 offset1:1
	ds_read2st64_b64 v[16:19], v16 offset0:2 offset1:3
	s_add_i32 s16, s16, 8
	s_add_i32 s15, s15, -1
	s_cmp_lg_u32 s15, 0
	s_waitcnt lgkmcnt(1)
	v_fma_f64 v[5:6], -v[20:21], v[12:13], v[5:6]
	v_fma_f64 v[7:8], -v[20:21], v[14:15], v[7:8]
	s_waitcnt lgkmcnt(0)
	v_fma_f64 v[1:2], -v[20:21], v[16:17], v[1:2]
	v_fma_f64 v[3:4], -v[20:21], v[18:19], v[3:4]
	v_add_u32_e32 v11, 0x200, v11
	s_cbranch_scc1 .LBB107_25
.LBB107_26:                             ;   in Loop: Header=BB107_19 Depth=1
	s_lshl_b32 s14, s8, 3
	s_add_i32 s15, s14, s13
	v_mov_b32_e32 v11, s15
	ds_read2_b64 v[11:14], v11 offset1:130
	s_add_i32 s15, s13, 0x200
	s_add_i32 s16, s14, s15
	s_add_i32 s11, s11, 1
	s_addk_i32 s5, 0x800
	s_waitcnt lgkmcnt(0)
	v_mul_f64 v[11:12], v[11:12], v[5:6]
	v_mov_b32_e32 v5, s16
	ds_read2_b64 v[15:18], v5 offset1:1
	s_add_i32 s16, s13, 0x400
	s_add_i32 s17, s14, s16
	v_mov_b32_e32 v5, s17
	ds_read2_b64 v[19:22], v5 offset1:1
	s_addk_i32 s13, 0x600
	s_waitcnt lgkmcnt(1)
	v_fma_f64 v[5:6], -v[11:12], v[15:16], v[7:8]
	s_add_i32 s14, s14, s13
	v_mov_b32_e32 v15, s14
	s_waitcnt lgkmcnt(0)
	v_fma_f64 v[1:2], -v[11:12], v[19:20], v[1:2]
	s_add_i32 s12, s12, 4
	v_mul_f64 v[19:20], v[17:18], v[5:6]
	ds_read2_b64 v[5:8], v15 offset1:1
	ds_read2_b64 v[15:18], v15 offset0:2 offset1:3
	ds_write_b64 v10, v[11:12]
	s_waitcnt lgkmcnt(2)
	v_fma_f64 v[3:4], -v[11:12], v[5:6], v[3:4]
	v_add_u32_e32 v5, s15, v65
	v_fma_f64 v[1:2], -v[19:20], v[21:22], v[1:2]
	ds_write_b64 v5, v[19:20]
	v_add_u32_e32 v5, s16, v65
	v_fma_f64 v[3:4], -v[19:20], v[7:8], v[3:4]
	v_mul_f64 v[1:2], v[13:14], v[1:2]
	s_waitcnt lgkmcnt(2)
	v_fma_f64 v[3:4], -v[1:2], v[15:16], v[3:4]
	ds_write_b64 v5, v[1:2]
	v_mul_f64 v[1:2], v[17:18], v[3:4]
	v_add_u32_e32 v3, s13, v65
	s_add_i32 s13, s8, 4
	s_add_i32 s8, s8, 7
	s_cmp_lt_i32 s8, s22
	ds_write_b64 v3, v[1:2]
	s_cbranch_scc0 .LBB107_29
; %bb.27:                               ;   in Loop: Header=BB107_19 Depth=1
	s_mov_b32 s8, s13
	s_branch .LBB107_19
.LBB107_28:
	s_mov_b32 s13, s8
.LBB107_29:
	s_cmp_ge_i32 s13, s22
	s_cbranch_scc1 .LBB107_34
; %bb.30:
	v_mov_b32_e32 v1, 0x8000
	s_lshl_b32 s4, s13, 9
	v_lshl_or_b32 v3, v0, 3, v1
	s_branch .LBB107_32
.LBB107_31:                             ;   in Loop: Header=BB107_32 Depth=1
	s_mul_i32 s5, s13, 0x208
	v_mov_b32_e32 v5, s5
	ds_read_b64 v[5:6], v5
	s_add_i32 s13, s13, 1
	s_addk_i32 s4, 0x200
	s_cmp_ge_i32 s13, s22
	s_waitcnt lgkmcnt(0)
	v_mul_f64 v[1:2], v[5:6], v[1:2]
	ds_write_b64 v4, v[1:2]
	s_cbranch_scc1 .LBB107_34
.LBB107_32:                             ; =>This Loop Header: Depth=1
                                        ;     Child Loop BB107_33 Depth 2
	s_lshl_b32 s5, s13, 9
	v_add_u32_e32 v4, s5, v65
	ds_read_b64 v[1:2], v4
	s_cmp_eq_u32 s13, 0
	v_mov_b32_e32 v5, v3
	s_mov_b32 s5, s13
	s_mov_b32 s8, s4
	s_cbranch_scc1 .LBB107_31
.LBB107_33:                             ;   Parent Loop BB107_32 Depth=1
                                        ; =>  This Inner Loop Header: Depth=2
	v_mov_b32_e32 v8, s8
	ds_read_b64 v[6:7], v5
	ds_read_b64 v[8:9], v8
	s_add_i32 s8, s8, 8
	s_add_i32 s5, s5, -1
	s_cmp_lg_u32 s5, 0
	v_add_u32_e32 v5, 0x200, v5
	s_waitcnt lgkmcnt(0)
	v_fma_f64 v[1:2], -v[6:7], v[8:9], v[1:2]
	s_cbranch_scc1 .LBB107_33
	s_branch .LBB107_31
.LBB107_34:
	s_mov_b64 s[4:5], 0
.LBB107_35:
	s_and_b64 vcc, exec, s[4:5]
	s_cbranch_vccz .LBB107_68
; %bb.36:
	s_add_i32 s4, s22, -1
	s_cmp_lt_i32 s10, 32
	s_mov_b32 s5, s4
	s_cbranch_scc1 .LBB107_43
; %bb.37:
	s_lshl_b32 s5, s22, 9
	v_lshl_or_b32 v1, v0, 3, s5
	v_add_u32_e32 v66, 0x7e00, v1
	s_addk_i32 s5, 0xfd08
	s_mov_b32 s10, s4
	s_branch .LBB107_39
.LBB107_38:                             ;   in Loop: Header=BB107_39 Depth=1
	s_add_i32 s11, s8, -1
	s_lshl_b32 s12, s11, 3
	s_add_i32 s13, s12, s10
	v_mov_b32_e32 v68, s13
	ds_read2_b64 v[68:71], v68 offset1:1
	s_lshl_b32 s16, s11, 9
	s_add_i32 s11, s12, s16
	v_mov_b32_e32 v72, s11
	ds_read_b64 v[76:77], v72
	s_waitcnt lgkmcnt(1)
	v_mul_f64 v[5:6], v[70:71], v[5:6]
	s_add_i32 s11, s8, -3
	s_lshl_b32 s12, s11, 3
	s_add_i32 s15, s12, s10
	s_add_i32 s13, s8, -5
	s_lshl_b32 s14, s13, 3
	s_add_i32 s17, s10, 0xfffffc00
	s_lshl_b32 s11, s11, 9
	v_fma_f64 v[63:64], -v[5:6], v[68:69], v[63:64]
	v_mov_b32_e32 v68, s15
	ds_read2_b64 v[68:71], v68 offset1:1
	s_add_i32 s15, s12, s16
	v_mov_b32_e32 v72, s15
	ds_read2_b64 v[72:75], v72 offset1:1
	s_add_i32 s15, s14, s10
	s_waitcnt lgkmcnt(1)
	v_fma_f64 v[70:71], -v[5:6], v[70:71], v[9:10]
	v_mul_f64 v[9:10], v[76:77], v[63:64]
	v_fma_f64 v[11:12], -v[5:6], v[68:69], v[11:12]
	v_mov_b32_e32 v77, s15
	s_add_i32 s18, s12, s17
	s_add_i32 s12, s12, s11
	;; [unrolled: 1-line block ×3, first 2 shown]
	v_mov_b32_e32 v76, s18
	v_mov_b32_e32 v78, s12
	s_waitcnt lgkmcnt(0)
	v_fma_f64 v[63:64], -v[9:10], v[74:75], v[70:71]
	ds_read2_b64 v[68:71], v77 offset1:1
	v_mov_b32_e32 v79, s19
	ds_read2_b64 v[74:77], v76 offset1:1
	ds_read_b64 v[82:83], v78
	ds_read2_b64 v[78:81], v79 offset1:1
	s_add_i32 s19, s14, s17
	s_add_i32 s20, s14, s11
	s_waitcnt lgkmcnt(3)
	v_fma_f64 v[61:62], -v[5:6], v[70:71], v[61:62]
	v_fma_f64 v[70:71], -v[9:10], v[72:73], v[11:12]
	s_waitcnt lgkmcnt(2)
	v_mul_f64 v[11:12], v[76:77], v[63:64]
	v_fma_f64 v[76:77], -v[5:6], v[68:69], v[13:14]
	s_add_i32 s15, s8, -7
	s_lshl_b32 s18, s15, 3
	s_add_i32 s21, s18, s16
	s_add_i32 s12, s10, 0xfffff800
	s_waitcnt lgkmcnt(0)
	v_fma_f64 v[72:73], -v[9:10], v[80:81], v[61:62]
	v_mov_b32_e32 v61, s19
	v_fma_f64 v[74:75], -v[11:12], v[74:75], v[70:71]
	ds_read2_b64 v[61:64], v61 offset1:1
	v_mov_b32_e32 v70, s20
	ds_read2_b64 v[68:71], v70 offset1:1
	s_add_i32 s20, s18, s10
	v_fma_f64 v[84:85], -v[9:10], v[78:79], v[76:77]
	s_waitcnt lgkmcnt(1)
	v_fma_f64 v[63:64], -v[11:12], v[63:64], v[72:73]
	v_mov_b32_e32 v72, s20
	v_mul_f64 v[13:14], v[82:83], v[74:75]
	ds_read2_b64 v[72:75], v72 offset1:1
	v_mov_b32_e32 v76, s21
	ds_read2_b64 v[76:79], v76 offset1:1
	s_add_i32 s19, s14, s12
	s_lshl_b32 s13, s13, 9
	s_add_i32 s14, s14, s13
	s_waitcnt lgkmcnt(1)
	v_fma_f64 v[17:18], -v[5:6], v[72:73], v[17:18]
	v_fma_f64 v[63:64], -v[13:14], v[70:71], v[63:64]
	v_fma_f64 v[70:71], -v[5:6], v[74:75], v[15:16]
	v_fma_f64 v[74:75], -v[11:12], v[61:62], v[84:85]
	v_mov_b32_e32 v15, s19
	ds_read2_b64 v[80:83], v15 offset1:1
	v_mov_b32_e32 v15, s14
	s_add_i32 s14, s18, s17
	v_mov_b32_e32 v61, s14
	s_add_i32 s14, s18, s11
	s_waitcnt lgkmcnt(1)
	v_fma_f64 v[78:79], -v[9:10], v[78:79], v[70:71]
	v_fma_f64 v[74:75], -v[13:14], v[68:69], v[74:75]
	v_mov_b32_e32 v68, s14
	ds_read_b64 v[84:85], v15
	ds_read2_b64 v[68:71], v68 offset1:1
	s_waitcnt lgkmcnt(2)
	v_mul_f64 v[15:16], v[82:83], v[63:64]
	ds_read2_b64 v[61:64], v61 offset1:1
	s_add_i32 s14, s18, s12
	s_add_i32 s19, s8, -9
	s_lshl_b32 s20, s19, 3
	s_add_i32 s23, s20, s10
	s_waitcnt lgkmcnt(0)
	v_fma_f64 v[63:64], -v[11:12], v[63:64], v[78:79]
	v_fma_f64 v[78:79], -v[9:10], v[76:77], v[17:18]
	;; [unrolled: 1-line block ×3, first 2 shown]
	s_lshl_b32 s15, s15, 9
	ds_write_b64 v67, v[5:6]
	v_add_u32_e32 v67, s16, v65
	ds_write_b64 v67, v[9:10]
	s_lshl_b32 s19, s19, 9
	v_fma_f64 v[63:64], -v[13:14], v[70:71], v[63:64]
	v_mov_b32_e32 v70, s14
	ds_read2_b64 v[70:73], v70 offset1:1
	s_add_i32 s14, s18, s13
	v_mul_f64 v[17:18], v[84:85], v[74:75]
	v_mov_b32_e32 v74, s14
	v_fma_f64 v[61:62], -v[11:12], v[61:62], v[78:79]
	ds_read2_b64 v[74:77], v74 offset1:1
	s_waitcnt lgkmcnt(1)
	v_fma_f64 v[63:64], -v[15:16], v[72:73], v[63:64]
	s_add_i32 s14, s10, 0xfffff400
	s_add_i32 s21, s18, s14
	v_mov_b32_e32 v80, s21
	s_add_i32 s21, s20, s16
	s_add_i32 s18, s18, s15
	v_fma_f64 v[68:69], -v[13:14], v[68:69], v[61:62]
	v_mov_b32_e32 v61, s23
	s_waitcnt lgkmcnt(0)
	v_fma_f64 v[72:73], -v[17:18], v[76:77], v[63:64]
	ds_read2_b64 v[61:64], v61 offset1:1
	v_mov_b32_e32 v76, s21
	ds_read2_b64 v[76:79], v76 offset1:1
	ds_read2_b64 v[80:83], v80 offset1:1
	s_add_i32 s21, s8, -11
	s_waitcnt lgkmcnt(2)
	v_fma_f64 v[63:64], -v[5:6], v[63:64], v[19:20]
	v_mov_b32_e32 v19, s18
	s_add_i32 s18, s20, s17
	v_fma_f64 v[84:85], -v[15:16], v[70:71], v[68:69]
	v_mov_b32_e32 v68, s18
	ds_read_b64 v[86:87], v19
	ds_read2_b64 v[68:71], v68 offset1:1
	v_fma_f64 v[23:24], -v[5:6], v[61:62], v[23:24]
	s_waitcnt lgkmcnt(3)
	v_fma_f64 v[63:64], -v[9:10], v[78:79], v[63:64]
	s_add_i32 s18, s20, s11
	s_waitcnt lgkmcnt(2)
	v_mul_f64 v[19:20], v[82:83], v[72:73]
	v_mov_b32_e32 v72, s18
	v_fma_f64 v[78:79], -v[17:18], v[74:75], v[84:85]
	ds_read2_b64 v[72:75], v72 offset1:1
	s_add_i32 s18, s20, s12
	v_fma_f64 v[76:77], -v[9:10], v[76:77], v[23:24]
	s_waitcnt lgkmcnt(1)
	v_fma_f64 v[63:64], -v[11:12], v[70:71], v[63:64]
	v_mov_b32_e32 v61, s18
	s_add_i32 s18, s20, s13
	v_mov_b32_e32 v67, s18
	v_fma_f64 v[70:71], -v[19:20], v[80:81], v[78:79]
	ds_read2_b64 v[78:81], v67 offset1:1
	s_lshl_b32 s24, s21, 3
	v_add_u32_e32 v23, s17, v65
	s_waitcnt lgkmcnt(1)
	v_fma_f64 v[74:75], -v[13:14], v[74:75], v[63:64]
	ds_read2_b64 v[61:64], v61 offset1:1
	s_add_i32 s23, s24, s10
	ds_write_b64 v23, v[11:12]
	v_add_u32_e32 v23, s11, v65
	v_mov_b32_e32 v67, s23
	ds_write_b64 v23, v[13:14]
	v_mul_f64 v[23:24], v[86:87], v[70:71]
	s_waitcnt lgkmcnt(2)
	v_fma_f64 v[63:64], -v[15:16], v[63:64], v[74:75]
	v_fma_f64 v[74:75], -v[11:12], v[68:69], v[76:77]
	ds_read2_b64 v[67:70], v67 offset1:1
	s_add_i32 s23, s24, s16
	v_mov_b32_e32 v71, s23
	s_add_i32 s18, s20, s14
	s_lshl_b32 s21, s21, 9
	s_waitcnt lgkmcnt(0)
	v_fma_f64 v[69:70], -v[5:6], v[69:70], v[59:60]
	v_mov_b32_e32 v59, s18
	v_fma_f64 v[75:76], -v[13:14], v[72:73], v[74:75]
	ds_read2_b64 v[71:74], v71 offset1:1
	v_fma_f64 v[63:64], -v[17:18], v[80:81], v[63:64]
	ds_read2_b64 v[80:83], v59 offset1:1
	s_add_i32 s18, s20, s15
	v_mov_b32_e32 v59, s18
	s_waitcnt lgkmcnt(1)
	v_fma_f64 v[69:70], -v[9:10], v[73:74], v[69:70]
	s_add_i32 s18, s24, s17
	v_fma_f64 v[84:85], -v[15:16], v[61:62], v[75:76]
	v_mov_b32_e32 v73, s18
	ds_read2_b64 v[73:76], v73 offset1:1
	s_add_i32 s18, s24, s11
	s_waitcnt lgkmcnt(1)
	v_fma_f64 v[63:64], -v[19:20], v[82:83], v[63:64]
	v_fma_f64 v[27:28], -v[5:6], v[67:68], v[27:28]
	ds_read2_b64 v[59:62], v59 offset1:1
	v_add_u32_e32 v90, s12, v65
	v_fma_f64 v[77:78], -v[17:18], v[78:79], v[84:85]
	v_mov_b32_e32 v79, s18
	ds_read2_b64 v[82:85], v79 offset1:1
	s_waitcnt lgkmcnt(2)
	v_fma_f64 v[69:70], -v[11:12], v[75:76], v[69:70]
	s_add_i32 s18, s10, 0xfffff000
	s_add_i32 s23, s20, s18
	;; [unrolled: 1-line block ×3, first 2 shown]
	v_fma_f64 v[71:72], -v[9:10], v[71:72], v[27:28]
	v_mov_b32_e32 v27, s20
	ds_read_b64 v[88:89], v27
	s_waitcnt lgkmcnt(2)
	v_fma_f64 v[86:87], -v[23:24], v[61:62], v[63:64]
	s_waitcnt lgkmcnt(1)
	v_fma_f64 v[84:85], -v[13:14], v[84:85], v[69:70]
	v_mov_b32_e32 v61, s23
	s_add_i32 s23, s24, s12
	v_mov_b32_e32 v67, s23
	ds_read2_b64 v[61:64], v61 offset1:1
	ds_read2_b64 v[67:70], v67 offset1:1
	s_add_i32 s23, s24, s13
	v_mov_b32_e32 v75, s23
	v_fma_f64 v[79:80], -v[19:20], v[80:81], v[77:78]
	ds_read2_b64 v[75:78], v75 offset1:1
	s_waitcnt lgkmcnt(1)
	v_fma_f64 v[69:70], -v[15:16], v[69:70], v[84:85]
	v_mul_f64 v[27:28], v[63:64], v[86:87]
	v_fma_f64 v[63:64], -v[11:12], v[73:74], v[71:72]
	s_add_i32 s20, s24, s14
	s_add_i32 s23, s8, -13
	s_lshl_b32 s25, s23, 3
	v_fma_f64 v[59:60], -v[23:24], v[59:60], v[79:80]
	ds_write_b64 v90, v[15:16]
	s_waitcnt lgkmcnt(1)
	v_fma_f64 v[73:74], -v[17:18], v[77:78], v[69:70]
	v_mov_b32_e32 v69, s20
	ds_read2_b64 v[69:72], v69 offset1:1
	v_fma_f64 v[63:64], -v[13:14], v[82:83], v[63:64]
	s_add_i32 s20, s24, s15
	v_mov_b32_e32 v77, s20
	s_add_i32 s20, s25, s10
	ds_read2_b64 v[77:80], v77 offset1:1
	s_waitcnt lgkmcnt(1)
	v_fma_f64 v[85:86], -v[19:20], v[71:72], v[73:74]
	v_mov_b32_e32 v71, s20
	ds_read2_b64 v[71:74], v71 offset1:1
	s_add_i32 s20, s25, s16
	v_fma_f64 v[63:64], -v[15:16], v[67:68], v[63:64]
	v_mov_b32_e32 v67, s20
	ds_read2_b64 v[81:84], v67 offset1:1
	s_waitcnt lgkmcnt(1)
	v_fma_f64 v[29:30], -v[5:6], v[73:74], v[29:30]
	s_add_i32 s20, s24, s18
	v_fma_f64 v[73:74], -v[27:28], v[61:62], v[59:60]
	v_fma_f64 v[79:80], -v[23:24], v[79:80], v[85:86]
	;; [unrolled: 1-line block ×4, first 2 shown]
	v_mov_b32_e32 v75, s20
	s_add_i32 s20, s25, s17
	s_waitcnt lgkmcnt(0)
	v_fma_f64 v[29:30], -v[9:10], v[83:84], v[29:30]
	v_mov_b32_e32 v59, s20
	ds_read2_b64 v[59:62], v59 offset1:1
	s_add_i32 s20, s25, s11
	v_fma_f64 v[31:32], -v[9:10], v[81:82], v[31:32]
	v_fma_f64 v[83:84], -v[19:20], v[69:70], v[63:64]
	v_mov_b32_e32 v63, s20
	ds_read2_b64 v[67:70], v63 offset1:1
	s_waitcnt lgkmcnt(1)
	v_fma_f64 v[85:86], -v[11:12], v[61:62], v[29:30]
	ds_read2_b64 v[61:64], v75 offset1:1
	s_add_i32 s20, s24, s19
	v_mul_f64 v[29:30], v[88:89], v[73:74]
	v_mov_b32_e32 v73, s20
	s_add_i32 s20, s25, s12
	v_fma_f64 v[87:88], -v[23:24], v[77:78], v[83:84]
	v_mov_b32_e32 v77, s20
	s_waitcnt lgkmcnt(1)
	v_fma_f64 v[69:70], -v[13:14], v[69:70], v[85:86]
	s_add_i32 s20, s25, s13
	v_mov_b32_e32 v83, s20
	ds_read2_b64 v[83:86], v83 offset1:1
	ds_read2_b64 v[73:76], v73 offset1:1
	s_waitcnt lgkmcnt(2)
	v_fma_f64 v[63:64], -v[27:28], v[63:64], v[79:80]
	ds_read2_b64 v[77:80], v77 offset1:1
	v_fma_f64 v[59:60], -v[11:12], v[59:60], v[31:32]
	s_add_i32 s20, s10, 0xffffec00
	s_add_i32 s26, s24, s20
	v_fma_f64 v[87:88], -v[27:28], v[61:62], v[87:88]
	s_waitcnt lgkmcnt(0)
	v_fma_f64 v[79:80], -v[15:16], v[79:80], v[69:70]
	s_add_i32 s24, s24, s21
	v_fma_f64 v[75:76], -v[29:30], v[75:76], v[63:64]
	v_mov_b32_e32 v63, s26
	s_add_i32 s26, s25, s14
	v_mov_b32_e32 v61, s26
	s_add_i32 s26, s25, s15
	ds_read2_b64 v[69:72], v63 offset1:1
	v_fma_f64 v[85:86], -v[17:18], v[85:86], v[79:80]
	v_mov_b32_e32 v79, s26
	ds_read2_b64 v[79:82], v79 offset1:1
	ds_read2_b64 v[61:64], v61 offset1:1
	v_fma_f64 v[59:60], -v[13:14], v[67:68], v[59:60]
	s_add_i32 s26, s8, -15
	s_lshl_b32 s27, s26, 3
	s_add_i32 s28, s27, s10
	v_mov_b32_e32 v31, s24
	v_mov_b32_e32 v67, s28
	ds_read_b64 v[91:92], v31
	s_waitcnt lgkmcnt(1)
	v_fma_f64 v[63:64], -v[19:20], v[63:64], v[85:86]
	v_mul_f64 v[31:32], v[71:72], v[75:76]
	v_fma_f64 v[93:94], -v[29:30], v[73:74], v[87:88]
	ds_read2_b64 v[71:74], v67 offset1:1
	v_fma_f64 v[59:60], -v[15:16], v[77:78], v[59:60]
	s_add_i32 s28, s27, s16
	v_mov_b32_e32 v67, s28
	ds_read2_b64 v[75:78], v67 offset1:1
	s_waitcnt lgkmcnt(1)
	v_fma_f64 v[35:36], -v[5:6], v[73:74], v[35:36]
	v_fma_f64 v[63:64], -v[23:24], v[81:82], v[63:64]
	s_add_i32 s24, s25, s18
	v_mov_b32_e32 v67, s24
	ds_read2_b64 v[85:88], v67 offset1:1
	v_fma_f64 v[59:60], -v[17:18], v[83:84], v[59:60]
	s_add_i32 s24, s25, s19
	v_mov_b32_e32 v67, s24
	s_waitcnt lgkmcnt(1)
	v_fma_f64 v[35:36], -v[9:10], v[77:78], v[35:36]
	s_add_i32 s24, s27, s17
	ds_read2_b64 v[81:84], v67 offset1:1
	v_mov_b32_e32 v67, s24
	s_waitcnt lgkmcnt(1)
	v_fma_f64 v[63:64], -v[27:28], v[87:88], v[63:64]
	ds_read2_b64 v[87:90], v67 offset1:1
	v_fma_f64 v[67:68], -v[19:20], v[61:62], v[59:60]
	s_add_i32 s24, s27, s11
	v_mov_b32_e32 v59, s24
	ds_read2_b64 v[59:62], v59 offset1:1
	s_waitcnt lgkmcnt(1)
	v_fma_f64 v[35:36], -v[11:12], v[89:90], v[35:36]
	s_add_i32 s24, s25, s20
	v_fma_f64 v[89:90], -v[29:30], v[83:84], v[63:64]
	v_mov_b32_e32 v63, s24
	v_fma_f64 v[77:78], -v[23:24], v[79:80], v[67:68]
	v_fma_f64 v[73:74], -v[31:32], v[69:70], v[93:94]
	ds_read2_b64 v[67:70], v63 offset1:1
	s_add_i32 s24, s27, s12
	s_waitcnt lgkmcnt(1)
	v_fma_f64 v[35:36], -v[13:14], v[61:62], v[35:36]
	v_mov_b32_e32 v61, s24
	ds_read2_b64 v[61:64], v61 offset1:1
	v_fma_f64 v[39:40], -v[5:6], v[71:72], v[39:40]
	s_add_i32 s24, s27, s13
	v_fma_f64 v[93:94], -v[27:28], v[85:86], v[77:78]
	v_mov_b32_e32 v77, s24
	ds_read2_b64 v[77:80], v77 offset1:1
	s_waitcnt lgkmcnt(1)
	v_fma_f64 v[63:64], -v[15:16], v[63:64], v[35:36]
	s_add_i32 s24, s25, s21
	v_mul_f64 v[35:36], v[91:92], v[73:74]
	v_fma_f64 v[39:40], -v[9:10], v[75:76], v[39:40]
	v_mov_b32_e32 v73, s24
	s_add_i32 s24, s27, s14
	ds_read2_b64 v[83:86], v73 offset1:1
	v_fma_f64 v[73:74], -v[31:32], v[69:70], v[89:90]
	s_waitcnt lgkmcnt(1)
	v_fma_f64 v[63:64], -v[17:18], v[79:80], v[63:64]
	v_mov_b32_e32 v69, s24
	ds_read2_b64 v[69:72], v69 offset1:1
	v_fma_f64 v[89:90], -v[29:30], v[81:82], v[93:94]
	v_fma_f64 v[39:40], -v[11:12], v[87:88], v[39:40]
	s_add_i32 s24, s27, s15
	v_mov_b32_e32 v79, s24
	ds_read2_b64 v[79:82], v79 offset1:1
	s_waitcnt lgkmcnt(1)
	v_fma_f64 v[63:64], -v[19:20], v[71:72], v[63:64]
	s_add_i32 s24, s10, 0xffffe800
	s_add_i32 s28, s25, s24
	v_fma_f64 v[67:68], -v[31:32], v[67:68], v[89:90]
	v_fma_f64 v[59:60], -v[13:14], v[59:60], v[39:40]
	v_mov_b32_e32 v71, s28
	s_add_i32 s28, s27, s18
	v_fma_f64 v[75:76], -v[35:36], v[85:86], v[73:74]
	s_waitcnt lgkmcnt(0)
	v_fma_f64 v[63:64], -v[23:24], v[81:82], v[63:64]
	v_mov_b32_e32 v81, s28
	ds_read2_b64 v[71:74], v71 offset1:1
	ds_read2_b64 v[85:88], v81 offset1:1
	s_add_i32 s28, s27, s19
	v_fma_f64 v[83:84], -v[35:36], v[83:84], v[67:68]
	v_fma_f64 v[67:68], -v[15:16], v[61:62], v[59:60]
	v_mov_b32_e32 v81, s28
	s_sub_i32 s28, s8, 17
	s_lshl_b32 s23, s23, 9
	s_lshl_b32 s30, s28, 3
	s_add_i32 s25, s25, s23
	s_add_i32 s29, s30, s10
	s_waitcnt lgkmcnt(0)
	v_fma_f64 v[63:64], -v[27:28], v[87:88], v[63:64]
	v_mov_b32_e32 v39, s25
	v_mov_b32_e32 v59, s29
	ds_read_b64 v[93:94], v39
	ds_read2_b64 v[59:62], v59 offset1:1
	ds_read2_b64 v[89:92], v81 offset1:1
	v_fma_f64 v[67:68], -v[17:18], v[77:78], v[67:68]
	s_add_i32 s29, s30, s16
	v_mul_f64 v[39:40], v[73:74], v[75:76]
	s_waitcnt lgkmcnt(1)
	v_fma_f64 v[41:42], -v[5:6], v[61:62], v[41:42]
	s_waitcnt lgkmcnt(0)
	v_fma_f64 v[81:82], -v[29:30], v[91:92], v[63:64]
	v_mov_b32_e32 v63, s29
	ds_read2_b64 v[73:76], v63 offset1:1
	s_add_i32 s25, s27, s20
	v_fma_f64 v[87:88], -v[19:20], v[69:70], v[67:68]
	v_mov_b32_e32 v61, s25
	s_add_i32 s25, s27, s21
	s_waitcnt lgkmcnt(0)
	v_fma_f64 v[41:42], -v[9:10], v[75:76], v[41:42]
	v_mov_b32_e32 v67, s25
	s_add_i32 s25, s30, s17
	ds_read2_b64 v[61:64], v61 offset1:1
	ds_read2_b64 v[67:70], v67 offset1:1
	v_mov_b32_e32 v75, s25
	ds_read2_b64 v[75:78], v75 offset1:1
	v_fma_f64 v[87:88], -v[23:24], v[79:80], v[87:88]
	s_waitcnt lgkmcnt(2)
	v_fma_f64 v[63:64], -v[31:32], v[63:64], v[81:82]
	s_add_i32 s25, s30, s11
	v_mov_b32_e32 v79, s25
	s_waitcnt lgkmcnt(0)
	v_fma_f64 v[41:42], -v[11:12], v[77:78], v[41:42]
	ds_read2_b64 v[79:82], v79 offset1:1
	v_add_u32_e32 v77, s14, v65
	s_add_i32 s25, s27, s24
	ds_write_b64 v77, v[19:20]
	v_fma_f64 v[77:78], -v[39:40], v[71:72], v[83:84]
	v_fma_f64 v[83:84], -v[27:28], v[85:86], v[87:88]
	v_mov_b32_e32 v85, s25
	s_add_i32 s25, s30, s12
	v_fma_f64 v[63:64], -v[35:36], v[69:70], v[63:64]
	v_mov_b32_e32 v69, s25
	ds_read2_b64 v[69:72], v69 offset1:1
	s_waitcnt lgkmcnt(2)
	v_fma_f64 v[41:42], -v[13:14], v[81:82], v[41:42]
	v_add_u32_e32 v95, s13, v65
	ds_write_b64 v95, v[17:18]
	v_fma_f64 v[95:96], -v[29:30], v[89:90], v[83:84]
	s_add_i32 s25, s30, s13
	v_mov_b32_e32 v81, s25
	ds_read2_b64 v[85:88], v85 offset1:1
	ds_read2_b64 v[81:84], v81 offset1:1
	s_waitcnt lgkmcnt(3)
	v_fma_f64 v[71:72], -v[15:16], v[71:72], v[41:42]
	s_add_i32 s25, s27, s23
	v_mul_f64 v[41:42], v[93:94], v[77:78]
	v_mov_b32_e32 v77, s25
	s_add_i32 s25, s30, s14
	ds_read2_b64 v[89:92], v77 offset1:1
	s_waitcnt lgkmcnt(2)
	v_fma_f64 v[77:78], -v[39:40], v[87:88], v[63:64]
	v_fma_f64 v[87:88], -v[31:32], v[61:62], v[95:96]
	v_mov_b32_e32 v61, s25
	ds_read2_b64 v[61:64], v61 offset1:1
	s_waitcnt lgkmcnt(2)
	v_fma_f64 v[71:72], -v[17:18], v[83:84], v[71:72]
	v_fma_f64 v[83:84], -v[5:6], v[59:60], v[57:58]
	s_add_i32 s25, s30, s15
	v_mov_b32_e32 v93, s25
	ds_read2_b64 v[57:60], v93 offset1:1
	s_waitcnt lgkmcnt(2)
	v_fma_f64 v[95:96], -v[41:42], v[91:92], v[77:78]
	s_add_i32 s29, s30, s18
	v_fma_f64 v[67:68], -v[35:36], v[67:68], v[87:88]
	s_waitcnt lgkmcnt(1)
	v_fma_f64 v[63:64], -v[19:20], v[63:64], v[71:72]
	v_fma_f64 v[77:78], -v[9:10], v[73:74], v[83:84]
	v_add_u32_e32 v71, s15, v65
	ds_write_b64 v71, v[23:24]
	s_add_i32 s25, s10, 0xffffe400
	s_lshl_b32 s26, s26, 9
	s_lshl_b32 s28, s28, 9
	v_add_u32_e32 v99, s18, v65
	s_waitcnt lgkmcnt(1)
	v_fma_f64 v[59:60], -v[23:24], v[59:60], v[63:64]
	v_mov_b32_e32 v63, s29
	ds_read2_b64 v[71:74], v63 offset1:1
	v_fma_f64 v[63:64], -v[11:12], v[75:76], v[77:78]
	s_add_i32 s29, s30, s19
	v_mov_b32_e32 v83, s29
	ds_read2_b64 v[75:78], v83 offset1:1
	s_add_i32 s29, s27, s25
	s_waitcnt lgkmcnt(1)
	v_fma_f64 v[59:60], -v[27:28], v[73:74], v[59:60]
	v_mov_b32_e32 v73, s29
	ds_read2_b64 v[91:94], v73 offset1:1
	v_fma_f64 v[63:64], -v[13:14], v[79:80], v[63:64]
	s_add_i32 s29, s30, s20
	v_fma_f64 v[73:74], -v[39:40], v[85:86], v[67:68]
	v_mov_b32_e32 v67, s29
	s_add_i32 s29, s30, s21
	s_waitcnt lgkmcnt(1)
	v_fma_f64 v[59:60], -v[29:30], v[77:78], v[59:60]
	ds_read2_b64 v[77:80], v67 offset1:1
	v_mov_b32_e32 v67, s29
	v_fma_f64 v[63:64], -v[15:16], v[69:70], v[63:64]
	s_sub_i32 s29, s8, 19
	s_lshl_b32 s31, s29, 3
	s_add_i32 s33, s31, s10
	ds_read2_b64 v[67:70], v67 offset1:1
	s_waitcnt lgkmcnt(1)
	v_fma_f64 v[59:60], -v[31:32], v[79:80], v[59:60]
	v_mov_b32_e32 v79, s33
	ds_read2_b64 v[83:86], v79 offset1:1
	v_fma_f64 v[63:64], -v[17:18], v[81:82], v[63:64]
	s_add_i32 s33, s31, s16
	v_mov_b32_e32 v79, s33
	ds_read2_b64 v[79:82], v79 offset1:1
	s_waitcnt lgkmcnt(1)
	v_fma_f64 v[85:86], -v[5:6], v[85:86], v[45:46]
	s_add_i32 s27, s27, s26
	v_mov_b32_e32 v45, s27
	ds_read_b64 v[97:98], v45
	v_fma_f64 v[63:64], -v[19:20], v[61:62], v[63:64]
	v_mul_f64 v[45:46], v[93:94], v[95:96]
	v_fma_f64 v[93:94], -v[41:42], v[89:90], v[73:74]
	v_fma_f64 v[73:74], -v[35:36], v[69:70], v[59:60]
	s_waitcnt lgkmcnt(1)
	v_fma_f64 v[69:70], -v[9:10], v[81:82], v[85:86]
	s_add_i32 s33, s31, s17
	v_mov_b32_e32 v59, s33
	ds_read2_b64 v[59:62], v59 offset1:1
	s_add_i32 s33, s31, s11
	v_fma_f64 v[57:58], -v[23:24], v[57:58], v[63:64]
	v_mov_b32_e32 v63, s33
	ds_read2_b64 v[85:88], v63 offset1:1
	s_waitcnt lgkmcnt(1)
	v_fma_f64 v[81:82], -v[11:12], v[61:62], v[69:70]
	s_add_i32 s27, s30, s24
	v_mov_b32_e32 v61, s27
	ds_read2_b64 v[61:64], v61 offset1:1
	s_add_i32 s27, s30, s23
	v_mov_b32_e32 v69, s27
	s_add_i32 s27, s31, s12
	v_fma_f64 v[57:58], -v[27:28], v[71:72], v[57:58]
	s_waitcnt lgkmcnt(1)
	v_fma_f64 v[81:82], -v[13:14], v[87:88], v[81:82]
	ds_read2_b64 v[69:72], v69 offset1:1
	s_waitcnt lgkmcnt(1)
	v_fma_f64 v[63:64], -v[39:40], v[63:64], v[73:74]
	v_mov_b32_e32 v73, s27
	ds_read2_b64 v[87:90], v73 offset1:1
	s_add_i32 s27, s31, s13
	v_fma_f64 v[49:50], -v[5:6], v[83:84], v[49:50]
	v_mov_b32_e32 v73, s27
	v_fma_f64 v[57:58], -v[29:30], v[75:76], v[57:58]
	s_waitcnt lgkmcnt(0)
	v_fma_f64 v[81:82], -v[15:16], v[89:90], v[81:82]
	ds_read2_b64 v[73:76], v73 offset1:1
	s_add_i32 s27, s30, s25
	v_fma_f64 v[63:64], -v[41:42], v[71:72], v[63:64]
	v_mov_b32_e32 v71, s27
	v_fma_f64 v[93:94], -v[45:46], v[91:92], v[93:94]
	ds_read2_b64 v[89:92], v71 offset1:1
	s_add_i32 s27, s31, s14
	s_waitcnt lgkmcnt(1)
	v_fma_f64 v[71:72], -v[17:18], v[75:76], v[81:82]
	v_fma_f64 v[95:96], -v[9:10], v[79:80], v[49:50]
	v_mov_b32_e32 v75, s27
	v_fma_f64 v[57:58], -v[31:32], v[77:78], v[57:58]
	ds_read2_b64 v[75:78], v75 offset1:1
	s_add_i32 s27, s31, s15
	v_mov_b32_e32 v81, s27
	ds_read2_b64 v[81:84], v81 offset1:1
	s_add_i32 s27, s30, s26
	s_waitcnt lgkmcnt(1)
	v_fma_f64 v[71:72], -v[19:20], v[77:78], v[71:72]
	v_fma_f64 v[95:96], -v[11:12], v[59:60], v[95:96]
	v_mov_b32_e32 v77, s27
	s_add_i32 s27, s31, s18
	v_fma_f64 v[67:68], -v[35:36], v[67:68], v[57:58]
	v_mov_b32_e32 v57, s27
	s_add_i32 s27, s31, s19
	v_mul_f64 v[49:50], v[97:98], v[93:94]
	s_waitcnt lgkmcnt(0)
	v_fma_f64 v[71:72], -v[23:24], v[83:84], v[71:72]
	v_mov_b32_e32 v83, s27
	v_fma_f64 v[63:64], -v[45:46], v[91:92], v[63:64]
	ds_read2_b64 v[91:94], v83 offset1:1
	v_fma_f64 v[83:84], -v[13:14], v[85:86], v[95:96]
	ds_read2_b64 v[77:80], v77 offset1:1
	ds_read2_b64 v[57:60], v57 offset1:1
	s_add_i32 s27, s10, 0xffffe000
	s_add_i32 s33, s30, s27
	;; [unrolled: 1-line block ×3, first 2 shown]
	s_waitcnt lgkmcnt(1)
	v_fma_f64 v[95:96], -v[49:50], v[79:80], v[63:64]
	s_waitcnt lgkmcnt(0)
	v_fma_f64 v[59:60], -v[27:28], v[59:60], v[71:72]
	v_fma_f64 v[63:64], -v[39:40], v[61:62], v[67:68]
	;; [unrolled: 1-line block ×3, first 2 shown]
	v_mov_b32_e32 v79, s33
	s_add_i32 s33, s31, s20
	ds_write_b64 v99, v[27:28]
	s_lshl_b32 s29, s29, 9
	v_add_u32_e32 v111, s21, v65
	v_fma_f64 v[71:72], -v[29:30], v[93:94], v[59:60]
	v_mov_b32_e32 v59, s33
	v_fma_f64 v[67:68], -v[17:18], v[73:74], v[67:68]
	ds_read2_b64 v[59:62], v59 offset1:1
	s_add_i32 s33, s31, s21
	v_mov_b32_e32 v80, s33
	ds_read2_b64 v[83:86], v80 offset1:1
	s_sub_i32 s33, s8, 21
	s_waitcnt lgkmcnt(1)
	v_fma_f64 v[71:72], -v[31:32], v[61:62], v[71:72]
	s_lshl_b32 s34, s33, 3
	v_fma_f64 v[73:74], -v[19:20], v[75:76], v[67:68]
	s_add_i32 s35, s34, s10
	v_fma_f64 v[97:98], -v[41:42], v[69:70], v[63:64]
	v_mov_b32_e32 v69, s30
	v_mov_b32_e32 v67, s35
	ds_read2_b64 v[61:64], v79 offset1:1
	ds_read_b64 v[99:100], v69
	s_waitcnt lgkmcnt(2)
	v_fma_f64 v[75:76], -v[35:36], v[85:86], v[71:72]
	ds_read2_b64 v[67:70], v67 offset1:1
	v_fma_f64 v[85:86], -v[23:24], v[81:82], v[73:74]
	s_add_i32 s35, s34, s16
	v_mov_b32_e32 v71, s35
	ds_read2_b64 v[71:74], v71 offset1:1
	s_waitcnt lgkmcnt(1)
	v_fma_f64 v[51:52], -v[5:6], v[69:70], v[51:52]
	s_add_i32 s30, s31, s24
	v_mov_b32_e32 v69, s30
	ds_read2_b64 v[79:82], v69 offset1:1
	v_fma_f64 v[57:58], -v[27:28], v[57:58], v[85:86]
	s_add_i32 s30, s31, s23
	v_mov_b32_e32 v69, s30
	s_add_i32 s30, s34, s17
	s_waitcnt lgkmcnt(1)
	v_fma_f64 v[51:52], -v[9:10], v[73:74], v[51:52]
	v_mov_b32_e32 v73, s30
	ds_read2_b64 v[85:88], v69 offset1:1
	s_waitcnt lgkmcnt(1)
	v_fma_f64 v[69:70], -v[39:40], v[81:82], v[75:76]
	v_fma_f64 v[57:58], -v[29:30], v[91:92], v[57:58]
	ds_read2_b64 v[73:76], v73 offset1:1
	s_add_i32 s30, s34, s11
	v_mov_b32_e32 v81, s30
	s_add_i32 s30, s31, s25
	ds_read2_b64 v[91:94], v81 offset1:1
	v_fma_f64 v[55:56], -v[5:6], v[67:68], v[55:56]
	s_waitcnt lgkmcnt(2)
	v_fma_f64 v[69:70], -v[41:42], v[87:88], v[69:70]
	v_fma_f64 v[81:82], -v[31:32], v[59:60], v[57:58]
	v_mov_b32_e32 v57, s30
	ds_read2_b64 v[57:60], v57 offset1:1
	s_waitcnt lgkmcnt(2)
	v_fma_f64 v[75:76], -v[11:12], v[75:76], v[51:52]
	s_add_i32 s30, s34, s12
	v_mov_b32_e32 v87, s30
	v_mul_f64 v[51:52], v[63:64], v[95:96]
	v_fma_f64 v[63:64], -v[45:46], v[89:90], v[97:98]
	ds_read2_b64 v[87:90], v87 offset1:1
	s_add_i32 s30, s34, s13
	s_waitcnt lgkmcnt(1)
	v_fma_f64 v[59:60], -v[45:46], v[59:60], v[69:70]
	v_fma_f64 v[75:76], -v[13:14], v[93:94], v[75:76]
	;; [unrolled: 1-line block ×3, first 2 shown]
	v_mov_b32_e32 v81, s30
	ds_read2_b64 v[81:84], v81 offset1:1
	s_add_i32 s30, s31, s26
	v_fma_f64 v[63:64], -v[49:50], v[77:78], v[63:64]
	v_fma_f64 v[55:56], -v[9:10], v[71:72], v[55:56]
	s_lshl_b32 s33, s33, 9
	s_waitcnt lgkmcnt(1)
	v_fma_f64 v[89:90], -v[15:16], v[89:90], v[75:76]
	v_mov_b32_e32 v75, s30
	s_add_i32 s30, s34, s14
	v_mov_b32_e32 v67, s30
	ds_read2_b64 v[75:78], v75 offset1:1
	ds_read2_b64 v[67:70], v67 offset1:1
	s_add_i32 s30, s34, s15
	v_fma_f64 v[79:80], -v[39:40], v[79:80], v[93:94]
	s_waitcnt lgkmcnt(2)
	v_fma_f64 v[83:84], -v[17:18], v[83:84], v[89:90]
	v_mov_b32_e32 v89, s30
	ds_read2_b64 v[93:96], v89 offset1:1
	s_add_i32 s30, s31, s27
	v_fma_f64 v[55:56], -v[11:12], v[73:74], v[55:56]
	v_fma_f64 v[63:64], -v[51:52], v[61:62], v[63:64]
	v_fma_f64 v[85:86], -v[41:42], v[85:86], v[79:80]
	s_waitcnt lgkmcnt(1)
	v_fma_f64 v[69:70], -v[19:20], v[69:70], v[83:84]
	v_fma_f64 v[83:84], -v[49:50], v[77:78], v[59:60]
	v_mov_b32_e32 v59, s30
	s_add_i32 s30, s34, s18
	v_fma_f64 v[89:90], -v[13:14], v[91:92], v[55:56]
	ds_read2_b64 v[59:62], v59 offset1:1
	v_mul_f64 v[55:56], v[99:100], v[63:64]
	v_fma_f64 v[57:58], -v[45:46], v[57:58], v[85:86]
	s_waitcnt lgkmcnt(1)
	v_fma_f64 v[73:74], -v[23:24], v[95:96], v[69:70]
	v_mov_b32_e32 v69, s30
	ds_read2_b64 v[69:72], v69 offset1:1
	s_add_i32 s30, s34, s19
	v_mov_b32_e32 v77, s30
	ds_read2_b64 v[77:80], v77 offset1:1
	s_add_i32 s30, s31, s28
	v_mov_b32_e32 v63, s30
	s_waitcnt lgkmcnt(1)
	v_fma_f64 v[91:92], -v[27:28], v[71:72], v[73:74]
	s_add_i32 s30, s34, s20
	ds_read2_b64 v[71:74], v63 offset1:1
	v_fma_f64 v[95:96], -v[51:52], v[61:62], v[83:84]
	v_mov_b32_e32 v61, s30
	v_fma_f64 v[87:88], -v[15:16], v[87:88], v[89:90]
	ds_read2_b64 v[61:64], v61 offset1:1
	s_add_i32 s30, s34, s21
	s_waitcnt lgkmcnt(2)
	v_fma_f64 v[79:80], -v[29:30], v[79:80], v[91:92]
	v_mov_b32_e32 v83, s30
	ds_read2_b64 v[83:86], v83 offset1:1
	s_add_i32 s30, s10, 0xffffdc00
	s_add_i32 s35, s31, s30
	v_fma_f64 v[81:82], -v[17:18], v[81:82], v[87:88]
	s_waitcnt lgkmcnt(2)
	v_fma_f64 v[99:100], -v[55:56], v[73:74], v[95:96]
	v_mov_b32_e32 v95, s35
	s_waitcnt lgkmcnt(1)
	v_fma_f64 v[63:64], -v[31:32], v[63:64], v[79:80]
	s_add_i32 s35, s34, s24
	v_mov_b32_e32 v73, s35
	s_add_i32 s35, s34, s23
	v_mov_b32_e32 v79, s35
	v_fma_f64 v[67:68], -v[19:20], v[67:68], v[81:82]
	s_sub_i32 s35, s8, 23
	s_lshl_b32 s36, s35, 3
	s_waitcnt lgkmcnt(0)
	v_fma_f64 v[63:64], -v[35:36], v[85:86], v[63:64]
	s_add_i32 s37, s36, s10
	v_mov_b32_e32 v85, s37
	v_fma_f64 v[57:58], -v[49:50], v[75:76], v[57:58]
	ds_read2_b64 v[73:76], v73 offset1:1
	ds_read2_b64 v[79:82], v79 offset1:1
	;; [unrolled: 1-line block ×3, first 2 shown]
	s_add_i32 s37, s36, s16
	v_fma_f64 v[67:68], -v[23:24], v[93:94], v[67:68]
	s_waitcnt lgkmcnt(2)
	v_fma_f64 v[63:64], -v[39:40], v[75:76], v[63:64]
	v_mov_b32_e32 v75, s37
	ds_read2_b64 v[89:92], v75 offset1:1
	s_waitcnt lgkmcnt(1)
	v_fma_f64 v[53:54], -v[5:6], v[87:88], v[53:54]
	s_add_i32 s37, s36, s17
	s_add_i32 s31, s31, s29
	v_mov_b32_e32 v87, s31
	v_fma_f64 v[75:76], -v[27:28], v[69:70], v[67:68]
	v_fma_f64 v[81:82], -v[41:42], v[81:82], v[63:64]
	v_mov_b32_e32 v63, s37
	ds_read2_b64 v[67:70], v95 offset1:1
	ds_read_b64 v[101:102], v87
	s_waitcnt lgkmcnt(2)
	v_fma_f64 v[53:54], -v[9:10], v[91:92], v[53:54]
	ds_read2_b64 v[91:94], v63 offset1:1
	s_add_i32 s37, s36, s11
	s_add_i32 s31, s34, s25
	v_fma_f64 v[63:64], -v[29:30], v[77:78], v[75:76]
	v_mov_b32_e32 v75, s37
	ds_read2_b64 v[75:78], v75 offset1:1
	v_mov_b32_e32 v87, s31
	s_waitcnt lgkmcnt(1)
	v_fma_f64 v[53:54], -v[11:12], v[93:94], v[53:54]
	ds_read2_b64 v[93:96], v87 offset1:1
	s_add_i32 s31, s34, s26
	v_fma_f64 v[47:48], -v[5:6], v[85:86], v[47:48]
	v_fma_f64 v[87:88], -v[31:32], v[61:62], v[63:64]
	v_mov_b32_e32 v61, s31
	s_add_i32 s31, s36, s12
	s_waitcnt lgkmcnt(0)
	v_fma_f64 v[103:104], -v[45:46], v[95:96], v[81:82]
	v_fma_f64 v[53:54], -v[13:14], v[77:78], v[53:54]
	v_mov_b32_e32 v77, s31
	ds_read2_b64 v[95:98], v77 offset1:1
	s_add_i32 s31, s36, s13
	v_fma_f64 v[77:78], -v[35:36], v[83:84], v[87:88]
	v_mov_b32_e32 v81, s31
	ds_read2_b64 v[81:84], v81 offset1:1
	s_add_i32 s31, s34, s27
	s_waitcnt lgkmcnt(1)
	v_fma_f64 v[87:88], -v[15:16], v[97:98], v[53:54]
	v_mul_f64 v[53:54], v[69:70], v[99:100]
	v_fma_f64 v[69:70], -v[51:52], v[59:60], v[57:58]
	v_mov_b32_e32 v57, s31
	s_add_i32 s31, s36, s14
	v_fma_f64 v[73:74], -v[39:40], v[73:74], v[77:78]
	v_mov_b32_e32 v77, s31
	ds_read2_b64 v[97:100], v77 offset1:1
	s_waitcnt lgkmcnt(1)
	v_fma_f64 v[83:84], -v[17:18], v[83:84], v[87:88]
	ds_read2_b64 v[61:64], v61 offset1:1
	ds_read2_b64 v[57:60], v57 offset1:1
	s_add_i32 s31, s36, s15
	v_mov_b32_e32 v77, s31
	v_fma_f64 v[73:74], -v[41:42], v[79:80], v[73:74]
	s_waitcnt lgkmcnt(1)
	v_fma_f64 v[63:64], -v[49:50], v[63:64], v[103:104]
	ds_read2_b64 v[77:80], v77 offset1:1
	v_fma_f64 v[83:84], -v[19:20], v[99:100], v[83:84]
	s_add_i32 s31, s34, s28
	v_fma_f64 v[99:100], -v[55:56], v[71:72], v[69:70]
	v_mov_b32_e32 v69, s31
	ds_read2_b64 v[69:72], v69 offset1:1
	s_add_i32 s31, s36, s18
	s_waitcnt lgkmcnt(2)
	v_fma_f64 v[59:60], -v[51:52], v[59:60], v[63:64]
	v_fma_f64 v[63:64], -v[45:46], v[93:94], v[73:74]
	s_waitcnt lgkmcnt(1)
	v_fma_f64 v[73:74], -v[23:24], v[79:80], v[83:84]
	v_mov_b32_e32 v79, s31
	ds_read2_b64 v[83:86], v79 offset1:1
	v_fma_f64 v[47:48], -v[9:10], v[89:90], v[47:48]
	s_add_i32 s31, s36, s19
	v_mov_b32_e32 v79, s31
	ds_read2_b64 v[87:90], v79 offset1:1
	s_add_i32 s31, s34, s30
	s_waitcnt lgkmcnt(1)
	v_fma_f64 v[79:80], -v[27:28], v[85:86], v[73:74]
	v_fma_f64 v[93:94], -v[49:50], v[61:62], v[63:64]
	;; [unrolled: 1-line block ×4, first 2 shown]
	v_mov_b32_e32 v59, s31
	s_add_i32 s31, s36, s20
	ds_read2_b64 v[71:74], v59 offset1:1
	v_mov_b32_e32 v59, s31
	s_waitcnt lgkmcnt(1)
	v_fma_f64 v[63:64], -v[29:30], v[89:90], v[79:80]
	ds_read2_b64 v[59:62], v59 offset1:1
	v_fma_f64 v[67:68], -v[53:54], v[67:68], v[99:100]
	v_fma_f64 v[75:76], -v[13:14], v[75:76], v[47:48]
	s_add_i32 s31, s36, s21
	v_mov_b32_e32 v79, s31
	ds_read2_b64 v[89:92], v79 offset1:1
	s_add_i32 s31, s34, s29
	s_waitcnt lgkmcnt(1)
	v_fma_f64 v[79:80], -v[31:32], v[61:62], v[63:64]
	v_mov_b32_e32 v61, s31
	v_mul_f64 v[47:48], v[101:102], v[67:68]
	v_fma_f64 v[67:68], -v[53:54], v[73:74], v[85:86]
	v_fma_f64 v[85:86], -v[15:16], v[95:96], v[75:76]
	s_add_i32 s31, s36, s24
	v_mov_b32_e32 v73, s31
	ds_read2_b64 v[61:64], v61 offset1:1
	ds_read2_b64 v[73:76], v73 offset1:1
	s_waitcnt lgkmcnt(2)
	v_fma_f64 v[91:92], -v[35:36], v[91:92], v[79:80]
	s_add_i32 s31, s36, s23
	v_mov_b32_e32 v79, s31
	v_fma_f64 v[85:86], -v[17:18], v[81:82], v[85:86]
	v_fma_f64 v[57:58], -v[51:52], v[57:58], v[93:94]
	ds_read2_b64 v[79:82], v79 offset1:1
	s_add_i32 s31, s10, 0xffffd800
	s_add_i32 s37, s34, s31
	s_waitcnt lgkmcnt(1)
	v_fma_f64 v[75:76], -v[39:40], v[75:76], v[91:92]
	v_mov_b32_e32 v95, s37
	s_add_i32 s37, s36, s25
	v_fma_f64 v[85:86], -v[19:20], v[97:98], v[85:86]
	v_fma_f64 v[63:64], -v[47:48], v[63:64], v[67:68]
	v_mov_b32_e32 v67, s37
	v_fma_f64 v[57:58], -v[55:56], v[69:70], v[57:58]
	ds_read2_b64 v[67:70], v67 offset1:1
	s_waitcnt lgkmcnt(1)
	v_fma_f64 v[81:82], -v[41:42], v[81:82], v[75:76]
	s_add_i32 s37, s36, s26
	v_mov_b32_e32 v75, s37
	v_fma_f64 v[85:86], -v[23:24], v[77:78], v[85:86]
	s_sub_i32 s37, s8, 25
	s_lshl_b32 s39, s37, 3
	s_add_i32 s38, s39, s10
	ds_read2_b64 v[75:78], v75 offset1:1
	s_waitcnt lgkmcnt(1)
	v_fma_f64 v[69:70], -v[45:46], v[69:70], v[81:82]
	v_mov_b32_e32 v81, s38
	ds_read2_b64 v[91:94], v81 offset1:1
	v_fma_f64 v[85:86], -v[27:28], v[83:84], v[85:86]
	s_add_i32 s38, s39, s16
	v_mov_b32_e32 v81, s38
	ds_read2_b64 v[81:84], v81 offset1:1
	s_waitcnt lgkmcnt(1)
	v_fma_f64 v[43:44], -v[5:6], v[93:94], v[43:44]
	v_fma_f64 v[101:102], -v[53:54], v[71:72], v[57:58]
	s_add_i32 s40, s39, s17
	v_fma_f64 v[77:78], -v[49:50], v[77:78], v[69:70]
	v_fma_f64 v[57:58], -v[29:30], v[87:88], v[85:86]
	v_mov_b32_e32 v69, s40
	ds_read2_b64 v[69:72], v69 offset1:1
	s_add_i32 s40, s39, s11
	s_waitcnt lgkmcnt(1)
	v_fma_f64 v[43:44], -v[9:10], v[83:84], v[43:44]
	s_add_i32 s38, s36, s27
	ds_read2_b64 v[93:96], v95 offset1:1
	s_add_i32 s34, s34, s33
	v_fma_f64 v[87:88], -v[31:32], v[59:60], v[57:58]
	v_mov_b32_e32 v57, s40
	ds_read2_b64 v[57:60], v57 offset1:1
	v_add_u32_e32 v103, s19, v65
	s_waitcnt lgkmcnt(2)
	v_fma_f64 v[43:44], -v[11:12], v[71:72], v[43:44]
	v_mov_b32_e32 v71, s38
	ds_read2_b64 v[83:86], v71 offset1:1
	s_add_i32 s38, s36, s28
	v_fma_f64 v[71:72], -v[35:36], v[89:90], v[87:88]
	v_mov_b32_e32 v87, s38
	s_add_i32 s38, s39, s12
	ds_read2_b64 v[87:90], v87 offset1:1
	s_waitcnt lgkmcnt(2)
	v_fma_f64 v[43:44], -v[13:14], v[59:60], v[43:44]
	v_mov_b32_e32 v59, s38
	ds_read2_b64 v[97:100], v59 offset1:1
	s_waitcnt lgkmcnt(2)
	v_fma_f64 v[77:78], -v[51:52], v[85:86], v[77:78]
	v_fma_f64 v[59:60], -v[39:40], v[73:74], v[71:72]
	s_add_i32 s38, s39, s13
	v_mov_b32_e32 v71, s38
	ds_read2_b64 v[71:74], v71 offset1:1
	s_waitcnt lgkmcnt(1)
	v_fma_f64 v[85:86], -v[15:16], v[99:100], v[43:44]
	v_mov_b32_e32 v43, s34
	ds_read_b64 v[105:106], v43
	v_mul_f64 v[43:44], v[95:96], v[63:64]
	v_fma_f64 v[63:64], -v[41:42], v[79:80], v[59:60]
	s_add_i32 s38, s39, s14
	v_mov_b32_e32 v59, s38
	v_fma_f64 v[95:96], -v[47:48], v[61:62], v[101:102]
	s_waitcnt lgkmcnt(1)
	v_fma_f64 v[73:74], -v[17:18], v[73:74], v[85:86]
	ds_read2_b64 v[59:62], v59 offset1:1
	s_add_i32 s38, s39, s15
	v_fma_f64 v[89:90], -v[55:56], v[89:90], v[77:78]
	v_fma_f64 v[67:68], -v[45:46], v[67:68], v[63:64]
	v_mov_b32_e32 v63, s38
	ds_read2_b64 v[77:80], v63 offset1:1
	s_add_i32 s34, s36, s30
	s_waitcnt lgkmcnt(1)
	v_fma_f64 v[85:86], -v[19:20], v[61:62], v[73:74]
	v_mov_b32_e32 v61, s34
	s_add_i32 s34, s36, s29
	v_mov_b32_e32 v73, s34
	v_fma_f64 v[67:68], -v[49:50], v[75:76], v[67:68]
	s_add_i32 s34, s39, s18
	ds_read2_b64 v[61:64], v61 offset1:1
	ds_read2_b64 v[73:76], v73 offset1:1
	s_waitcnt lgkmcnt(2)
	v_fma_f64 v[79:80], -v[23:24], v[79:80], v[85:86]
	v_mov_b32_e32 v85, s34
	ds_read2_b64 v[99:102], v85 offset1:1
	s_waitcnt lgkmcnt(2)
	v_fma_f64 v[63:64], -v[53:54], v[63:64], v[89:90]
	v_fma_f64 v[67:68], -v[51:52], v[83:84], v[67:68]
	s_add_i32 s34, s39, s19
	v_mov_b32_e32 v83, s34
	ds_read2_b64 v[83:86], v83 offset1:1
	s_waitcnt lgkmcnt(1)
	v_fma_f64 v[79:80], -v[27:28], v[101:102], v[79:80]
	s_add_i32 s34, s36, s31
	v_fma_f64 v[89:90], -v[43:44], v[93:94], v[95:96]
	v_fma_f64 v[63:64], -v[47:48], v[75:76], v[63:64]
	v_mov_b32_e32 v75, s34
	s_add_i32 s34, s39, s20
	ds_read2_b64 v[93:96], v75 offset1:1
	v_fma_f64 v[67:68], -v[55:56], v[87:88], v[67:68]
	s_waitcnt lgkmcnt(1)
	v_fma_f64 v[75:76], -v[29:30], v[85:86], v[79:80]
	v_mov_b32_e32 v79, s34
	s_add_i32 s34, s39, s21
	ds_read2_b64 v[85:88], v79 offset1:1
	v_mov_b32_e32 v79, s34
	ds_write_b64 v103, v[29:30]
	ds_read2_b64 v[101:104], v79 offset1:1
	v_fma_f64 v[79:80], -v[5:6], v[91:92], v[37:38]
	s_waitcnt lgkmcnt(2)
	v_fma_f64 v[75:76], -v[31:32], v[87:88], v[75:76]
	v_fma_f64 v[91:92], -v[43:44], v[95:96], v[63:64]
	;; [unrolled: 1-line block ×3, first 2 shown]
	s_add_i32 s34, s36, s33
	v_mov_b32_e32 v87, s34
	s_add_i32 s34, s39, s24
	v_mov_b32_e32 v61, s34
	v_fma_f64 v[95:96], -v[9:10], v[81:82], v[79:80]
	s_waitcnt lgkmcnt(0)
	v_fma_f64 v[75:76], -v[35:36], v[103:104], v[75:76]
	ds_read2_b64 v[61:64], v61 offset1:1
	s_add_i32 s40, s39, s25
	s_add_i32 s34, s39, s23
	v_mov_b32_e32 v79, s34
	v_mul_f64 v[37:38], v[105:106], v[89:90]
	ds_read2_b64 v[87:90], v87 offset1:1
	ds_read2_b64 v[79:82], v79 offset1:1
	v_fma_f64 v[69:70], -v[11:12], v[69:70], v[95:96]
	v_fma_f64 v[95:96], -v[47:48], v[73:74], v[67:68]
	v_mov_b32_e32 v67, s40
	s_add_i32 s34, s10, 0xffffd400
	s_lshl_b32 s35, s35, 9
	s_add_i32 s38, s36, s34
	s_add_i32 s36, s36, s35
	v_mov_b32_e32 v109, s36
	v_fma_f64 v[57:58], -v[13:14], v[57:58], v[69:70]
	ds_read2_b64 v[67:70], v67 offset1:1
	s_waitcnt lgkmcnt(3)
	v_fma_f64 v[63:64], -v[39:40], v[63:64], v[75:76]
	s_sub_i32 s36, s8, 27
	s_add_i32 s40, s39, s26
	s_lshl_b32 s42, s36, 3
	v_add_u32_e32 v75, s20, v65
	v_mov_b32_e32 v73, s40
	v_fma_f64 v[57:58], -v[15:16], v[97:98], v[57:58]
	s_add_i32 s40, s42, s10
	s_waitcnt lgkmcnt(1)
	v_fma_f64 v[63:64], -v[41:42], v[81:82], v[63:64]
	ds_write_b64 v75, v[31:32]
	v_fma_f64 v[107:108], -v[37:38], v[89:90], v[91:92]
	ds_read2_b64 v[73:76], v73 offset1:1
	v_fma_f64 v[81:82], -v[43:44], v[93:94], v[95:96]
	ds_read_b64 v[109:110], v109
	v_fma_f64 v[57:58], -v[17:18], v[71:72], v[57:58]
	s_lshl_b32 s37, s37, 9
	s_waitcnt lgkmcnt(3)
	v_fma_f64 v[63:64], -v[45:46], v[69:70], v[63:64]
	v_mov_b32_e32 v69, s38
	ds_read2_b64 v[89:92], v69 offset1:1
	v_mov_b32_e32 v69, s40
	ds_read2_b64 v[69:72], v69 offset1:1
	s_add_i32 s40, s42, s16
	s_add_i32 s38, s39, s27
	v_fma_f64 v[87:88], -v[37:38], v[87:88], v[81:82]
	s_waitcnt lgkmcnt(3)
	v_fma_f64 v[63:64], -v[49:50], v[75:76], v[63:64]
	v_fma_f64 v[75:76], -v[19:20], v[59:60], v[57:58]
	v_mov_b32_e32 v57, s40
	ds_read2_b64 v[57:60], v57 offset1:1
	s_waitcnt lgkmcnt(1)
	v_fma_f64 v[33:34], -v[5:6], v[71:72], v[33:34]
	v_mov_b32_e32 v71, s38
	ds_read2_b64 v[93:96], v71 offset1:1
	s_add_i32 s38, s39, s28
	v_fma_f64 v[25:26], -v[5:6], v[69:70], v[25:26]
	v_fma_f64 v[71:72], -v[23:24], v[77:78], v[75:76]
	v_mov_b32_e32 v75, s38
	s_add_i32 s38, s42, s17
	s_waitcnt lgkmcnt(1)
	v_fma_f64 v[33:34], -v[9:10], v[59:60], v[33:34]
	v_mov_b32_e32 v59, s38
	ds_read2_b64 v[75:78], v75 offset1:1
	s_waitcnt lgkmcnt(1)
	v_fma_f64 v[63:64], -v[51:52], v[95:96], v[63:64]
	ds_read2_b64 v[95:98], v59 offset1:1
	s_add_i32 s38, s42, s11
	v_fma_f64 v[59:60], -v[27:28], v[99:100], v[71:72]
	v_mov_b32_e32 v71, s38
	ds_read2_b64 v[103:106], v71 offset1:1
	s_waitcnt lgkmcnt(1)
	v_fma_f64 v[71:72], -v[11:12], v[97:98], v[33:34]
	s_add_i32 s38, s39, s30
	v_fma_f64 v[63:64], -v[55:56], v[77:78], v[63:64]
	v_mul_f64 v[33:34], v[91:92], v[107:108]
	v_mov_b32_e32 v91, s38
	s_add_i32 s38, s42, s12
	v_fma_f64 v[59:60], -v[29:30], v[83:84], v[59:60]
	ds_read2_b64 v[97:100], v91 offset1:1
	s_waitcnt lgkmcnt(1)
	v_fma_f64 v[77:78], -v[13:14], v[105:106], v[71:72]
	v_mov_b32_e32 v71, s38
	ds_read2_b64 v[81:84], v71 offset1:1
	v_fma_f64 v[25:26], -v[9:10], v[57:58], v[25:26]
	s_add_i32 s38, s42, s13
	v_mov_b32_e32 v69, s38
	ds_read2_b64 v[69:72], v69 offset1:1
	s_add_i32 s38, s39, s29
	s_waitcnt lgkmcnt(1)
	v_fma_f64 v[77:78], -v[15:16], v[83:84], v[77:78]
	v_mov_b32_e32 v83, s38
	s_add_i32 s38, s42, s14
	v_mov_b32_e32 v57, s38
	v_fma_f64 v[91:92], -v[31:32], v[85:86], v[59:60]
	ds_read2_b64 v[57:60], v57 offset1:1
	v_fma_f64 v[25:26], -v[11:12], v[95:96], v[25:26]
	s_add_i32 s38, s42, s15
	s_waitcnt lgkmcnt(1)
	v_fma_f64 v[71:72], -v[17:18], v[71:72], v[77:78]
	v_mov_b32_e32 v77, s38
	ds_read2_b64 v[105:108], v83 offset1:1
	ds_read2_b64 v[83:86], v77 offset1:1
	s_add_i32 s38, s39, s31
	v_fma_f64 v[77:78], -v[33:34], v[89:90], v[87:88]
	v_fma_f64 v[25:26], -v[13:14], v[103:104], v[25:26]
	;; [unrolled: 1-line block ×3, first 2 shown]
	s_waitcnt lgkmcnt(2)
	v_fma_f64 v[59:60], -v[19:20], v[59:60], v[71:72]
	v_mov_b32_e32 v71, s38
	s_add_i32 s38, s42, s18
	v_mov_b32_e32 v72, s38
	v_fma_f64 v[95:96], -v[35:36], v[101:102], v[91:92]
	ds_read2_b64 v[99:102], v71 offset1:1
	v_fma_f64 v[25:26], -v[15:16], v[81:82], v[25:26]
	s_add_i32 s38, s42, s19
	s_waitcnt lgkmcnt(1)
	v_fma_f64 v[59:60], -v[23:24], v[85:86], v[59:60]
	ds_read2_b64 v[85:88], v72 offset1:1
	v_mov_b32_e32 v72, s38
	ds_read2_b64 v[89:92], v72 offset1:1
	v_fma_f64 v[63:64], -v[47:48], v[107:108], v[63:64]
	s_add_i32 s38, s39, s33
	v_fma_f64 v[25:26], -v[17:18], v[69:70], v[25:26]
	v_mov_b32_e32 v71, s38
	s_waitcnt lgkmcnt(1)
	v_fma_f64 v[59:60], -v[27:28], v[87:88], v[59:60]
	s_add_i32 s38, s42, s20
	v_fma_f64 v[81:82], -v[39:40], v[61:62], v[95:96]
	ds_read2_b64 v[69:72], v71 offset1:1
	v_fma_f64 v[63:64], -v[43:44], v[101:102], v[63:64]
	ds_write_b64 v111, v[35:36]
	v_fma_f64 v[57:58], -v[19:20], v[57:58], v[25:26]
	s_waitcnt lgkmcnt(2)
	v_fma_f64 v[87:88], -v[29:30], v[91:92], v[59:60]
	v_mov_b32_e32 v59, s38
	ds_read2_b64 v[59:62], v59 offset1:1
	s_add_i32 s38, s42, s21
	v_mov_b32_e32 v25, s38
	ds_read2_b64 v[101:104], v25 offset1:1
	v_fma_f64 v[57:58], -v[23:24], v[83:84], v[57:58]
	s_add_i32 s38, s39, s34
	s_waitcnt lgkmcnt(1)
	v_fma_f64 v[61:62], -v[31:32], v[61:62], v[87:88]
	v_fma_f64 v[87:88], -v[37:38], v[71:72], v[63:64]
	;; [unrolled: 1-line block ×3, first 2 shown]
	v_mov_b32_e32 v83, s38
	s_add_i32 s38, s42, s24
	v_mul_f64 v[25:26], v[109:110], v[77:78]
	v_fma_f64 v[57:58], -v[27:28], v[85:86], v[57:58]
	s_waitcnt lgkmcnt(0)
	v_fma_f64 v[81:82], -v[35:36], v[103:104], v[61:62]
	v_mov_b32_e32 v61, s38
	ds_read2_b64 v[61:64], v61 offset1:1
	s_add_i32 s38, s42, s23
	v_fma_f64 v[67:68], -v[45:46], v[67:68], v[71:72]
	v_mov_b32_e32 v71, s38
	ds_read2_b64 v[77:80], v71 offset1:1
	v_fma_f64 v[57:58], -v[29:30], v[89:90], v[57:58]
	s_waitcnt lgkmcnt(1)
	v_fma_f64 v[63:64], -v[39:40], v[63:64], v[81:82]
	ds_read2_b64 v[81:84], v83 offset1:1
	s_add_i32 s38, s39, s35
	v_mov_b32_e32 v71, s38
	v_fma_f64 v[67:68], -v[49:50], v[73:74], v[67:68]
	s_add_i32 s38, s42, s25
	s_waitcnt lgkmcnt(0)
	v_fma_f64 v[91:92], -v[33:34], v[83:84], v[87:88]
	v_fma_f64 v[57:58], -v[31:32], v[59:60], v[57:58]
	;; [unrolled: 1-line block ×3, first 2 shown]
	v_mov_b32_e32 v79, s38
	ds_read2_b64 v[83:86], v79 offset1:1
	s_add_i32 s38, s42, s26
	v_fma_f64 v[59:60], -v[51:52], v[93:94], v[67:68]
	v_mov_b32_e32 v67, s38
	ds_read2_b64 v[71:74], v71 offset1:1
	ds_read2_b64 v[87:90], v67 offset1:1
	s_waitcnt lgkmcnt(2)
	v_fma_f64 v[63:64], -v[45:46], v[85:86], v[63:64]
	v_fma_f64 v[57:58], -v[35:36], v[101:102], v[57:58]
	s_add_i32 s38, s10, 0xffffd000
	s_add_i32 s39, s39, s38
	v_fma_f64 v[79:80], -v[55:56], v[75:76], v[59:60]
	v_mov_b32_e32 v59, s39
	s_add_i32 s39, s42, s27
	s_waitcnt lgkmcnt(1)
	v_fma_f64 v[67:68], -v[25:26], v[73:74], v[91:92]
	s_waitcnt lgkmcnt(0)
	v_fma_f64 v[63:64], -v[49:50], v[89:90], v[63:64]
	v_fma_f64 v[57:58], -v[39:40], v[61:62], v[57:58]
	ds_read2_b64 v[73:76], v59 offset1:1
	v_mov_b32_e32 v59, s39
	ds_read2_b64 v[59:62], v59 offset1:1
	v_fma_f64 v[79:80], -v[53:54], v[97:98], v[79:80]
	s_add_i32 s39, s42, s28
	v_mov_b32_e32 v85, s39
	s_mul_i32 s39, s8, 0x208
	s_waitcnt lgkmcnt(0)
	v_fma_f64 v[61:62], -v[51:52], v[61:62], v[63:64]
	v_fma_f64 v[63:64], -v[41:42], v[77:78], v[57:58]
	ds_read2_b64 v[89:92], v85 offset1:1
	s_add_i32 s40, s39, 0xffffcd38
	v_mov_b32_e32 v57, s40
	s_add_i32 s40, s42, s30
	ds_read_b64 v[95:96], v57
	v_mul_f64 v[57:58], v[75:76], v[67:68]
	v_fma_f64 v[67:68], -v[47:48], v[105:106], v[79:80]
	v_fma_f64 v[75:76], -v[45:46], v[83:84], v[63:64]
	v_mov_b32_e32 v83, s40
	s_sub_i32 s40, s8, 29
	s_lshl_b32 s41, s40, 3
	s_add_i32 s43, s41, s10
	s_waitcnt lgkmcnt(1)
	v_fma_f64 v[79:80], -v[55:56], v[91:92], v[61:62]
	v_mov_b32_e32 v61, s43
	ds_read2_b64 v[61:64], v61 offset1:1
	s_add_i32 s43, s41, s16
	v_fma_f64 v[87:88], -v[49:50], v[87:88], v[75:76]
	v_mov_b32_e32 v75, s43
	ds_read2_b64 v[75:78], v75 offset1:1
	s_waitcnt lgkmcnt(1)
	v_fma_f64 v[21:22], -v[5:6], v[63:64], v[21:22]
	ds_read2_b64 v[83:86], v83 offset1:1
	s_add_i32 s43, s42, s29
	v_fma_f64 v[63:64], -v[43:44], v[99:100], v[67:68]
	v_mov_b32_e32 v67, s43
	s_add_i32 s43, s41, s17
	ds_read2_b64 v[91:94], v67 offset1:1
	s_waitcnt lgkmcnt(1)
	v_fma_f64 v[67:68], -v[53:54], v[85:86], v[79:80]
	v_fma_f64 v[21:22], -v[9:10], v[77:78], v[21:22]
	v_fma_f64 v[85:86], -v[51:52], v[59:60], v[87:88]
	v_mov_b32_e32 v59, s43
	ds_read2_b64 v[77:80], v59 offset1:1
	v_fma_f64 v[7:8], -v[5:6], v[61:62], v[7:8]
	s_add_i32 s43, s41, s11
	v_mov_b32_e32 v59, s43
	ds_read2_b64 v[59:62], v59 offset1:1
	s_waitcnt lgkmcnt(1)
	v_fma_f64 v[21:22], -v[11:12], v[79:80], v[21:22]
	s_add_i32 s43, s42, s31
	v_fma_f64 v[79:80], -v[37:38], v[69:70], v[63:64]
	v_mov_b32_e32 v63, s43
	v_fma_f64 v[7:8], -v[9:10], v[75:76], v[7:8]
	v_fma_f64 v[87:88], -v[47:48], v[93:94], v[67:68]
	ds_read2_b64 v[67:70], v63 offset1:1
	s_add_i32 s43, s41, s12
	s_waitcnt lgkmcnt(1)
	v_fma_f64 v[21:22], -v[13:14], v[61:62], v[21:22]
	v_mov_b32_e32 v61, s43
	ds_read2_b64 v[61:64], v61 offset1:1
	v_fma_f64 v[85:86], -v[55:56], v[89:90], v[85:86]
	v_fma_f64 v[7:8], -v[11:12], v[77:78], v[7:8]
	s_add_i32 s43, s41, s13
	v_mov_b32_e32 v75, s43
	ds_read2_b64 v[75:78], v75 offset1:1
	s_waitcnt lgkmcnt(1)
	v_fma_f64 v[21:22], -v[15:16], v[63:64], v[21:22]
	s_add_i32 s43, s42, s33
	v_fma_f64 v[63:64], -v[33:34], v[81:82], v[79:80]
	v_mov_b32_e32 v79, s43
	s_add_i32 s43, s41, s14
	v_fma_f64 v[7:8], -v[13:14], v[59:60], v[7:8]
	v_mov_b32_e32 v59, s43
	v_fma_f64 v[69:70], -v[43:44], v[69:70], v[87:88]
	v_fma_f64 v[87:88], -v[53:54], v[83:84], v[85:86]
	ds_read2_b64 v[83:86], v59 offset1:1
	s_waitcnt lgkmcnt(1)
	v_fma_f64 v[21:22], -v[17:18], v[77:78], v[21:22]
	s_add_i32 s43, s41, s15
	v_mov_b32_e32 v59, s43
	v_fma_f64 v[7:8], -v[15:16], v[61:62], v[7:8]
	ds_read2_b64 v[79:82], v79 offset1:1
	ds_read2_b64 v[59:62], v59 offset1:1
	s_add_i32 s43, s42, s34
	v_fma_f64 v[87:88], -v[47:48], v[91:92], v[87:88]
	s_waitcnt lgkmcnt(2)
	v_fma_f64 v[21:22], -v[19:20], v[85:86], v[21:22]
	v_fma_f64 v[85:86], -v[25:26], v[71:72], v[63:64]
	v_mov_b32_e32 v63, s43
	v_fma_f64 v[7:8], -v[17:18], v[75:76], v[7:8]
	s_waitcnt lgkmcnt(1)
	v_fma_f64 v[89:90], -v[37:38], v[81:82], v[69:70]
	ds_read2_b64 v[69:72], v63 offset1:1
	s_add_i32 s43, s41, s18
	v_fma_f64 v[67:68], -v[43:44], v[67:68], v[87:88]
	s_waitcnt lgkmcnt(1)
	v_fma_f64 v[21:22], -v[23:24], v[61:62], v[21:22]
	v_mov_b32_e32 v61, s43
	ds_read2_b64 v[61:64], v61 offset1:1
	v_fma_f64 v[7:8], -v[19:20], v[83:84], v[7:8]
	s_add_i32 s43, s41, s19
	v_mov_b32_e32 v75, s43
	ds_read2_b64 v[75:78], v75 offset1:1
	s_add_i32 s43, s42, s35
	s_waitcnt lgkmcnt(1)
	v_fma_f64 v[21:22], -v[27:28], v[63:64], v[21:22]
	v_fma_f64 v[63:64], -v[57:58], v[73:74], v[85:86]
	v_mov_b32_e32 v73, s43
	s_add_i32 s43, s41, s20
	v_fma_f64 v[7:8], -v[23:24], v[59:60], v[7:8]
	v_mov_b32_e32 v59, s43
	ds_read2_b64 v[81:84], v73 offset1:1
	v_fma_f64 v[85:86], -v[33:34], v[71:72], v[89:90]
	ds_read2_b64 v[71:74], v59 offset1:1
	s_waitcnt lgkmcnt(2)
	v_fma_f64 v[21:22], -v[29:30], v[77:78], v[21:22]
	s_add_i32 s43, s41, s21
	v_mov_b32_e32 v59, s43
	v_fma_f64 v[77:78], -v[27:28], v[61:62], v[7:8]
	ds_read2_b64 v[59:62], v59 offset1:1
	s_add_i32 s43, s42, s38
	v_mul_f64 v[7:8], v[95:96], v[63:64]
	v_mov_b32_e32 v63, s43
	s_waitcnt lgkmcnt(1)
	v_fma_f64 v[21:22], -v[31:32], v[73:74], v[21:22]
	v_fma_f64 v[87:88], -v[25:26], v[83:84], v[85:86]
	ds_read2_b64 v[83:86], v63 offset1:1
	v_fma_f64 v[73:74], -v[29:30], v[75:76], v[77:78]
	s_add_i32 s43, s41, s24
	v_fma_f64 v[67:68], -v[37:38], v[79:80], v[67:68]
	s_waitcnt lgkmcnt(1)
	v_fma_f64 v[21:22], -v[35:36], v[61:62], v[21:22]
	v_mov_b32_e32 v61, s43
	ds_read2_b64 v[61:64], v61 offset1:1
	s_add_i32 s43, s41, s23
	v_mov_b32_e32 v75, s43
	v_fma_f64 v[79:80], -v[31:32], v[71:72], v[73:74]
	ds_read2_b64 v[71:74], v75 offset1:1
	s_add_i32 s43, s42, s37
	s_waitcnt lgkmcnt(1)
	v_fma_f64 v[21:22], -v[39:40], v[63:64], v[21:22]
	v_mov_b32_e32 v63, s43
	s_add_i32 s43, s41, s25
	ds_read2_b64 v[75:78], v63 offset1:1
	v_fma_f64 v[59:60], -v[35:36], v[59:60], v[79:80]
	v_fma_f64 v[79:80], -v[33:34], v[69:70], v[67:68]
	v_mov_b32_e32 v67, s43
	s_waitcnt lgkmcnt(1)
	v_fma_f64 v[21:22], -v[41:42], v[73:74], v[21:22]
	ds_read2_b64 v[67:70], v67 offset1:1
	s_add_i32 s43, s41, s26
	v_fma_f64 v[63:64], -v[57:58], v[85:86], v[87:88]
	v_mov_b32_e32 v85, s43
	v_fma_f64 v[73:74], -v[39:40], v[61:62], v[59:60]
	ds_read2_b64 v[59:62], v85 offset1:1
	s_add_i32 s43, s10, 0xffffcc00
	s_waitcnt lgkmcnt(1)
	v_fma_f64 v[21:22], -v[45:46], v[69:70], v[21:22]
	s_add_i32 s42, s42, s43
	v_mov_b32_e32 v88, s42
	s_add_i32 s42, s41, s27
	v_fma_f64 v[85:86], -v[7:8], v[77:78], v[63:64]
	v_fma_f64 v[69:70], -v[41:42], v[71:72], v[73:74]
	;; [unrolled: 1-line block ×3, first 2 shown]
	v_add_u32_e32 v87, s24, v65
	s_waitcnt lgkmcnt(0)
	v_fma_f64 v[21:22], -v[49:50], v[61:62], v[21:22]
	v_mov_b32_e32 v61, s42
	ds_read2_b64 v[61:64], v61 offset1:1
	s_add_i32 s42, s41, s28
	v_mov_b32_e32 v71, s42
	s_sub_i32 s42, s8, 31
	s_lshl_b32 s44, s42, 3
	s_add_i32 s45, s44, s10
	v_fma_f64 v[77:78], -v[45:46], v[67:68], v[69:70]
	ds_read2_b64 v[67:70], v71 offset1:1
	s_waitcnt lgkmcnt(1)
	v_fma_f64 v[21:22], -v[51:52], v[63:64], v[21:22]
	v_mov_b32_e32 v63, s45
	ds_read2_b64 v[71:74], v63 offset1:1
	s_add_i32 s16, s44, s16
	v_mov_b32_e32 v63, s16
	s_add_i32 s16, s39, 0xffffc928
	v_fma_f64 v[59:60], -v[49:50], v[59:60], v[77:78]
	s_waitcnt lgkmcnt(0)
	v_fma_f64 v[3:4], -v[5:6], v[73:74], v[3:4]
	ds_read2_b64 v[77:80], v63 offset1:1
	v_fma_f64 v[73:74], -v[57:58], v[83:84], v[81:82]
	v_mov_b32_e32 v83, s16
	s_add_i32 s16, s41, s30
	v_fma_f64 v[5:6], -v[5:6], v[71:72], v[1:2]
	v_fma_f64 v[21:22], -v[55:56], v[69:70], v[21:22]
	v_mov_b32_e32 v69, s16
	s_waitcnt lgkmcnt(0)
	v_fma_f64 v[63:64], -v[9:10], v[79:80], v[3:4]
	s_add_i32 s16, s44, s17
	v_mov_b32_e32 v3, s16
	v_fma_f64 v[81:82], -v[51:52], v[61:62], v[59:60]
	ds_read2_b64 v[59:62], v3 offset1:1
	v_fma_f64 v[9:10], -v[9:10], v[77:78], v[5:6]
	s_add_i32 s11, s44, s11
	v_mov_b32_e32 v1, s11
	ds_read2_b64 v[1:4], v1 offset1:1
	s_waitcnt lgkmcnt(1)
	v_fma_f64 v[79:80], -v[11:12], v[61:62], v[63:64]
	ds_read2_b64 v[61:64], v69 offset1:1
	s_add_i32 s11, s41, s29
	v_mov_b32_e32 v69, s11
	v_fma_f64 v[59:60], -v[11:12], v[59:60], v[9:10]
	s_add_i32 s11, s44, s12
	s_waitcnt lgkmcnt(0)
	v_fma_f64 v[21:22], -v[53:54], v[63:64], v[21:22]
	v_fma_f64 v[63:64], -v[55:56], v[67:68], v[81:82]
	;; [unrolled: 1-line block ×3, first 2 shown]
	v_mov_b32_e32 v3, s11
	ds_read2_b64 v[3:6], v3 offset1:1
	s_add_i32 s11, s44, s13
	v_mov_b32_e32 v9, s11
	ds_read2_b64 v[9:12], v9 offset1:1
	v_fma_f64 v[1:2], -v[13:14], v[1:2], v[59:60]
	ds_read2_b64 v[69:72], v69 offset1:1
	s_waitcnt lgkmcnt(2)
	v_fma_f64 v[5:6], -v[15:16], v[5:6], v[67:68]
	s_add_i32 s11, s41, s31
	ds_read2_b64 v[77:80], v88 offset1:1
	ds_read_b64 v[67:68], v83
	v_fma_f64 v[63:64], -v[53:54], v[61:62], v[63:64]
	s_waitcnt lgkmcnt(2)
	v_fma_f64 v[21:22], -v[47:48], v[71:72], v[21:22]
	v_mov_b32_e32 v71, s11
	v_fma_f64 v[59:60], -v[15:16], v[3:4], v[1:2]
	s_add_i32 s11, s44, s14
	v_fma_f64 v[5:6], -v[17:18], v[11:12], v[5:6]
	v_mov_b32_e32 v11, s11
	ds_read2_b64 v[11:14], v11 offset1:1
	s_add_i32 s11, s44, s15
	v_mov_b32_e32 v1, s11
	ds_read2_b64 v[1:4], v1 offset1:1
	v_fma_f64 v[9:10], -v[17:18], v[9:10], v[59:60]
	s_add_i32 s11, s41, s33
	s_waitcnt lgkmcnt(1)
	v_fma_f64 v[5:6], -v[19:20], v[13:14], v[5:6]
	ds_read2_b64 v[13:16], v71 offset1:1
	v_mov_b32_e32 v61, s11
	ds_read2_b64 v[59:62], v61 offset1:1
	s_add_i32 s11, s44, s18
	v_fma_f64 v[17:18], -v[47:48], v[69:70], v[63:64]
	s_waitcnt lgkmcnt(1)
	v_fma_f64 v[15:16], -v[43:44], v[15:16], v[21:22]
	v_fma_f64 v[19:20], -v[19:20], v[11:12], v[9:10]
	;; [unrolled: 1-line block ×3, first 2 shown]
	v_mov_b32_e32 v3, s11
	ds_read2_b64 v[3:6], v3 offset1:1
	s_add_i32 s11, s44, s19
	v_mov_b32_e32 v9, s11
	ds_read2_b64 v[9:12], v9 offset1:1
	s_add_i32 s11, s41, s34
	v_fma_f64 v[1:2], -v[23:24], v[1:2], v[19:20]
	s_waitcnt lgkmcnt(1)
	v_fma_f64 v[5:6], -v[27:28], v[5:6], v[21:22]
	v_fma_f64 v[23:24], -v[43:44], v[13:14], v[17:18]
	;; [unrolled: 1-line block ×3, first 2 shown]
	v_mov_b32_e32 v15, s11
	s_add_i32 s11, s44, s20
	v_mul_f64 v[63:64], v[79:80], v[85:86]
	v_fma_f64 v[21:22], -v[7:8], v[75:76], v[73:74]
	v_fma_f64 v[17:18], -v[27:28], v[3:4], v[1:2]
	s_waitcnt lgkmcnt(0)
	v_fma_f64 v[5:6], -v[29:30], v[11:12], v[5:6]
	v_mov_b32_e32 v11, s11
	ds_read2_b64 v[11:14], v11 offset1:1
	s_add_i32 s11, s44, s21
	v_mov_b32_e32 v1, s11
	ds_read2_b64 v[1:4], v1 offset1:1
	s_add_i32 s11, s41, s35
	v_fma_f64 v[9:10], -v[29:30], v[9:10], v[17:18]
	s_waitcnt lgkmcnt(1)
	v_fma_f64 v[5:6], -v[31:32], v[13:14], v[5:6]
	v_mov_b32_e32 v19, s11
	s_add_i32 s11, s44, s24
	ds_read2_b64 v[13:16], v15 offset1:1
	ds_read2_b64 v[17:20], v19 offset1:1
	v_fma_f64 v[23:24], -v[37:38], v[59:60], v[23:24]
	s_add_i32 s12, s41, s43
	v_fma_f64 v[29:30], -v[31:32], v[11:12], v[9:10]
	s_waitcnt lgkmcnt(2)
	v_fma_f64 v[27:28], -v[35:36], v[3:4], v[5:6]
	v_mov_b32_e32 v3, s11
	ds_read2_b64 v[3:6], v3 offset1:1
	s_add_i32 s11, s44, s23
	v_mov_b32_e32 v9, s11
	s_waitcnt lgkmcnt(2)
	v_fma_f64 v[15:16], -v[33:34], v[15:16], v[61:62]
	ds_read2_b64 v[9:12], v9 offset1:1
	v_fma_f64 v[1:2], -v[35:36], v[1:2], v[29:30]
	s_waitcnt lgkmcnt(1)
	v_fma_f64 v[5:6], -v[39:40], v[5:6], v[27:28]
	s_add_i32 s11, s41, s38
	v_fma_f64 v[23:24], -v[33:34], v[13:14], v[23:24]
	v_fma_f64 v[27:28], -v[63:64], v[77:78], v[21:22]
	ds_write_b64 v87, v[39:40]
	v_fma_f64 v[31:32], -v[25:26], v[19:20], v[15:16]
	v_mov_b32_e32 v15, s11
	v_fma_f64 v[19:20], -v[39:40], v[3:4], v[1:2]
	s_waitcnt lgkmcnt(1)
	v_fma_f64 v[5:6], -v[41:42], v[11:12], v[5:6]
	s_add_i32 s11, s44, s25
	v_mov_b32_e32 v11, s11
	ds_read2_b64 v[11:14], v11 offset1:1
	s_add_i32 s11, s44, s26
	v_mov_b32_e32 v1, s11
	ds_read2_b64 v[1:4], v1 offset1:1
	v_fma_f64 v[9:10], -v[41:42], v[9:10], v[19:20]
	s_waitcnt lgkmcnt(1)
	v_fma_f64 v[5:6], -v[45:46], v[13:14], v[5:6]
	s_add_i32 s11, s41, s37
	v_fma_f64 v[17:18], -v[25:26], v[17:18], v[23:24]
	v_mov_b32_e32 v21, s11
	s_add_i32 s11, s44, s27
	ds_read2_b64 v[13:16], v15 offset1:1
	ds_read2_b64 v[19:22], v21 offset1:1
	v_fma_f64 v[29:30], -v[45:46], v[11:12], v[9:10]
	s_waitcnt lgkmcnt(2)
	v_fma_f64 v[23:24], -v[49:50], v[3:4], v[5:6]
	v_mov_b32_e32 v3, s11
	ds_read2_b64 v[3:6], v3 offset1:1
	s_add_i32 s11, s44, s28
	v_mov_b32_e32 v9, s11
	s_waitcnt lgkmcnt(2)
	v_fma_f64 v[15:16], -v[57:58], v[15:16], v[31:32]
	ds_read2_b64 v[9:12], v9 offset1:1
	v_fma_f64 v[1:2], -v[49:50], v[1:2], v[29:30]
	s_waitcnt lgkmcnt(1)
	v_fma_f64 v[5:6], -v[51:52], v[5:6], v[23:24]
	v_fma_f64 v[17:18], -v[57:58], v[13:14], v[17:18]
	s_lshl_b32 s11, s36, 9
	v_mul_f64 v[27:28], v[67:68], v[27:28]
	v_fma_f64 v[31:32], -v[7:8], v[21:22], v[15:16]
	v_mov_b32_e32 v15, s12
	v_fma_f64 v[21:22], -v[51:52], v[3:4], v[1:2]
	s_waitcnt lgkmcnt(0)
	v_fma_f64 v[5:6], -v[55:56], v[11:12], v[5:6]
	s_add_i32 s12, s44, s30
	v_mov_b32_e32 v11, s12
	ds_read2_b64 v[11:14], v11 offset1:1
	s_add_i32 s12, s44, s29
	v_mov_b32_e32 v1, s12
	ds_read2_b64 v[1:4], v1 offset1:1
	v_fma_f64 v[9:10], -v[55:56], v[9:10], v[21:22]
	s_waitcnt lgkmcnt(1)
	v_fma_f64 v[5:6], -v[53:54], v[13:14], v[5:6]
	s_add_i32 s12, s41, s11
	v_fma_f64 v[17:18], -v[7:8], v[19:20], v[17:18]
	v_mov_b32_e32 v23, s12
	s_add_i32 s12, s44, s31
	ds_read2_b64 v[13:16], v15 offset1:1
	ds_read2_b64 v[21:24], v23 offset1:1
	v_fma_f64 v[29:30], -v[53:54], v[11:12], v[9:10]
	s_waitcnt lgkmcnt(2)
	v_fma_f64 v[19:20], -v[47:48], v[3:4], v[5:6]
	v_mov_b32_e32 v3, s12
	ds_read2_b64 v[3:6], v3 offset1:1
	s_add_i32 s12, s44, s33
	v_mov_b32_e32 v9, s12
	s_waitcnt lgkmcnt(2)
	v_fma_f64 v[15:16], -v[63:64], v[15:16], v[31:32]
	ds_read2_b64 v[9:12], v9 offset1:1
	v_fma_f64 v[1:2], -v[47:48], v[1:2], v[29:30]
	s_waitcnt lgkmcnt(1)
	v_fma_f64 v[5:6], -v[43:44], v[5:6], v[19:20]
	s_add_i32 s12, s10, 0xffffc800
	s_add_i32 s13, s41, s12
	v_fma_f64 v[17:18], -v[63:64], v[13:14], v[17:18]
	v_add_u32_e32 v31, s23, v65
	v_fma_f64 v[19:20], -v[27:28], v[23:24], v[15:16]
	v_mov_b32_e32 v15, s13
	v_fma_f64 v[23:24], -v[43:44], v[3:4], v[1:2]
	s_waitcnt lgkmcnt(0)
	v_fma_f64 v[5:6], -v[37:38], v[11:12], v[5:6]
	s_add_i32 s13, s44, s34
	v_mov_b32_e32 v11, s13
	ds_read2_b64 v[11:14], v11 offset1:1
	s_add_i32 s13, s44, s35
	v_mov_b32_e32 v1, s13
	ds_read2_b64 v[1:4], v1 offset1:1
	v_fma_f64 v[9:10], -v[37:38], v[9:10], v[23:24]
	s_waitcnt lgkmcnt(1)
	v_fma_f64 v[5:6], -v[33:34], v[13:14], v[5:6]
	ds_read2_b64 v[13:16], v15 offset1:1
	s_add_i32 s13, s39, 0xffffc518
	v_mov_b32_e32 v29, s13
	ds_read_b64 v[23:24], v29
	v_fma_f64 v[17:18], -v[27:28], v[21:22], v[17:18]
	s_waitcnt lgkmcnt(1)
	v_mul_f64 v[15:16], v[15:16], v[19:20]
	v_fma_f64 v[21:22], -v[33:34], v[11:12], v[9:10]
	v_fma_f64 v[19:20], -v[25:26], v[3:4], v[5:6]
	s_add_i32 s13, s44, s38
	v_mov_b32_e32 v3, s13
	ds_read2_b64 v[3:6], v3 offset1:1
	s_add_i32 s13, s44, s37
	v_mov_b32_e32 v9, s13
	ds_read2_b64 v[9:12], v9 offset1:1
	v_fma_f64 v[1:2], -v[25:26], v[1:2], v[21:22]
	s_waitcnt lgkmcnt(1)
	v_fma_f64 v[5:6], -v[57:58], v[5:6], v[19:20]
	v_add_u32_e32 v19, s25, v65
	ds_write_b64 v19, v[45:46]
	v_add_u32_e32 v19, s26, v65
	ds_write_b64 v19, v[49:50]
	s_add_i32 s13, s44, s43
	v_fma_f64 v[17:18], -v[15:16], v[13:14], v[17:18]
	v_fma_f64 v[19:20], -v[57:58], v[3:4], v[1:2]
	s_waitcnt lgkmcnt(2)
	v_fma_f64 v[5:6], -v[7:8], v[11:12], v[5:6]
	v_mov_b32_e32 v11, s13
	ds_read2_b64 v[11:14], v11 offset1:1
	s_add_i32 s13, s44, s11
	v_mov_b32_e32 v1, s13
	ds_read2_b64 v[1:4], v1 offset1:1
	s_add_i32 s13, s44, s12
	v_fma_f64 v[9:10], -v[7:8], v[9:10], v[19:20]
	s_waitcnt lgkmcnt(1)
	v_fma_f64 v[5:6], -v[63:64], v[13:14], v[5:6]
	v_add_u32_e32 v13, s27, v65
	ds_write_b64 v13, v[51:52]
	v_add_u32_e32 v13, s28, v65
	ds_write_b64 v13, v[55:56]
	v_mul_f64 v[13:14], v[23:24], v[17:18]
	v_add_u32_e32 v21, s30, v65
	v_fma_f64 v[19:20], -v[63:64], v[11:12], v[9:10]
	s_waitcnt lgkmcnt(2)
	v_fma_f64 v[17:18], -v[27:28], v[3:4], v[5:6]
	v_mov_b32_e32 v3, s13
	ds_read2_b64 v[3:6], v3 offset1:1
	s_lshl_b32 s13, s40, 9
	s_add_i32 s14, s44, s13
	v_mov_b32_e32 v9, s14
	ds_read2_b64 v[9:12], v9 offset1:1
	v_fma_f64 v[1:2], -v[27:28], v[1:2], v[19:20]
	s_waitcnt lgkmcnt(1)
	v_fma_f64 v[5:6], -v[15:16], v[5:6], v[17:18]
	s_add_i32 s14, s10, 0xffffc400
	s_add_i32 s10, s44, s14
	v_add_u32_e32 v17, s29, v65
	ds_write_b64 v17, v[47:48]
	v_add_u32_e32 v17, s31, v65
	ds_write_b64 v17, v[43:44]
	v_add_u32_e32 v17, s33, v65
	s_waitcnt lgkmcnt(2)
	v_fma_f64 v[5:6], -v[13:14], v[11:12], v[5:6]
	v_fma_f64 v[11:12], -v[15:16], v[3:4], v[1:2]
	v_mov_b32_e32 v1, s10
	ds_read2_b64 v[1:4], v1 offset1:1
	s_add_i32 s10, s39, 0xffffc108
	ds_write_b64 v17, v[37:38]
	v_mov_b32_e32 v17, s10
	ds_read_b64 v[17:18], v17
	s_waitcnt lgkmcnt(2)
	v_mul_f64 v[3:4], v[3:4], v[5:6]
	v_fma_f64 v[5:6], -v[13:14], v[9:10], v[11:12]
	v_add_u32_e32 v9, s34, v65
	ds_write_b64 v9, v[33:34]
	v_add_u32_e32 v9, s35, v65
	ds_write_b64 v9, v[25:26]
	;; [unrolled: 2-line block ×3, first 2 shown]
	v_add_u32_e32 v9, s37, v65
	v_fma_f64 v[1:2], -v[3:4], v[1:2], v[5:6]
	v_add_u32_e32 v5, s43, v65
	ds_write_b64 v5, v[63:64]
	v_add_u32_e32 v5, s11, v65
	ds_write_b64 v5, v[27:28]
	;; [unrolled: 2-line block ×3, first 2 shown]
	v_add_u32_e32 v5, s13, v65
	s_waitcnt lgkmcnt(6)
	v_mul_f64 v[1:2], v[17:18], v[1:2]
	ds_write_b64 v5, v[13:14]
	v_add_u32_e32 v5, s14, v65
	s_mov_b32 s10, 31
	ds_write_b64 v5, v[3:4]
	v_lshl_add_u32 v3, s42, 9, v65
	s_cmp_gt_i32 s8, 62
	ds_write_b64 v31, v[41:42]
	ds_write_b64 v21, v[53:54]
	;; [unrolled: 1-line block ×4, first 2 shown]
	s_cbranch_scc0 .LBB107_42
.LBB107_39:                             ; =>This Loop Header: Depth=1
                                        ;     Child Loop BB107_41 Depth 2
	s_mov_b32 s8, s10
	s_lshl_b32 s10, s10, 9
	v_add_u32_e32 v67, s10, v65
	v_add_u32_e32 v1, 0xfffffe00, v67
	v_add_u32_e32 v2, 0xfffffc00, v67
	v_add_u32_e32 v3, 0xfffffa00, v67
	ds_read_b64 v[5:6], v67
	ds_read_b64 v[63:64], v1
	ds_read_b64 v[9:10], v2
	ds_read_b64 v[11:12], v3
	v_add_u32_e32 v1, 0xfffff800, v67
	v_add_u32_e32 v2, 0xfffff600, v67
	v_add_u32_e32 v3, 0xfffff400, v67
	v_add_u32_e32 v4, 0xfffff200, v67
	ds_read_b64 v[61:62], v1
	ds_read_b64 v[13:14], v2
	ds_read_b64 v[15:16], v3
	ds_read_b64 v[17:18], v4
	;; [unrolled: 8-line block ×8, first 2 shown]
	s_cmp_le_i32 s4, s8
	s_cbranch_scc1 .LBB107_38
; %bb.40:                               ;   in Loop: Header=BB107_39 Depth=1
	s_lshl_b32 s11, s8, 3
	s_add_i32 s11, s5, s11
	v_mov_b32_e32 v68, v66
	s_mov_b32 s12, s4
.LBB107_41:                             ;   Parent Loop BB107_39 Depth=1
                                        ; =>  This Inner Loop Header: Depth=2
	v_mov_b32_e32 v129, s11
	ds_read_b64 v[133:134], v68
	ds_read2_b64 v[69:72], v129 offset0:30 offset1:31
	ds_read2_b64 v[73:76], v129 offset0:28 offset1:29
	;; [unrolled: 1-line block ×15, first 2 shown]
	ds_read2_b64 v[129:132], v129 offset1:1
	s_add_i32 s12, s12, -1
	s_addk_i32 s11, 0xfe00
	s_cmp_gt_i32 s12, s8
	s_waitcnt lgkmcnt(14)
	v_fma_f64 v[5:6], -v[133:134], v[71:72], v[5:6]
	v_fma_f64 v[63:64], -v[133:134], v[69:70], v[63:64]
	;; [unrolled: 1-line block ×4, first 2 shown]
	s_waitcnt lgkmcnt(13)
	v_fma_f64 v[61:62], -v[133:134], v[79:80], v[61:62]
	v_fma_f64 v[13:14], -v[133:134], v[77:78], v[13:14]
	s_waitcnt lgkmcnt(12)
	v_fma_f64 v[15:16], -v[133:134], v[83:84], v[15:16]
	v_fma_f64 v[17:18], -v[133:134], v[81:82], v[17:18]
	;; [unrolled: 3-line block ×14, first 2 shown]
	v_add_u32_e32 v68, 0xfffffe00, v68
	s_cbranch_scc1 .LBB107_41
	s_branch .LBB107_38
.LBB107_42:
	s_sub_i32 s5, s8, 32
.LBB107_43:
	s_cmp_gt_i32 s5, -1
	s_cbranch_scc0 .LBB107_68
; %bb.44:
	s_cmp_lt_u32 s5, 3
	s_cbranch_scc1 .LBB107_50
; %bb.45:
	s_lshl_b32 s8, s22, 9
	s_lshl_b32 s10, s5, 3
	v_lshl_or_b32 v1, v0, 3, s8
	s_add_i32 s8, s8, s10
	v_add_u32_e32 v9, 0x7e00, v1
	s_addk_i32 s8, 0xfde8
.LBB107_46:                             ; =>This Loop Header: Depth=1
                                        ;     Child Loop BB107_47 Depth 2
	s_lshl_b32 s10, s5, 9
	v_add_u32_e32 v10, s10, v65
	v_add_u32_e32 v1, 0xfffffe00, v10
	;; [unrolled: 1-line block ×4, first 2 shown]
	ds_read_b64 v[7:8], v10
	ds_read_b64 v[5:6], v1
	;; [unrolled: 1-line block ×4, first 2 shown]
	s_cmp_le_i32 s4, s5
	s_mov_b32 s11, s8
	v_mov_b32_e32 v11, v9
	s_mov_b32 s12, s4
	s_cbranch_scc1 .LBB107_48
.LBB107_47:                             ;   Parent Loop BB107_46 Depth=1
                                        ; =>  This Inner Loop Header: Depth=2
	v_mov_b32_e32 v16, s11
	ds_read_b64 v[20:21], v11
	ds_read2_b64 v[12:15], v16 offset0:2 offset1:3
	ds_read2_b64 v[16:19], v16 offset1:1
	s_add_i32 s12, s12, -1
	s_addk_i32 s11, 0xfe00
	s_cmp_gt_i32 s12, s5
	s_waitcnt lgkmcnt(1)
	v_fma_f64 v[7:8], -v[20:21], v[14:15], v[7:8]
	v_fma_f64 v[5:6], -v[20:21], v[12:13], v[5:6]
	s_waitcnt lgkmcnt(0)
	v_fma_f64 v[3:4], -v[20:21], v[18:19], v[3:4]
	v_fma_f64 v[1:2], -v[20:21], v[16:17], v[1:2]
	v_add_u32_e32 v11, 0xfffffe00, v11
	s_cbranch_scc1 .LBB107_47
.LBB107_48:                             ;   in Loop: Header=BB107_46 Depth=1
	s_add_i32 s11, s5, -1
	s_lshl_b32 s12, s11, 3
	s_add_i32 s13, s12, s10
	v_mov_b32_e32 v11, s13
	ds_read2_b64 v[11:14], v11 offset1:1
	s_lshl_b32 s11, s11, 9
	s_add_i32 s12, s12, s11
	v_mov_b32_e32 v15, s12
	ds_read_b64 v[15:16], v15
	s_waitcnt lgkmcnt(1)
	v_mul_f64 v[17:18], v[13:14], v[7:8]
	s_add_i32 s12, s5, -3
	s_lshl_b32 s13, s12, 3
	s_add_i32 s14, s13, s10
	s_addk_i32 s10, 0xfc00
	s_lshl_b32 s12, s12, 9
	s_sub_i32 s8, s8, 32
	v_fma_f64 v[19:20], -v[17:18], v[11:12], v[5:6]
	v_mov_b32_e32 v5, s14
	ds_read2_b64 v[5:8], v5 offset1:1
	s_add_i32 s14, s13, s11
	v_mov_b32_e32 v11, s14
	ds_read2_b64 v[11:14], v11 offset1:1
	s_add_i32 s14, s13, s10
	s_waitcnt lgkmcnt(1)
	v_fma_f64 v[3:4], -v[17:18], v[7:8], v[3:4]
	v_mul_f64 v[7:8], v[15:16], v[19:20]
	v_fma_f64 v[5:6], -v[17:18], v[5:6], v[1:2]
	v_mov_b32_e32 v1, s14
	s_add_i32 s13, s13, s12
	v_mov_b32_e32 v15, s13
	ds_write_b64 v10, v[17:18]
	ds_read_b64 v[15:16], v15
	s_waitcnt lgkmcnt(2)
	v_fma_f64 v[13:14], -v[7:8], v[13:14], v[3:4]
	ds_read2_b64 v[1:4], v1 offset1:1
	v_fma_f64 v[5:6], -v[7:8], v[11:12], v[5:6]
	s_waitcnt lgkmcnt(0)
	v_mul_f64 v[3:4], v[3:4], v[13:14]
	v_fma_f64 v[1:2], -v[3:4], v[1:2], v[5:6]
	v_add_u32_e32 v5, s11, v65
	ds_write_b64 v5, v[7:8]
	v_add_u32_e32 v5, s10, v65
	s_add_i32 s10, s5, -4
	ds_write_b64 v5, v[3:4]
	v_add_u32_e32 v3, s12, v65
	s_cmp_gt_i32 s5, 6
	v_mul_f64 v[1:2], v[15:16], v[1:2]
	ds_write_b64 v3, v[1:2]
	s_cbranch_scc0 .LBB107_51
; %bb.49:                               ;   in Loop: Header=BB107_46 Depth=1
	s_mov_b32 s5, s10
	s_branch .LBB107_46
.LBB107_50:
	s_mov_b32 s10, s5
.LBB107_51:
	s_cmp_lt_i32 s10, 0
	s_cbranch_scc1 .LBB107_68
; %bb.52:
	s_and_b32 s5, s10, 3
	s_cmp_eq_u32 s5, 3
	s_mov_b32 s5, s10
	s_cbranch_scc1 .LBB107_57
; %bb.53:
	s_add_i32 s5, s10, 1
	s_and_b32 s8, s5, 3
	s_lshl_b32 s5, s22, 9
	s_lshl_b32 s11, s10, 3
	s_add_i32 s11, s5, s11
	v_lshl_or_b32 v1, v0, 3, s5
	s_addk_i32 s11, 0xfe00
	v_add_u32_e32 v3, 0x7e00, v1
	s_mov_b32 s12, 0
	s_mov_b32 s5, s10
	s_branch .LBB107_55
.LBB107_54:                             ;   in Loop: Header=BB107_55 Depth=1
	s_mul_i32 s13, s5, 0x208
	v_mov_b32_e32 v5, s13
	ds_read_b64 v[5:6], v5
	s_add_i32 s5, s5, -1
	s_add_i32 s12, s12, 1
	s_add_i32 s11, s11, -8
	s_cmp_lg_u32 s12, s8
	s_waitcnt lgkmcnt(0)
	v_mul_f64 v[1:2], v[5:6], v[1:2]
	ds_write_b64 v4, v[1:2]
	s_cbranch_scc0 .LBB107_57
.LBB107_55:                             ; =>This Loop Header: Depth=1
                                        ;     Child Loop BB107_56 Depth 2
	s_lshl_b32 s13, s5, 9
	v_add_u32_e32 v4, s13, v65
	ds_read_b64 v[1:2], v4
	s_cmp_le_i32 s4, s5
	v_mov_b32_e32 v5, v3
	s_mov_b32 s13, s11
	s_mov_b32 s14, s4
	s_cbranch_scc1 .LBB107_54
.LBB107_56:                             ;   Parent Loop BB107_55 Depth=1
                                        ; =>  This Inner Loop Header: Depth=2
	v_mov_b32_e32 v8, s13
	ds_read_b64 v[6:7], v5
	ds_read_b64 v[8:9], v8
	s_add_i32 s14, s14, -1
	s_addk_i32 s13, 0xfe00
	s_cmp_gt_i32 s14, s5
	v_add_u32_e32 v5, 0xfffffe00, v5
	s_waitcnt lgkmcnt(0)
	v_fma_f64 v[1:2], -v[6:7], v[8:9], v[1:2]
	s_cbranch_scc1 .LBB107_56
	s_branch .LBB107_54
.LBB107_57:
	s_cmp_lt_u32 s10, 3
	s_cbranch_scc1 .LBB107_68
; %bb.58:
	s_lshl_b32 s10, s22, 9
	s_lshl_b32 s8, s5, 3
	s_add_i32 s12, s10, s8
	v_lshl_or_b32 v1, v0, 3, s10
	s_add_i32 s8, s12, 0xfffffe00
	v_add_u32_e32 v5, 0x7e00, v1
	s_add_i32 s10, s12, 0xfffffdf8
	s_add_i32 s11, s12, 0xfffffdf0
	s_addk_i32 s12, 0xfde8
	s_branch .LBB107_60
.LBB107_59:                             ;   in Loop: Header=BB107_60 Depth=1
	s_addk_i32 s13, 0xfdf8
	v_mov_b32_e32 v3, s13
	ds_read_b64 v[3:4], v3
	s_add_i32 s13, s5, -4
	s_sub_i32 s8, s8, 32
	s_sub_i32 s10, s10, 32
	;; [unrolled: 1-line block ×3, first 2 shown]
	s_waitcnt lgkmcnt(0)
	v_mul_f64 v[1:2], v[3:4], v[1:2]
	s_sub_i32 s12, s12, 32
	s_cmp_lt_i32 s5, 4
	s_mov_b32 s5, s13
	ds_write_b64 v6, v[1:2]
	s_cbranch_scc1 .LBB107_68
.LBB107_60:                             ; =>This Loop Header: Depth=1
                                        ;     Child Loop BB107_61 Depth 2
                                        ;     Child Loop BB107_63 Depth 2
	;; [unrolled: 1-line block ×4, first 2 shown]
	s_lshl_b32 s14, s5, 9
	v_add_u32_e32 v7, s14, v65
	ds_read_b64 v[3:4], v7
	s_cmp_le_i32 s4, s5
	v_mov_b32_e32 v1, v5
	s_mov_b32 s13, s8
	s_mov_b32 s15, s4
	s_cbranch_scc1 .LBB107_62
.LBB107_61:                             ;   Parent Loop BB107_60 Depth=1
                                        ; =>  This Inner Loop Header: Depth=2
	v_mov_b32_e32 v2, s13
	ds_read_b64 v[8:9], v1
	ds_read_b64 v[10:11], v2
	s_add_i32 s15, s15, -1
	s_addk_i32 s13, 0xfe00
	s_cmp_gt_i32 s15, s5
	v_add_u32_e32 v1, 0xfffffe00, v1
	s_waitcnt lgkmcnt(0)
	v_fma_f64 v[3:4], -v[8:9], v[10:11], v[3:4]
	s_cbranch_scc1 .LBB107_61
.LBB107_62:                             ;   in Loop: Header=BB107_60 Depth=1
	s_mul_i32 s13, s5, 0x208
	v_mov_b32_e32 v1, s13
	ds_read_b64 v[8:9], v1
	s_addk_i32 s14, 0xfe00
	v_add_u32_e32 v6, s14, v65
	ds_read_b64 v[1:2], v6
	s_mov_b32 s14, s10
	s_waitcnt lgkmcnt(1)
	v_mul_f64 v[8:9], v[8:9], v[3:4]
	v_mov_b32_e32 v3, v5
	s_cmp_le_i32 s22, s5
	s_mov_b32 s15, s22
	ds_write_b64 v7, v[8:9]
	s_cbranch_scc1 .LBB107_64
.LBB107_63:                             ;   Parent Loop BB107_60 Depth=1
                                        ; =>  This Inner Loop Header: Depth=2
	v_mov_b32_e32 v4, s14
	ds_read_b64 v[7:8], v3
	ds_read_b64 v[9:10], v4
	s_add_i32 s15, s15, -1
	s_addk_i32 s14, 0xfe00
	s_cmp_gt_i32 s15, s5
	v_add_u32_e32 v3, 0xfffffe00, v3
	s_waitcnt lgkmcnt(0)
	v_fma_f64 v[1:2], -v[7:8], v[9:10], v[1:2]
	s_cbranch_scc1 .LBB107_63
.LBB107_64:                             ;   in Loop: Header=BB107_60 Depth=1
	s_addk_i32 s13, 0xfdf8
	v_mov_b32_e32 v3, s13
	ds_read_b64 v[8:9], v3
	s_add_i32 s14, s5, -2
	s_lshl_b32 s15, s14, 9
	v_add_u32_e32 v7, s15, v65
	ds_read_b64 v[3:4], v7
	s_waitcnt lgkmcnt(1)
	v_mul_f64 v[8:9], v[8:9], v[1:2]
	v_mov_b32_e32 v1, v5
	s_mov_b32 s15, s11
	s_cmp_le_i32 s4, s14
	s_mov_b32 s16, s4
	ds_write_b64 v6, v[8:9]
	s_cbranch_scc1 .LBB107_66
.LBB107_65:                             ;   Parent Loop BB107_60 Depth=1
                                        ; =>  This Inner Loop Header: Depth=2
	v_mov_b32_e32 v2, s15
	ds_read_b64 v[8:9], v1
	ds_read_b64 v[10:11], v2
	s_add_i32 s16, s16, -1
	s_addk_i32 s15, 0xfe00
	s_cmp_gt_i32 s16, s14
	v_add_u32_e32 v1, 0xfffffe00, v1
	s_waitcnt lgkmcnt(0)
	v_fma_f64 v[3:4], -v[8:9], v[10:11], v[3:4]
	s_cbranch_scc1 .LBB107_65
.LBB107_66:                             ;   in Loop: Header=BB107_60 Depth=1
	s_addk_i32 s13, 0xfdf8
	v_mov_b32_e32 v1, s13
	ds_read_b64 v[8:9], v1
	s_add_i32 s14, s5, -3
	s_lshl_b32 s15, s14, 9
	v_add_u32_e32 v6, s15, v65
	ds_read_b64 v[1:2], v6
	s_waitcnt lgkmcnt(1)
	v_mul_f64 v[8:9], v[8:9], v[3:4]
	v_mov_b32_e32 v3, v5
	s_mov_b32 s15, s12
	s_cmp_le_i32 s4, s14
	s_mov_b32 s16, s4
	ds_write_b64 v7, v[8:9]
	s_cbranch_scc1 .LBB107_59
.LBB107_67:                             ;   Parent Loop BB107_60 Depth=1
                                        ; =>  This Inner Loop Header: Depth=2
	v_mov_b32_e32 v4, s15
	ds_read_b64 v[7:8], v3
	ds_read_b64 v[9:10], v4
	s_add_i32 s16, s16, -1
	s_addk_i32 s15, 0xfe00
	s_cmp_gt_i32 s16, s14
	v_add_u32_e32 v3, 0xfffffe00, v3
	s_waitcnt lgkmcnt(0)
	v_fma_f64 v[1:2], -v[7:8], v[9:10], v[1:2]
	s_cbranch_scc1 .LBB107_67
	s_branch .LBB107_59
.LBB107_68:
	s_waitcnt lgkmcnt(0)
	; wave barrier
	s_and_saveexec_b64 s[4:5], s[0:1]
	s_cbranch_execz .LBB107_72
; %bb.69:
	s_andn2_b64 vcc, exec, s[2:3]
	s_cbranch_vccnz .LBB107_72
; %bb.70:
	v_mad_i64_i32 v[1:2], s[0:1], s9, v0, 0
	v_mov_b32_e32 v3, s7
	v_lshlrev_b64 v[1:2], 3, v[1:2]
	v_add_co_u32_e32 v1, vcc, s6, v1
	v_addc_co_u32_e32 v2, vcc, v3, v2, vcc
	v_mov_b32_e32 v3, 0x8000
	v_lshl_or_b32 v0, v0, 3, v3
.LBB107_71:                             ; =>This Inner Loop Header: Depth=1
	ds_read_b64 v[3:4], v0
	s_add_i32 s22, s22, -1
	v_add_u32_e32 v0, 0x200, v0
	s_cmp_lg_u32 s22, 0
	s_waitcnt lgkmcnt(0)
	global_store_dwordx2 v[1:2], v[3:4], off
	v_add_co_u32_e32 v1, vcc, 8, v1
	v_addc_co_u32_e32 v2, vcc, 0, v2, vcc
	s_cbranch_scc1 .LBB107_71
.LBB107_72:
	s_endpgm
	.section	.rodata,"a",@progbits
	.p2align	6, 0x0
	.amdhsa_kernel _ZL38rocblas_trsm_small_left_device_sharedBILi64ELi32ELb0EddPKdPdEv13rocblas_fill_18rocblas_operation_17rocblas_diagonal_iiT3_T4_lilT5_lili
		.amdhsa_group_segment_fixed_size 65536
		.amdhsa_private_segment_fixed_size 0
		.amdhsa_kernarg_size 360
		.amdhsa_user_sgpr_count 6
		.amdhsa_user_sgpr_private_segment_buffer 1
		.amdhsa_user_sgpr_dispatch_ptr 0
		.amdhsa_user_sgpr_queue_ptr 0
		.amdhsa_user_sgpr_kernarg_segment_ptr 1
		.amdhsa_user_sgpr_dispatch_id 0
		.amdhsa_user_sgpr_flat_scratch_init 0
		.amdhsa_user_sgpr_private_segment_size 0
		.amdhsa_uses_dynamic_stack 0
		.amdhsa_system_sgpr_private_segment_wavefront_offset 0
		.amdhsa_system_sgpr_workgroup_id_x 1
		.amdhsa_system_sgpr_workgroup_id_y 0
		.amdhsa_system_sgpr_workgroup_id_z 1
		.amdhsa_system_sgpr_workgroup_info 0
		.amdhsa_system_vgpr_workitem_id 0
		.amdhsa_next_free_vgpr 135
		.amdhsa_next_free_sgpr 98
		.amdhsa_reserve_vcc 1
		.amdhsa_reserve_flat_scratch 0
		.amdhsa_float_round_mode_32 0
		.amdhsa_float_round_mode_16_64 0
		.amdhsa_float_denorm_mode_32 3
		.amdhsa_float_denorm_mode_16_64 3
		.amdhsa_dx10_clamp 1
		.amdhsa_ieee_mode 1
		.amdhsa_fp16_overflow 0
		.amdhsa_exception_fp_ieee_invalid_op 0
		.amdhsa_exception_fp_denorm_src 0
		.amdhsa_exception_fp_ieee_div_zero 0
		.amdhsa_exception_fp_ieee_overflow 0
		.amdhsa_exception_fp_ieee_underflow 0
		.amdhsa_exception_fp_ieee_inexact 0
		.amdhsa_exception_int_div_zero 0
	.end_amdhsa_kernel
	.section	.text._ZL38rocblas_trsm_small_left_device_sharedBILi64ELi32ELb0EddPKdPdEv13rocblas_fill_18rocblas_operation_17rocblas_diagonal_iiT3_T4_lilT5_lili,"axG",@progbits,_ZL38rocblas_trsm_small_left_device_sharedBILi64ELi32ELb0EddPKdPdEv13rocblas_fill_18rocblas_operation_17rocblas_diagonal_iiT3_T4_lilT5_lili,comdat
.Lfunc_end107:
	.size	_ZL38rocblas_trsm_small_left_device_sharedBILi64ELi32ELb0EddPKdPdEv13rocblas_fill_18rocblas_operation_17rocblas_diagonal_iiT3_T4_lilT5_lili, .Lfunc_end107-_ZL38rocblas_trsm_small_left_device_sharedBILi64ELi32ELb0EddPKdPdEv13rocblas_fill_18rocblas_operation_17rocblas_diagonal_iiT3_T4_lilT5_lili
                                        ; -- End function
	.set _ZL38rocblas_trsm_small_left_device_sharedBILi64ELi32ELb0EddPKdPdEv13rocblas_fill_18rocblas_operation_17rocblas_diagonal_iiT3_T4_lilT5_lili.num_vgpr, 135
	.set _ZL38rocblas_trsm_small_left_device_sharedBILi64ELi32ELb0EddPKdPdEv13rocblas_fill_18rocblas_operation_17rocblas_diagonal_iiT3_T4_lilT5_lili.num_agpr, 0
	.set _ZL38rocblas_trsm_small_left_device_sharedBILi64ELi32ELb0EddPKdPdEv13rocblas_fill_18rocblas_operation_17rocblas_diagonal_iiT3_T4_lilT5_lili.numbered_sgpr, 46
	.set _ZL38rocblas_trsm_small_left_device_sharedBILi64ELi32ELb0EddPKdPdEv13rocblas_fill_18rocblas_operation_17rocblas_diagonal_iiT3_T4_lilT5_lili.num_named_barrier, 0
	.set _ZL38rocblas_trsm_small_left_device_sharedBILi64ELi32ELb0EddPKdPdEv13rocblas_fill_18rocblas_operation_17rocblas_diagonal_iiT3_T4_lilT5_lili.private_seg_size, 0
	.set _ZL38rocblas_trsm_small_left_device_sharedBILi64ELi32ELb0EddPKdPdEv13rocblas_fill_18rocblas_operation_17rocblas_diagonal_iiT3_T4_lilT5_lili.uses_vcc, 1
	.set _ZL38rocblas_trsm_small_left_device_sharedBILi64ELi32ELb0EddPKdPdEv13rocblas_fill_18rocblas_operation_17rocblas_diagonal_iiT3_T4_lilT5_lili.uses_flat_scratch, 0
	.set _ZL38rocblas_trsm_small_left_device_sharedBILi64ELi32ELb0EddPKdPdEv13rocblas_fill_18rocblas_operation_17rocblas_diagonal_iiT3_T4_lilT5_lili.has_dyn_sized_stack, 0
	.set _ZL38rocblas_trsm_small_left_device_sharedBILi64ELi32ELb0EddPKdPdEv13rocblas_fill_18rocblas_operation_17rocblas_diagonal_iiT3_T4_lilT5_lili.has_recursion, 0
	.set _ZL38rocblas_trsm_small_left_device_sharedBILi64ELi32ELb0EddPKdPdEv13rocblas_fill_18rocblas_operation_17rocblas_diagonal_iiT3_T4_lilT5_lili.has_indirect_call, 0
	.section	.AMDGPU.csdata,"",@progbits
; Kernel info:
; codeLenInByte = 23020
; TotalNumSgprs: 50
; NumVgprs: 135
; ScratchSize: 0
; MemoryBound: 0
; FloatMode: 240
; IeeeMode: 1
; LDSByteSize: 65536 bytes/workgroup (compile time only)
; SGPRBlocks: 12
; VGPRBlocks: 33
; NumSGPRsForWavesPerEU: 102
; NumVGPRsForWavesPerEU: 135
; Occupancy: 1
; WaveLimiterHint : 0
; COMPUTE_PGM_RSRC2:SCRATCH_EN: 0
; COMPUTE_PGM_RSRC2:USER_SGPR: 6
; COMPUTE_PGM_RSRC2:TRAP_HANDLER: 0
; COMPUTE_PGM_RSRC2:TGID_X_EN: 1
; COMPUTE_PGM_RSRC2:TGID_Y_EN: 0
; COMPUTE_PGM_RSRC2:TGID_Z_EN: 1
; COMPUTE_PGM_RSRC2:TIDIG_COMP_CNT: 0
	.section	.text._ZL30rocblas_trsm_small_left_deviceILi64ELi32ELb0EddPKdPdEv13rocblas_fill_18rocblas_operation_17rocblas_diagonal_iiT3_T4_lilT5_lili,"axG",@progbits,_ZL30rocblas_trsm_small_left_deviceILi64ELi32ELb0EddPKdPdEv13rocblas_fill_18rocblas_operation_17rocblas_diagonal_iiT3_T4_lilT5_lili,comdat
	.globl	_ZL30rocblas_trsm_small_left_deviceILi64ELi32ELb0EddPKdPdEv13rocblas_fill_18rocblas_operation_17rocblas_diagonal_iiT3_T4_lilT5_lili ; -- Begin function _ZL30rocblas_trsm_small_left_deviceILi64ELi32ELb0EddPKdPdEv13rocblas_fill_18rocblas_operation_17rocblas_diagonal_iiT3_T4_lilT5_lili
	.p2align	8
	.type	_ZL30rocblas_trsm_small_left_deviceILi64ELi32ELb0EddPKdPdEv13rocblas_fill_18rocblas_operation_17rocblas_diagonal_iiT3_T4_lilT5_lili,@function
_ZL30rocblas_trsm_small_left_deviceILi64ELi32ELb0EddPKdPdEv13rocblas_fill_18rocblas_operation_17rocblas_diagonal_iiT3_T4_lilT5_lili: ; @_ZL30rocblas_trsm_small_left_deviceILi64ELi32ELb0EddPKdPdEv13rocblas_fill_18rocblas_operation_17rocblas_diagonal_iiT3_T4_lilT5_lili
; %bb.0:
	s_load_dwordx4 s[8:11], s[4:5], 0x4
	s_load_dwordx4 s[0:3], s[4:5], 0x18
	s_load_dwordx2 s[20:21], s[4:5], 0x28
	s_load_dwordx4 s[12:15], s[4:5], 0x38
	s_load_dwordx2 s[16:17], s[4:5], 0x48
	s_waitcnt lgkmcnt(0)
	s_min_i32 s22, s10, 64
	v_cmp_gt_i32_e32 vcc, s22, v0
	s_and_saveexec_b64 s[18:19], vcc
	s_cbranch_execz .LBB108_6
; %bb.1:
	s_load_dword s24, s[4:5], 0x30
	s_mul_i32 s13, s13, s7
	s_mul_hi_u32 s23, s12, s7
	s_mul_i32 s12, s12, s7
	s_add_i32 s13, s23, s13
	s_waitcnt lgkmcnt(0)
	s_ashr_i32 s25, s24, 31
	s_lshl_b64 s[12:13], s[12:13], 3
	s_add_u32 s12, s2, s12
	s_addc_u32 s13, s3, s13
	s_lshl_b64 s[2:3], s[20:21], 3
	s_add_u32 s2, s12, s2
	s_addc_u32 s3, s13, s3
	v_lshlrev_b32_e32 v3, 3, v0
	v_mov_b32_e32 v2, s3
	v_add_co_u32_e32 v1, vcc, s2, v3
	s_lshl_b64 s[2:3], s[24:25], 3
	v_addc_co_u32_e32 v2, vcc, 0, v2, vcc
	v_mov_b32_e32 v4, s3
	v_mov_b32_e32 v5, v3
	s_mov_b32 s3, s22
.LBB108_2:                              ; =>This Inner Loop Header: Depth=1
	global_load_dwordx2 v[6:7], v[1:2], off
	v_add_co_u32_e32 v1, vcc, s2, v1
	s_add_i32 s3, s3, -1
	v_addc_co_u32_e32 v2, vcc, v2, v4, vcc
	s_cmp_eq_u32 s3, 0
	s_waitcnt vmcnt(0)
	ds_write_b64 v5, v[6:7]
	v_add_u32_e32 v5, 0x200, v5
	s_cbranch_scc0 .LBB108_2
; %bb.3:
	v_lshlrev_b32_e32 v4, 9, v0
	v_mov_b32_e32 v1, 0
	s_cmpk_lg_i32 s9, 0x84
	v_mov_b32_e32 v2, 0x3ff00000
	v_add_u32_e32 v3, v3, v4
	s_cbranch_scc0 .LBB108_5
; %bb.4:
	ds_read_b64 v[1:2], v3
	s_waitcnt lgkmcnt(0)
	v_div_scale_f64 v[4:5], s[2:3], v[1:2], v[1:2], 1.0
	v_div_scale_f64 v[10:11], vcc, 1.0, v[1:2], 1.0
	v_rcp_f64_e32 v[6:7], v[4:5]
	v_fma_f64 v[8:9], -v[4:5], v[6:7], 1.0
	v_fma_f64 v[6:7], v[6:7], v[8:9], v[6:7]
	v_fma_f64 v[8:9], -v[4:5], v[6:7], 1.0
	v_fma_f64 v[6:7], v[6:7], v[8:9], v[6:7]
	v_mul_f64 v[8:9], v[10:11], v[6:7]
	v_fma_f64 v[4:5], -v[4:5], v[8:9], v[10:11]
	v_div_fmas_f64 v[4:5], v[4:5], v[6:7], v[8:9]
	v_div_fixup_f64 v[1:2], v[4:5], v[1:2], 1.0
.LBB108_5:
	ds_write_b64 v3, v[1:2]
.LBB108_6:
	s_or_b64 exec, exec, s[18:19]
	s_load_dword s2, s[4:5], 0x68
	s_waitcnt lgkmcnt(0)
	; wave barrier
	s_add_i32 s3, s2, -1
	s_lshl_b32 s2, s6, 6
	s_sub_i32 s9, s11, s2
	s_cmp_ge_u32 s6, s3
	s_cselect_b32 s3, s9, 64
	v_cmp_gt_i32_e32 vcc, s3, v0
	s_and_saveexec_b64 s[12:13], vcc
	s_cbranch_execz .LBB108_70
; %bb.7:
	s_load_dwordx2 s[12:13], s[4:5], 0x58
	s_load_dword s6, s[4:5], 0x50
	v_add_u32_e32 v0, s2, v0
	s_waitcnt lgkmcnt(0)
	s_mul_i32 s3, s13, s7
	s_mul_hi_u32 s4, s12, s7
	s_mul_i32 s2, s12, s7
	s_add_i32 s3, s4, s3
	v_mad_i64_i32 v[0:1], s[4:5], s6, v0, 0
	s_lshl_b64 s[2:3], s[2:3], 3
	s_add_u32 s7, s14, s2
	s_addc_u32 s9, s15, s3
	s_lshl_b64 s[4:5], s[16:17], 3
	s_add_u32 s6, s7, s4
	v_lshlrev_b64 v[50:51], 3, v[0:1]
	s_addc_u32 s7, s9, s5
	v_mov_b32_e32 v0, s7
	v_add_co_u32_e32 v48, vcc, s6, v50
	v_addc_co_u32_e32 v49, vcc, v0, v51, vcc
	s_cmpk_eq_i32 s8, 0x6f
	s_mov_b64 s[6:7], -1
	s_cbranch_scc1 .LBB108_37
; %bb.8:
	s_cmp_lt_i32 s10, 32
	s_mov_b32 s8, 0
	s_cbranch_scc1 .LBB108_16
; %bb.9:
	s_mov_b32 s7, 0
	s_mov_b32 s9, 0
	;; [unrolled: 1-line block ×3, first 2 shown]
.LBB108_10:                             ; =>This Loop Header: Depth=1
                                        ;     Child Loop BB108_12 Depth 2
	s_lshl_b64 s[12:13], s[6:7], 3
	v_mov_b32_e32 v0, s13
	v_add_co_u32_e32 v52, vcc, s12, v48
	v_addc_co_u32_e32 v53, vcc, v49, v0, vcc
	global_load_dwordx4 v[0:3], v[52:53], off
	global_load_dwordx4 v[4:7], v[52:53], off offset:16
	global_load_dwordx4 v[8:11], v[52:53], off offset:32
	;; [unrolled: 1-line block ×15, first 2 shown]
	s_cmp_eq_u32 s6, 0
	s_waitcnt vmcnt(15)
	v_mul_f64 v[0:1], s[0:1], v[0:1]
	v_mul_f64 v[68:69], s[0:1], v[2:3]
	s_waitcnt vmcnt(14)
	v_mul_f64 v[2:3], s[0:1], v[4:5]
	v_mul_f64 v[66:67], s[0:1], v[6:7]
	;; [unrolled: 3-line block ×16, first 2 shown]
	s_cbranch_scc1 .LBB108_13
; %bb.11:                               ;   in Loop: Header=BB108_10 Depth=1
	v_mov_b32_e32 v71, v49
	s_lshl_b32 s8, s6, 9
	v_mov_b32_e32 v70, v48
	s_mov_b32 s11, s6
	s_mov_b32 s12, s9
.LBB108_12:                             ;   Parent Loop BB108_10 Depth=1
                                        ; =>  This Inner Loop Header: Depth=2
	global_load_dwordx2 v[136:137], v[70:71], off
	v_mov_b32_e32 v132, s12
	ds_read2st64_b64 v[72:75], v132 offset1:1
	ds_read2st64_b64 v[76:79], v132 offset0:2 offset1:3
	ds_read2st64_b64 v[80:83], v132 offset0:4 offset1:5
	ds_read2st64_b64 v[84:87], v132 offset0:6 offset1:7
	ds_read2st64_b64 v[88:91], v132 offset0:8 offset1:9
	ds_read2st64_b64 v[92:95], v132 offset0:10 offset1:11
	ds_read2st64_b64 v[96:99], v132 offset0:12 offset1:13
	ds_read2st64_b64 v[100:103], v132 offset0:14 offset1:15
	ds_read2st64_b64 v[104:107], v132 offset0:16 offset1:17
	ds_read2st64_b64 v[108:111], v132 offset0:18 offset1:19
	ds_read2st64_b64 v[112:115], v132 offset0:20 offset1:21
	ds_read2st64_b64 v[116:119], v132 offset0:22 offset1:23
	ds_read2st64_b64 v[120:123], v132 offset0:24 offset1:25
	ds_read2st64_b64 v[124:127], v132 offset0:26 offset1:27
	ds_read2st64_b64 v[128:131], v132 offset0:28 offset1:29
	ds_read2st64_b64 v[132:135], v132 offset0:30 offset1:31
	s_add_i32 s12, s12, 8
	s_add_i32 s11, s11, -1
	v_add_co_u32_e32 v70, vcc, 8, v70
	s_cmp_eq_u32 s11, 0
	v_addc_co_u32_e32 v71, vcc, 0, v71, vcc
	s_waitcnt vmcnt(0) lgkmcnt(14)
	v_fma_f64 v[0:1], -v[136:137], v[72:73], v[0:1]
	v_fma_f64 v[68:69], -v[136:137], v[74:75], v[68:69]
	;; [unrolled: 1-line block ×4, first 2 shown]
	s_waitcnt lgkmcnt(13)
	v_fma_f64 v[4:5], -v[136:137], v[80:81], v[4:5]
	v_fma_f64 v[64:65], -v[136:137], v[82:83], v[64:65]
	s_waitcnt lgkmcnt(12)
	v_fma_f64 v[6:7], -v[136:137], v[84:85], v[6:7]
	v_fma_f64 v[62:63], -v[136:137], v[86:87], v[62:63]
	;; [unrolled: 3-line block ×14, first 2 shown]
	s_cbranch_scc0 .LBB108_12
	s_branch .LBB108_14
.LBB108_13:                             ;   in Loop: Header=BB108_10 Depth=1
	s_mov_b32 s8, 0
.LBB108_14:                             ;   in Loop: Header=BB108_10 Depth=1
	s_lshl_b32 s11, s6, 3
	s_add_i32 s8, s11, s8
	v_mov_b32_e32 v71, s8
	ds_read2_b64 v[72:75], v71 offset1:65
	s_lshl_b32 s8, s6, 9
	s_add_i32 s8, s11, s8
	v_mov_b32_e32 v70, s8
	ds_read2_b64 v[76:79], v70 offset0:64 offset1:194
	ds_read2_b64 v[80:83], v71 offset0:130 offset1:195
	ds_read_b128 v[84:87], v70 offset:1024
	ds_read_b128 v[88:91], v70 offset:1536
	;; [unrolled: 1-line block ×4, first 2 shown]
	s_waitcnt lgkmcnt(6)
	v_mul_f64 v[0:1], v[72:73], v[0:1]
	ds_read_b128 v[100:103], v70 offset:2560
	ds_read_b128 v[104:107], v70 offset:2576
	;; [unrolled: 1-line block ×4, first 2 shown]
	v_add_u32_e32 v180, 0x800, v71
	v_add_u32_e32 v181, 0x800, v70
	;; [unrolled: 1-line block ×4, first 2 shown]
	s_add_i32 s8, s6, 32
	s_waitcnt lgkmcnt(9)
	v_fma_f64 v[68:69], -v[0:1], v[76:77], v[68:69]
	s_waitcnt lgkmcnt(7)
	v_fma_f64 v[76:77], -v[0:1], v[84:85], v[2:3]
	;; [unrolled: 2-line block ×6, first 2 shown]
	s_add_i32 s6, s6, 63
	s_addk_i32 s9, 0x4000
	v_mul_f64 v[2:3], v[74:75], v[68:69]
	ds_read_b128 v[72:75], v70 offset:3104
	ds_read_b128 v[116:119], v70 offset:3584
	ds_read_b128 v[120:123], v70 offset:3600
	ds_read_b128 v[124:127], v70 offset:3616
	ds_read_b128 v[128:131], v70 offset:4096
	ds_read_b128 v[132:135], v70 offset:4112
	s_waitcnt lgkmcnt(4)
	v_fma_f64 v[116:117], -v[0:1], v[116:117], v[62:63]
	s_cmp_ge_i32 s6, s22
	s_waitcnt lgkmcnt(1)
	v_fma_f64 v[128:129], -v[0:1], v[128:129], v[8:9]
	v_fma_f64 v[76:77], -v[2:3], v[86:87], v[76:77]
	;; [unrolled: 1-line block ×5, first 2 shown]
	ds_read_b128 v[66:69], v70 offset:4128
	ds_read_b128 v[84:87], v70 offset:4144
	;; [unrolled: 1-line block ×8, first 2 shown]
	v_mul_f64 v[4:5], v[80:81], v[76:77]
	v_fma_f64 v[80:81], -v[2:3], v[94:95], v[92:93]
	v_fma_f64 v[176:177], -v[2:3], v[118:119], v[116:117]
	s_waitcnt lgkmcnt(5)
	v_fma_f64 v[24:25], -v[0:1], v[136:137], v[24:25]
	s_waitcnt lgkmcnt(1)
	v_fma_f64 v[148:149], -v[0:1], v[148:149], v[10:11]
	v_fma_f64 v[100:101], -v[4:5], v[78:79], v[156:157]
	v_fma_f64 v[96:97], -v[4:5], v[96:97], v[80:81]
	v_fma_f64 v[104:105], -v[4:5], v[104:105], v[64:65]
	ds_read_b128 v[76:79], v70 offset:5152
	ds_read_b128 v[92:95], v70 offset:5168
	ds_read_b128 v[156:159], v70 offset:5184
	ds_read_b128 v[160:163], v70 offset:5632
	v_fma_f64 v[112:113], -v[4:5], v[112:113], v[172:173]
	v_fma_f64 v[120:121], -v[4:5], v[120:121], v[176:177]
	;; [unrolled: 1-line block ×3, first 2 shown]
	s_waitcnt lgkmcnt(0)
	v_fma_f64 v[20:21], -v[0:1], v[160:161], v[20:21]
	v_mul_f64 v[6:7], v[82:83], v[100:101]
	ds_read_b128 v[80:83], v70 offset:5648
	ds_read_b128 v[100:103], v70 offset:5664
	;; [unrolled: 1-line block ×4, first 2 shown]
	v_fma_f64 v[24:25], -v[4:5], v[140:141], v[24:25]
	v_fma_f64 v[20:21], -v[2:3], v[162:163], v[20:21]
	;; [unrolled: 1-line block ×3, first 2 shown]
	ds_read_b128 v[62:65], v70 offset:6144
	ds_read_b128 v[96:99], v70 offset:6160
	ds_read2_b64 v[108:111], v180 offset0:4 offset1:69
	v_fma_f64 v[178:179], -v[6:7], v[106:107], v[104:105]
	v_fma_f64 v[136:137], -v[6:7], v[114:115], v[112:113]
	;; [unrolled: 1-line block ×3, first 2 shown]
	s_waitcnt lgkmcnt(2)
	v_fma_f64 v[62:63], -v[0:1], v[62:63], v[12:13]
	v_fma_f64 v[24:25], -v[6:7], v[142:143], v[24:25]
	;; [unrolled: 1-line block ×3, first 2 shown]
	s_waitcnt lgkmcnt(0)
	v_mul_f64 v[8:9], v[108:109], v[174:175]
	ds_read_b128 v[104:107], v70 offset:6176
	ds_read_b128 v[116:119], v70 offset:6192
	ds_read2_b64 v[172:175], v181 offset0:68 offset1:198
	v_fma_f64 v[108:109], -v[2:3], v[130:131], v[128:129]
	ds_read_b128 v[112:115], v70 offset:6208
	ds_read_b128 v[128:131], v70 offset:6224
	v_fma_f64 v[20:21], -v[6:7], v[82:83], v[20:21]
	s_waitcnt lgkmcnt(2)
	v_fma_f64 v[172:173], -v[8:9], v[172:173], v[178:179]
	v_fma_f64 v[72:73], -v[8:9], v[72:73], v[136:137]
	;; [unrolled: 1-line block ×7, first 2 shown]
	v_mul_f64 v[10:11], v[110:111], v[172:173]
	ds_read_b128 v[108:111], v70 offset:6656
	ds_read_b128 v[120:123], v70 offset:6672
	v_fma_f64 v[132:133], -v[6:7], v[134:135], v[132:133]
	v_fma_f64 v[136:137], -v[4:5], v[152:153], v[136:137]
	s_waitcnt lgkmcnt(1)
	v_fma_f64 v[14:15], -v[0:1], v[108:109], v[14:15]
	v_fma_f64 v[134:135], -v[10:11], v[74:75], v[72:73]
	ds_read2_b64 v[72:75], v180 offset0:134 offset1:199
	v_fma_f64 v[66:67], -v[8:9], v[66:67], v[132:133]
	v_fma_f64 v[138:139], -v[10:11], v[126:127], v[124:125]
	;; [unrolled: 1-line block ×6, first 2 shown]
	s_waitcnt lgkmcnt(0)
	v_mul_f64 v[12:13], v[72:73], v[134:135]
	v_fma_f64 v[72:73], -v[2:3], v[64:65], v[62:63]
	v_fma_f64 v[66:67], -v[10:11], v[68:69], v[66:67]
	ds_read_b128 v[124:127], v70 offset:6688
	ds_read_b128 v[132:135], v70 offset:6704
	;; [unrolled: 1-line block ×3, first 2 shown]
	v_fma_f64 v[76:77], -v[8:9], v[76:77], v[80:81]
	v_add_u32_e32 v110, 0x2000, v71
	v_fma_f64 v[68:69], -v[12:13], v[174:175], v[138:139]
	v_fma_f64 v[72:73], -v[4:5], v[96:97], v[72:73]
	;; [unrolled: 1-line block ×6, first 2 shown]
	v_mul_f64 v[14:15], v[74:75], v[68:69]
	ds_read_b128 v[66:69], v70 offset:7184
	s_waitcnt lgkmcnt(1)
	v_fma_f64 v[16:17], -v[0:1], v[62:63], v[16:17]
	v_fma_f64 v[62:63], -v[4:5], v[120:121], v[88:89]
	;; [unrolled: 1-line block ×3, first 2 shown]
	ds_read2_b64 v[72:75], v182 offset0:8 offset1:73
	v_fma_f64 v[78:79], -v[14:15], v[86:87], v[80:81]
	v_fma_f64 v[86:87], -v[12:13], v[92:93], v[76:77]
	;; [unrolled: 1-line block ×7, first 2 shown]
	v_add_u32_e32 v104, 0x1800, v70
	s_waitcnt lgkmcnt(0)
	v_mul_f64 v[16:17], v[72:73], v[78:79]
	ds_read_b128 v[62:65], v70 offset:7680
	ds_read2_b64 v[76:79], v183 offset0:72 offset1:202
	v_fma_f64 v[66:67], -v[4:5], v[66:67], v[80:81]
	v_fma_f64 v[72:73], -v[8:9], v[124:125], v[84:85]
	;; [unrolled: 1-line block ×4, first 2 shown]
	s_waitcnt lgkmcnt(1)
	v_fma_f64 v[62:63], -v[0:1], v[62:63], v[18:19]
	ds_read_b128 v[80:83], v70 offset:7200
	ds_read_b128 v[84:87], v70 offset:7216
	s_waitcnt lgkmcnt(2)
	v_fma_f64 v[24:25], -v[16:17], v[76:77], v[24:25]
	v_fma_f64 v[20:21], -v[16:17], v[168:169], v[20:21]
	;; [unrolled: 1-line block ×6, first 2 shown]
	v_add_u32_e32 v106, 0x1800, v71
	v_mul_f64 v[18:19], v[74:75], v[24:25]
	v_fma_f64 v[24:25], -v[2:3], v[64:65], v[62:63]
	s_waitcnt lgkmcnt(1)
	v_fma_f64 v[76:77], -v[8:9], v[80:81], v[76:77]
	ds_read_b128 v[66:69], v70 offset:7696
	ds_read_b128 v[72:75], v70 offset:7712
	v_fma_f64 v[80:81], -v[12:13], v[132:133], v[92:93]
	v_fma_f64 v[92:93], -v[14:15], v[118:119], v[88:89]
	;; [unrolled: 1-line block ×3, first 2 shown]
	ds_read_b128 v[62:65], v70 offset:8192
	ds_read2_b64 v[88:91], v182 offset0:138 offset1:203
	s_waitcnt lgkmcnt(3)
	v_fma_f64 v[24:25], -v[4:5], v[66:67], v[24:25]
	v_fma_f64 v[66:67], -v[10:11], v[82:83], v[76:77]
	;; [unrolled: 1-line block ×5, first 2 shown]
	s_waitcnt lgkmcnt(1)
	v_fma_f64 v[22:23], -v[0:1], v[62:63], v[22:23]
	s_waitcnt lgkmcnt(0)
	v_mul_f64 v[20:21], v[88:89], v[94:95]
	ds_read_b128 v[80:83], v70 offset:6720
	ds_read_b128 v[92:95], v70 offset:6736
	;; [unrolled: 1-line block ×3, first 2 shown]
	v_fma_f64 v[24:25], -v[6:7], v[68:69], v[24:25]
	v_fma_f64 v[62:63], -v[12:13], v[84:85], v[66:67]
	s_waitcnt lgkmcnt(2)
	v_fma_f64 v[66:67], -v[16:17], v[80:81], v[76:77]
	v_fma_f64 v[68:69], -v[18:19], v[114:115], v[100:101]
	;; [unrolled: 1-line block ×6, first 2 shown]
	ds_read_b128 v[62:65], v70 offset:7232
	v_fma_f64 v[80:81], -v[18:19], v[82:83], v[66:67]
	v_fma_f64 v[82:83], -v[20:21], v[128:129], v[68:69]
	ds_read_b128 v[66:69], v70 offset:7248
	v_mul_f64 v[22:23], v[90:91], v[76:77]
	s_waitcnt lgkmcnt(2)
	v_fma_f64 v[88:89], -v[4:5], v[96:97], v[78:79]
	v_fma_f64 v[90:91], -v[10:11], v[74:75], v[24:25]
	s_waitcnt lgkmcnt(1)
	v_fma_f64 v[24:25], -v[16:17], v[62:63], v[72:73]
	v_fma_f64 v[62:63], -v[20:21], v[92:93], v[80:81]
	;; [unrolled: 1-line block ×4, first 2 shown]
	ds_read_b128 v[72:75], v70 offset:7728
	ds_read_b128 v[76:79], v70 offset:7744
	ds_read2_b64 v[80:83], v106 offset0:12 offset1:77
	ds_read_b128 v[84:87], v70 offset:8224
	v_fma_f64 v[100:101], -v[18:19], v[64:65], v[24:25]
	s_waitcnt lgkmcnt(3)
	v_fma_f64 v[72:73], -v[12:13], v[72:73], v[90:91]
	v_fma_f64 v[102:103], -v[22:23], v[94:95], v[62:63]
	s_waitcnt lgkmcnt(1)
	v_mul_f64 v[24:25], v[80:81], v[92:93]
	s_waitcnt lgkmcnt(0)
	v_fma_f64 v[80:81], -v[8:9], v[84:85], v[96:97]
	ds_read_b128 v[62:65], v70 offset:8704
	ds_read2_b64 v[88:91], v104 offset0:76 offset1:206
	ds_read_b128 v[92:95], v70 offset:8240
	ds_read_b128 v[96:99], v70 offset:8720
	s_waitcnt lgkmcnt(3)
	v_fma_f64 v[26:27], -v[0:1], v[62:63], v[26:27]
	v_fma_f64 v[62:63], -v[20:21], v[66:67], v[100:101]
	;; [unrolled: 1-line block ×3, first 2 shown]
	s_waitcnt lgkmcnt(2)
	v_fma_f64 v[74:75], -v[24:25], v[88:89], v[102:103]
	v_fma_f64 v[72:73], -v[10:11], v[86:87], v[80:81]
	;; [unrolled: 1-line block ×5, first 2 shown]
	ds_read_b128 v[62:65], v70 offset:7264
	s_waitcnt lgkmcnt(2)
	v_fma_f64 v[84:85], -v[12:13], v[92:93], v[72:73]
	v_mul_f64 v[26:27], v[82:83], v[74:75]
	s_waitcnt lgkmcnt(1)
	v_fma_f64 v[86:87], -v[4:5], v[96:97], v[80:81]
	s_waitcnt lgkmcnt(0)
	v_fma_f64 v[88:89], -v[24:25], v[62:63], v[68:69]
	v_fma_f64 v[62:63], -v[18:19], v[78:79], v[66:67]
	ds_read_b128 v[66:69], v70 offset:7760
	ds_read_b128 v[72:75], v70 offset:7776
	;; [unrolled: 1-line block ×3, first 2 shown]
	v_fma_f64 v[96:97], -v[14:15], v[94:95], v[84:85]
	ds_read_b128 v[80:83], v70 offset:8256
	s_waitcnt lgkmcnt(1)
	v_fma_f64 v[76:77], -v[0:1], v[76:77], v[60:61]
	v_fma_f64 v[104:105], -v[6:7], v[98:99], v[86:87]
	v_fma_f64 v[66:67], -v[20:21], v[66:67], v[62:63]
	ds_read_b128 v[84:87], v70 offset:9232
	ds_read_b128 v[60:63], v70 offset:8736
	;; [unrolled: 1-line block ×3, first 2 shown]
	s_waitcnt lgkmcnt(3)
	v_fma_f64 v[80:81], -v[16:17], v[80:81], v[96:97]
	ds_read_b128 v[96:99], v70 offset:9728
	ds_read_b128 v[100:103], v70 offset:8752
	v_fma_f64 v[76:77], -v[2:3], v[78:79], v[76:77]
	s_waitcnt lgkmcnt(3)
	v_fma_f64 v[60:61], -v[8:9], v[60:61], v[104:105]
	s_waitcnt lgkmcnt(1)
	v_fma_f64 v[28:29], -v[0:1], v[96:97], v[28:29]
	v_fma_f64 v[66:67], -v[22:23], v[68:69], v[66:67]
	;; [unrolled: 1-line block ×7, first 2 shown]
	ds_read2_b64 v[60:63], v106 offset0:142 offset1:207
	v_fma_f64 v[72:73], -v[24:25], v[72:73], v[66:67]
	ds_read_b128 v[64:67], v70 offset:9744
	v_fma_f64 v[68:69], -v[20:21], v[92:93], v[68:69]
	v_fma_f64 v[88:89], -v[6:7], v[86:87], v[76:77]
	s_waitcnt lgkmcnt(1)
	v_mul_f64 v[28:29], v[60:61], v[78:79]
	v_fma_f64 v[60:61], -v[12:13], v[100:101], v[80:81]
	ds_read_b128 v[76:79], v70 offset:9760
	s_waitcnt lgkmcnt(1)
	v_fma_f64 v[64:65], -v[4:5], v[64:65], v[82:83]
	ds_read_b128 v[80:83], v70 offset:9248
	v_fma_f64 v[68:69], -v[22:23], v[94:95], v[68:69]
	v_fma_f64 v[104:105], -v[26:27], v[74:75], v[72:73]
	ds_read_b128 v[72:75], v70 offset:8288
	ds_read_b128 v[84:87], v70 offset:9264
	s_waitcnt lgkmcnt(2)
	v_fma_f64 v[80:81], -v[8:9], v[80:81], v[88:89]
	v_fma_f64 v[60:61], -v[14:15], v[102:103], v[60:61]
	;; [unrolled: 1-line block ×3, first 2 shown]
	ds_read_b128 v[64:67], v70 offset:8304
	ds_read_b128 v[92:95], v70 offset:8768
	s_waitcnt lgkmcnt(3)
	v_fma_f64 v[68:69], -v[24:25], v[72:73], v[68:69]
	ds_read_b128 v[96:99], v70 offset:8784
	ds_read_b128 v[100:103], v70 offset:10240
	v_fma_f64 v[72:73], -v[10:11], v[82:83], v[80:81]
	s_waitcnt lgkmcnt(2)
	v_fma_f64 v[60:61], -v[16:17], v[92:93], v[60:61]
	v_fma_f64 v[76:77], -v[8:9], v[76:77], v[88:89]
	s_waitcnt lgkmcnt(0)
	v_fma_f64 v[30:31], -v[0:1], v[100:101], v[30:31]
	v_fma_f64 v[68:69], -v[26:27], v[74:75], v[68:69]
	;; [unrolled: 1-line block ×3, first 2 shown]
	ds_read_b128 v[80:83], v70 offset:10256
	v_fma_f64 v[84:85], -v[12:13], v[84:85], v[72:73]
	ds_read_b128 v[72:75], v70 offset:9776
	v_fma_f64 v[76:77], -v[10:11], v[78:79], v[76:77]
	v_fma_f64 v[92:93], -v[2:3], v[102:103], v[30:31]
	;; [unrolled: 1-line block ×4, first 2 shown]
	v_mul_f64 v[30:31], v[62:63], v[88:89]
	ds_read_b128 v[60:63], v70 offset:9792
	v_fma_f64 v[68:69], -v[14:15], v[86:87], v[84:85]
	ds_read_b128 v[84:87], v70 offset:9296
	s_waitcnt lgkmcnt(2)
	v_fma_f64 v[72:73], -v[12:13], v[72:73], v[76:77]
	ds_read_b128 v[76:79], v70 offset:9280
	v_fma_f64 v[80:81], -v[4:5], v[80:81], v[92:93]
	v_fma_f64 v[88:89], -v[20:21], v[96:97], v[90:91]
	;; [unrolled: 1-line block ×3, first 2 shown]
	s_waitcnt lgkmcnt(0)
	v_fma_f64 v[68:69], -v[16:17], v[76:77], v[68:69]
	v_fma_f64 v[90:91], -v[14:15], v[74:75], v[72:73]
	ds_read_b128 v[64:67], v70 offset:8800
	ds_read_b128 v[72:75], v70 offset:10272
	v_fma_f64 v[92:93], -v[6:7], v[82:83], v[80:81]
	ds_read_b128 v[80:83], v70 offset:10288
	v_fma_f64 v[96:97], -v[22:23], v[98:99], v[88:89]
	v_fma_f64 v[68:69], -v[18:19], v[78:79], v[68:69]
	ds_read_b128 v[76:79], v70 offset:10752
	v_fma_f64 v[60:61], -v[16:17], v[60:61], v[90:91]
	ds_read_b128 v[88:91], v70 offset:10768
	s_waitcnt lgkmcnt(3)
	v_fma_f64 v[72:73], -v[8:9], v[72:73], v[92:93]
	ds_read_b128 v[92:95], v70 offset:8816
	s_waitcnt lgkmcnt(2)
	v_fma_f64 v[32:33], -v[0:1], v[76:77], v[32:33]
	v_fma_f64 v[64:65], -v[24:25], v[64:65], v[96:97]
	;; [unrolled: 1-line block ×3, first 2 shown]
	ds_read2_b64 v[96:99], v110 offset0:16 offset1:81
	v_fma_f64 v[76:77], -v[18:19], v[62:63], v[60:61]
	ds_read_b128 v[60:63], v70 offset:9808
	v_fma_f64 v[84:85], -v[10:11], v[74:75], v[72:73]
	v_fma_f64 v[32:33], -v[2:3], v[78:79], v[32:33]
	;; [unrolled: 1-line block ×4, first 2 shown]
	ds_read_b128 v[64:67], v70 offset:9312
	ds_read_b128 v[72:75], v70 offset:9824
	s_waitcnt lgkmcnt(2)
	v_fma_f64 v[60:61], -v[20:21], v[60:61], v[76:77]
	v_fma_f64 v[80:81], -v[12:13], v[80:81], v[84:85]
	;; [unrolled: 1-line block ×3, first 2 shown]
	v_mul_f64 v[32:33], v[96:97], v[100:101]
	v_fma_f64 v[92:93], -v[28:29], v[92:93], v[78:79]
	ds_read_b128 v[76:79], v70 offset:9328
	s_waitcnt lgkmcnt(2)
	v_fma_f64 v[64:65], -v[24:25], v[64:65], v[68:69]
	v_fma_f64 v[68:69], -v[22:23], v[62:63], v[60:61]
	v_fma_f64 v[96:97], -v[14:15], v[82:83], v[80:81]
	v_fma_f64 v[108:109], -v[6:7], v[90:91], v[84:85]
	ds_read_b128 v[60:63], v70 offset:10784
	ds_read_b128 v[80:83], v70 offset:11264
	;; [unrolled: 1-line block ×6, first 2 shown]
	s_waitcnt lgkmcnt(4)
	v_fma_f64 v[34:35], -v[0:1], v[80:81], v[34:35]
	v_fma_f64 v[68:69], -v[24:25], v[72:73], v[68:69]
	s_waitcnt lgkmcnt(3)
	v_fma_f64 v[80:81], -v[16:17], v[84:85], v[96:97]
	v_fma_f64 v[84:85], -v[30:31], v[94:95], v[92:93]
	;; [unrolled: 1-line block ×5, first 2 shown]
	v_add_u32_e32 v94, 0x2000, v70
	ds_read2_b64 v[64:67], v94 offset0:80 offset1:210
	v_fma_f64 v[68:69], -v[26:27], v[74:75], v[68:69]
	v_fma_f64 v[80:81], -v[18:19], v[86:87], v[80:81]
	;; [unrolled: 1-line block ×3, first 2 shown]
	s_waitcnt lgkmcnt(0)
	v_fma_f64 v[64:65], -v[32:33], v[64:65], v[84:85]
	v_fma_f64 v[76:77], -v[28:29], v[76:77], v[92:93]
	;; [unrolled: 1-line block ×3, first 2 shown]
	ds_read_b128 v[60:63], v70 offset:9840
	v_fma_f64 v[80:81], -v[20:21], v[88:89], v[80:81]
	v_fma_f64 v[84:85], -v[12:13], v[100:101], v[72:73]
	ds_read_b128 v[72:75], v70 offset:9344
	v_mul_f64 v[34:35], v[98:99], v[64:65]
	v_fma_f64 v[64:65], -v[30:31], v[78:79], v[76:77]
	s_waitcnt lgkmcnt(1)
	v_fma_f64 v[60:61], -v[28:29], v[60:61], v[68:69]
	v_fma_f64 v[68:69], -v[6:7], v[106:107], v[82:83]
	ds_read_b128 v[76:79], v70 offset:9856
	v_add_u32_e32 v106, 0x2800, v71
	v_fma_f64 v[100:101], -v[14:15], v[102:103], v[84:85]
	v_fma_f64 v[102:103], -v[22:23], v[90:91], v[80:81]
	ds_read_b128 v[80:83], v70 offset:11296
	ds_read_b128 v[84:87], v70 offset:10816
	;; [unrolled: 1-line block ×5, first 2 shown]
	s_waitcnt lgkmcnt(6)
	v_fma_f64 v[64:65], -v[32:33], v[72:73], v[64:65]
	s_waitcnt lgkmcnt(4)
	v_fma_f64 v[68:69], -v[8:9], v[80:81], v[68:69]
	s_waitcnt lgkmcnt(3)
	v_fma_f64 v[80:81], -v[16:17], v[84:85], v[100:101]
	v_fma_f64 v[84:85], -v[30:31], v[62:63], v[60:61]
	ds_read_b128 v[60:63], v70 offset:10352
	s_waitcnt lgkmcnt(3)
	v_fma_f64 v[88:89], -v[24:25], v[88:89], v[102:103]
	ds_read_b128 v[100:103], v70 offset:11776
	v_fma_f64 v[68:69], -v[10:11], v[82:83], v[68:69]
	v_fma_f64 v[64:65], -v[34:35], v[74:75], v[64:65]
	ds_read2_b64 v[72:75], v110 offset0:146 offset1:211
	v_fma_f64 v[80:81], -v[18:19], v[86:87], v[80:81]
	s_waitcnt lgkmcnt(1)
	v_fma_f64 v[82:83], -v[0:1], v[100:101], v[36:37]
	v_fma_f64 v[76:77], -v[32:33], v[76:77], v[84:85]
	;; [unrolled: 1-line block ×4, first 2 shown]
	s_waitcnt lgkmcnt(0)
	v_mul_f64 v[36:37], v[72:73], v[64:65]
	v_fma_f64 v[80:81], -v[20:21], v[92:93], v[80:81]
	v_fma_f64 v[64:65], -v[2:3], v[102:103], v[82:83]
	;; [unrolled: 1-line block ×3, first 2 shown]
	ds_read_b128 v[76:79], v70 offset:11792
	v_fma_f64 v[60:61], -v[28:29], v[60:61], v[84:85]
	v_fma_f64 v[68:69], -v[14:15], v[98:99], v[68:69]
	;; [unrolled: 1-line block ×3, first 2 shown]
	s_waitcnt lgkmcnt(0)
	v_fma_f64 v[64:65], -v[4:5], v[76:77], v[64:65]
	ds_read_b128 v[80:83], v70 offset:11328
	ds_read_b128 v[84:87], v70 offset:11808
	;; [unrolled: 1-line block ×6, first 2 shown]
	v_fma_f64 v[72:73], -v[36:37], v[66:67], v[72:73]
	s_waitcnt lgkmcnt(3)
	v_fma_f64 v[38:39], -v[0:1], v[88:89], v[38:39]
	v_fma_f64 v[68:69], -v[16:17], v[80:81], v[68:69]
	;; [unrolled: 1-line block ×4, first 2 shown]
	s_waitcnt lgkmcnt(2)
	v_fma_f64 v[92:93], -v[24:25], v[92:93], v[104:105]
	ds_read_b128 v[76:79], v70 offset:10368
	ds_read_b128 v[64:67], v70 offset:10384
	;; [unrolled: 1-line block ×3, first 2 shown]
	v_fma_f64 v[38:39], -v[2:3], v[90:91], v[38:39]
	v_fma_f64 v[68:69], -v[18:19], v[82:83], v[68:69]
	s_waitcnt lgkmcnt(2)
	v_fma_f64 v[76:77], -v[32:33], v[76:77], v[80:81]
	v_fma_f64 v[82:83], -v[8:9], v[84:85], v[88:89]
	;; [unrolled: 1-line block ×4, first 2 shown]
	v_mul_f64 v[38:39], v[74:75], v[72:73]
	ds_read_b128 v[72:75], v70 offset:11824
	v_fma_f64 v[86:87], -v[10:11], v[86:87], v[82:83]
	v_fma_f64 v[68:69], -v[20:21], v[96:97], v[68:69]
	s_waitcnt lgkmcnt(1)
	v_fma_f64 v[60:61], -v[28:29], v[60:61], v[80:81]
	v_fma_f64 v[100:101], -v[34:35], v[78:79], v[76:77]
	ds_read_b128 v[76:79], v70 offset:11840
	ds_read_b128 v[80:83], v70 offset:12800
	v_fma_f64 v[102:103], -v[6:7], v[102:103], v[84:85]
	s_waitcnt lgkmcnt(2)
	v_fma_f64 v[72:73], -v[12:13], v[72:73], v[86:87]
	ds_read_b128 v[84:87], v70 offset:12320
	ds_read_b128 v[88:91], v70 offset:11360
	;; [unrolled: 1-line block ×3, first 2 shown]
	v_fma_f64 v[68:69], -v[22:23], v[98:99], v[68:69]
	s_waitcnt lgkmcnt(3)
	v_fma_f64 v[40:41], -v[0:1], v[80:81], v[40:41]
	ds_read_b128 v[96:99], v70 offset:12336
	v_fma_f64 v[64:65], -v[36:37], v[64:65], v[100:101]
	s_waitcnt lgkmcnt(3)
	v_fma_f64 v[80:81], -v[8:9], v[84:85], v[102:103]
	v_fma_f64 v[84:85], -v[30:31], v[62:63], v[60:61]
	;; [unrolled: 1-line block ×3, first 2 shown]
	ds_read_b128 v[72:75], v70 offset:10880
	s_waitcnt lgkmcnt(3)
	v_fma_f64 v[68:69], -v[24:25], v[88:89], v[68:69]
	v_fma_f64 v[40:41], -v[2:3], v[82:83], v[40:41]
	ds_read_b128 v[60:63], v70 offset:11376
	v_fma_f64 v[100:101], -v[38:39], v[66:67], v[64:65]
	v_fma_f64 v[86:87], -v[10:11], v[86:87], v[80:81]
	ds_read_b128 v[80:83], v70 offset:10896
	s_waitcnt lgkmcnt(2)
	v_fma_f64 v[72:73], -v[32:33], v[72:73], v[84:85]
	v_fma_f64 v[76:77], -v[16:17], v[76:77], v[102:103]
	;; [unrolled: 1-line block ×4, first 2 shown]
	ds_read_b128 v[64:67], v70 offset:11856
	v_fma_f64 v[102:103], -v[34:35], v[74:75], v[72:73]
	ds_read_b128 v[72:75], v70 offset:11872
	v_fma_f64 v[84:85], -v[12:13], v[96:97], v[86:87]
	v_fma_f64 v[86:87], -v[18:19], v[78:79], v[76:77]
	s_waitcnt lgkmcnt(3)
	v_fma_f64 v[60:61], -v[28:29], v[60:61], v[68:69]
	v_fma_f64 v[40:41], -v[6:7], v[94:95], v[40:41]
	ds_read_b128 v[76:79], v70 offset:12832
	s_waitcnt lgkmcnt(3)
	v_fma_f64 v[80:81], -v[36:37], v[80:81], v[102:103]
	v_fma_f64 v[68:69], -v[14:15], v[98:99], v[84:85]
	s_waitcnt lgkmcnt(2)
	v_fma_f64 v[64:65], -v[20:21], v[64:65], v[86:87]
	ds_read_b128 v[84:87], v70 offset:12352
	ds_read2_b64 v[88:91], v106 offset0:20 offset1:85
	ds_read_b128 v[92:95], v70 offset:12848
	s_waitcnt lgkmcnt(3)
	v_fma_f64 v[76:77], -v[8:9], v[76:77], v[40:41]
	ds_read_b128 v[96:99], v70 offset:12368
	s_waitcnt lgkmcnt(2)
	v_mul_f64 v[40:41], v[88:89], v[100:101]
	v_fma_f64 v[68:69], -v[16:17], v[84:85], v[68:69]
	v_fma_f64 v[84:85], -v[30:31], v[62:63], v[60:61]
	;; [unrolled: 1-line block ×3, first 2 shown]
	ds_read_b128 v[60:63], v70 offset:11392
	ds_read_b128 v[64:67], v70 offset:11408
	v_fma_f64 v[88:89], -v[10:11], v[78:79], v[76:77]
	v_add_u32_e32 v76, 0x2800, v70
	ds_read2_b64 v[76:79], v76 offset0:84 offset1:214
	v_fma_f64 v[68:69], -v[18:19], v[86:87], v[68:69]
	s_waitcnt lgkmcnt(2)
	v_fma_f64 v[60:61], -v[32:33], v[60:61], v[84:85]
	v_fma_f64 v[72:73], -v[24:25], v[72:73], v[104:105]
	;; [unrolled: 1-line block ×3, first 2 shown]
	ds_read_b128 v[80:83], v70 offset:13312
	v_fma_f64 v[84:85], -v[12:13], v[92:93], v[88:89]
	v_fma_f64 v[88:89], -v[34:35], v[62:63], v[60:61]
	s_waitcnt lgkmcnt(0)
	v_fma_f64 v[42:43], -v[0:1], v[80:81], v[42:43]
	ds_read_b128 v[60:63], v70 offset:13328
	v_fma_f64 v[100:101], -v[14:15], v[94:95], v[84:85]
	ds_read_b128 v[92:95], v70 offset:12864
	v_fma_f64 v[68:69], -v[20:21], v[96:97], v[68:69]
	v_fma_f64 v[96:97], -v[26:27], v[74:75], v[72:73]
	;; [unrolled: 1-line block ×4, first 2 shown]
	ds_read_b128 v[72:75], v70 offset:11888
	ds_read_b128 v[80:83], v70 offset:12880
	s_waitcnt lgkmcnt(2)
	v_fma_f64 v[92:93], -v[16:17], v[92:93], v[100:101]
	ds_read_b128 v[84:87], v70 offset:11904
	v_fma_f64 v[68:69], -v[22:23], v[98:99], v[68:69]
	ds_read_b128 v[100:103], v70 offset:12400
	v_fma_f64 v[42:43], -v[4:5], v[60:61], v[42:43]
	v_fma_f64 v[60:61], -v[40:41], v[76:77], v[104:105]
	;; [unrolled: 1-line block ×3, first 2 shown]
	ds_read_b128 v[64:67], v70 offset:11424
	s_waitcnt lgkmcnt(4)
	v_fma_f64 v[72:73], -v[28:29], v[72:73], v[96:97]
	ds_read_b128 v[96:99], v70 offset:12384
	s_waitcnt lgkmcnt(1)
	v_fma_f64 v[64:65], -v[40:41], v[64:65], v[76:77]
	v_fma_f64 v[72:73], -v[30:31], v[74:75], v[72:73]
	;; [unrolled: 1-line block ×3, first 2 shown]
	ds_read_b128 v[92:95], v70 offset:12416
	s_waitcnt lgkmcnt(1)
	v_fma_f64 v[68:69], -v[24:25], v[96:97], v[68:69]
	v_fma_f64 v[80:81], -v[20:21], v[80:81], v[74:75]
	v_fma_f64 v[68:69], -v[26:27], v[98:99], v[68:69]
	v_fma_f64 v[96:97], -v[22:23], v[82:83], v[80:81]
	ds_read_b128 v[80:83], v70 offset:11936
	v_fma_f64 v[72:73], -v[32:33], v[84:85], v[72:73]
	v_fma_f64 v[84:85], -v[6:7], v[62:63], v[42:43]
	v_mul_f64 v[42:43], v[90:91], v[60:61]
	ds_read_b128 v[60:63], v70 offset:13344
	ds_read_b128 v[88:91], v70 offset:12896
	v_fma_f64 v[76:77], -v[34:35], v[86:87], v[72:73]
	s_waitcnt lgkmcnt(1)
	v_fma_f64 v[60:61], -v[8:9], v[60:61], v[84:85]
	ds_read_b128 v[84:87], v70 offset:11920
	v_fma_f64 v[68:69], -v[28:29], v[100:101], v[68:69]
	ds_read_b128 v[72:75], v70 offset:13360
	v_fma_f64 v[104:105], -v[42:43], v[66:67], v[64:65]
	ds_read_b128 v[64:67], v70 offset:12432
	s_waitcnt lgkmcnt(3)
	v_fma_f64 v[88:89], -v[24:25], v[88:89], v[96:97]
	s_waitcnt lgkmcnt(2)
	v_fma_f64 v[76:77], -v[36:37], v[84:85], v[76:77]
	v_fma_f64 v[84:85], -v[10:11], v[62:63], v[60:61]
	ds_read_b128 v[60:63], v70 offset:12912
	v_fma_f64 v[68:69], -v[30:31], v[102:103], v[68:69]
	ds_read2_b64 v[96:99], v106 offset0:150 offset1:215
	ds_read_b128 v[100:103], v70 offset:13824
	v_fma_f64 v[76:77], -v[38:39], v[86:87], v[76:77]
	s_waitcnt lgkmcnt(4)
	v_fma_f64 v[72:73], -v[12:13], v[72:73], v[84:85]
	v_fma_f64 v[84:85], -v[26:27], v[90:91], v[88:89]
	;; [unrolled: 1-line block ×3, first 2 shown]
	s_waitcnt lgkmcnt(0)
	v_fma_f64 v[86:87], -v[0:1], v[100:101], v[44:45]
	v_mul_f64 v[44:45], v[96:97], v[104:105]
	v_fma_f64 v[76:77], -v[40:41], v[80:81], v[76:77]
	v_fma_f64 v[92:93], -v[14:15], v[74:75], v[72:73]
	ds_read_b128 v[72:75], v70 offset:13376
	v_fma_f64 v[68:69], -v[34:35], v[94:95], v[68:69]
	v_fma_f64 v[60:61], -v[28:29], v[60:61], v[84:85]
	v_fma_f64 v[80:81], -v[2:3], v[102:103], v[86:87]
	ds_read_b128 v[84:87], v70 offset:13392
	ds_read_b128 v[88:91], v70 offset:13840
	v_fma_f64 v[76:77], -v[42:43], v[82:83], v[76:77]
	v_fma_f64 v[64:65], -v[36:37], v[64:65], v[68:69]
	s_waitcnt lgkmcnt(2)
	v_fma_f64 v[68:69], -v[16:17], v[72:73], v[92:93]
	v_fma_f64 v[92:93], -v[30:31], v[62:63], v[60:61]
	s_waitcnt lgkmcnt(0)
	v_fma_f64 v[88:89], -v[4:5], v[88:89], v[80:81]
	ds_read_b128 v[80:83], v70 offset:12928
	v_fma_f64 v[96:97], -v[44:45], v[78:79], v[76:77]
	ds_read_b128 v[76:79], v70 offset:12464
	ds_read_b128 v[60:63], v70 offset:13856
	v_fma_f64 v[94:95], -v[38:39], v[66:67], v[64:65]
	v_fma_f64 v[68:69], -v[18:19], v[74:75], v[68:69]
	ds_read_b128 v[64:67], v70 offset:12448
	ds_read_b128 v[72:75], v70 offset:12944
	s_waitcnt lgkmcnt(4)
	v_fma_f64 v[80:81], -v[32:33], v[80:81], v[92:93]
	v_fma_f64 v[92:93], -v[6:7], v[90:91], v[88:89]
	ds_read_b128 v[88:91], v70 offset:14336
	s_waitcnt lgkmcnt(2)
	v_fma_f64 v[64:65], -v[40:41], v[64:65], v[94:95]
	v_fma_f64 v[68:69], -v[20:21], v[84:85], v[68:69]
	s_waitcnt lgkmcnt(0)
	v_fma_f64 v[88:89], -v[0:1], v[88:89], v[46:47]
	v_fma_f64 v[84:85], -v[34:35], v[82:83], v[80:81]
	;; [unrolled: 1-line block ×3, first 2 shown]
	v_mul_f64 v[46:47], v[98:99], v[96:97]
	ds_read_b128 v[80:83], v70 offset:14352
	v_fma_f64 v[92:93], -v[42:43], v[66:67], v[64:65]
	v_fma_f64 v[68:69], -v[22:23], v[86:87], v[68:69]
	ds_read_b128 v[64:67], v70 offset:13408
	v_fma_f64 v[96:97], -v[2:3], v[90:91], v[88:89]
	v_fma_f64 v[72:73], -v[36:37], v[72:73], v[84:85]
	ds_read_b128 v[84:87], v70 offset:13424
	v_fma_f64 v[94:95], -v[10:11], v[62:63], v[60:61]
	ds_read_b128 v[60:63], v70 offset:13872
	ds_read_b128 v[88:91], v70 offset:12960
	s_waitcnt lgkmcnt(3)
	v_fma_f64 v[64:65], -v[24:25], v[64:65], v[68:69]
	v_fma_f64 v[68:69], -v[44:45], v[76:77], v[92:93]
	;; [unrolled: 1-line block ×3, first 2 shown]
	ds_read_b128 v[72:75], v70 offset:13888
	s_waitcnt lgkmcnt(2)
	v_fma_f64 v[60:61], -v[12:13], v[60:61], v[94:95]
	v_fma_f64 v[92:93], -v[26:27], v[66:67], v[64:65]
	ds_read_b128 v[64:67], v70 offset:12976
	v_fma_f64 v[68:69], -v[46:47], v[78:79], v[68:69]
	s_waitcnt lgkmcnt(2)
	v_fma_f64 v[88:89], -v[40:41], v[88:89], v[76:77]
	v_fma_f64 v[61:62], -v[14:15], v[62:63], v[60:61]
	v_add_u32_e32 v60, 0x3000, v71
	ds_read2_b64 v[76:79], v60 offset0:24 offset1:89
	v_fma_f64 v[84:85], -v[28:29], v[84:85], v[92:93]
	ds_read_b128 v[92:95], v70 offset:14384
	v_fma_f64 v[80:81], -v[4:5], v[80:81], v[96:97]
	v_fma_f64 v[108:109], -v[42:43], v[90:91], v[88:89]
	ds_read_b128 v[88:91], v70 offset:14848
	s_waitcnt lgkmcnt(4)
	v_fma_f64 v[61:62], -v[16:17], v[72:73], v[61:62]
	s_waitcnt lgkmcnt(0)
	v_fma_f64 v[58:59], -v[0:1], v[88:89], v[58:59]
	v_fma_f64 v[96:97], -v[6:7], v[82:83], v[80:81]
	ds_read_b128 v[80:83], v70 offset:14368
	v_fma_f64 v[88:89], -v[30:31], v[86:87], v[84:85]
	v_fma_f64 v[61:62], -v[18:19], v[74:75], v[61:62]
	;; [unrolled: 1-line block ×4, first 2 shown]
	s_waitcnt lgkmcnt(0)
	v_fma_f64 v[80:81], -v[8:9], v[80:81], v[96:97]
	ds_read_b128 v[96:99], v70 offset:14864
	ds_read_b128 v[84:87], v70 offset:13440
	;; [unrolled: 1-line block ×5, first 2 shown]
	s_waitcnt lgkmcnt(3)
	v_fma_f64 v[84:85], -v[32:33], v[84:85], v[88:89]
	s_waitcnt lgkmcnt(1)
	v_fma_f64 v[72:73], -v[0:1], v[72:73], v[56:57]
	v_fma_f64 v[110:111], -v[10:11], v[82:83], v[80:81]
	ds_read_b128 v[80:83], v70 offset:15376
	ds_read_b128 v[88:91], v70 offset:15872
	s_waitcnt lgkmcnt(2)
	v_fma_f64 v[104:105], -v[20:21], v[104:105], v[61:62]
	v_fma_f64 v[96:97], -v[4:5], v[96:97], v[112:113]
	v_mul_f64 v[61:62], v[76:77], v[68:69]
	ds_read_b128 v[56:59], v70 offset:13920
	v_fma_f64 v[68:69], -v[2:3], v[74:75], v[72:73]
	s_waitcnt lgkmcnt(1)
	v_fma_f64 v[54:55], -v[0:1], v[88:89], v[54:55]
	v_fma_f64 v[92:93], -v[12:13], v[92:93], v[110:111]
	;; [unrolled: 1-line block ×5, first 2 shown]
	ds_read_b128 v[72:75], v70 offset:14880
	v_fma_f64 v[112:113], -v[46:47], v[66:67], v[63:64]
	v_fma_f64 v[68:69], -v[4:5], v[80:81], v[68:69]
	;; [unrolled: 1-line block ×4, first 2 shown]
	ds_read_b128 v[84:87], v70 offset:14400
	ds_read_b128 v[88:91], v70 offset:14416
	;; [unrolled: 1-line block ×4, first 2 shown]
	v_fma_f64 v[76:77], -v[36:37], v[100:101], v[76:77]
	s_waitcnt lgkmcnt(4)
	v_fma_f64 v[72:73], -v[8:9], v[72:73], v[106:107]
	v_fma_f64 v[100:101], -v[24:25], v[56:57], v[108:109]
	ds_read_b128 v[63:66], v70 offset:13936
	v_fma_f64 v[68:69], -v[6:7], v[82:83], v[68:69]
	s_waitcnt lgkmcnt(1)
	v_fma_f64 v[96:97], -v[4:5], v[96:97], v[54:55]
	v_fma_f64 v[84:85], -v[16:17], v[84:85], v[104:105]
	ds_read_b128 v[104:107], v70 offset:15392
	ds_read_b128 v[80:83], v70 offset:15904
	;; [unrolled: 1-line block ×3, first 2 shown]
	v_fma_f64 v[72:73], -v[10:11], v[74:75], v[72:73]
	v_fma_f64 v[58:59], -v[26:27], v[58:59], v[100:101]
	s_waitcnt lgkmcnt(2)
	v_fma_f64 v[68:69], -v[8:9], v[104:105], v[68:69]
	v_fma_f64 v[74:75], -v[6:7], v[98:99], v[96:97]
	;; [unrolled: 1-line block ×4, first 2 shown]
	v_add_u32_e32 v110, 0x3000, v70
	v_fma_f64 v[92:93], -v[12:13], v[92:93], v[72:73]
	v_fma_f64 v[58:59], -v[28:29], v[63:64], v[58:59]
	;; [unrolled: 1-line block ×3, first 2 shown]
	s_waitcnt lgkmcnt(1)
	v_fma_f64 v[80:81], -v[8:9], v[80:81], v[74:75]
	v_fma_f64 v[88:89], -v[20:21], v[88:89], v[84:85]
	ds_read_b128 v[72:75], v70 offset:13472
	ds_read_b128 v[84:87], v70 offset:13952
	v_fma_f64 v[96:97], -v[14:15], v[94:95], v[92:93]
	ds_read_b128 v[92:95], v70 offset:14912
	s_waitcnt lgkmcnt(3)
	v_fma_f64 v[54:55], -v[12:13], v[54:55], v[67:68]
	v_fma_f64 v[63:64], -v[10:11], v[82:83], v[80:81]
	;; [unrolled: 1-line block ×3, first 2 shown]
	ds_read_b128 v[80:83], v70 offset:14928
	ds_read_b128 v[88:91], v70 offset:15920
	v_fma_f64 v[58:59], -v[30:31], v[65:66], v[58:59]
	s_waitcnt lgkmcnt(4)
	v_fma_f64 v[72:73], -v[40:41], v[72:73], v[76:77]
	s_waitcnt lgkmcnt(2)
	v_fma_f64 v[92:93], -v[16:17], v[92:93], v[96:97]
	ds_read_b128 v[96:99], v70 offset:14432
	v_fma_f64 v[108:109], -v[14:15], v[56:57], v[54:55]
	s_waitcnt lgkmcnt(1)
	v_fma_f64 v[63:64], -v[12:13], v[88:89], v[63:64]
	ds_read_b128 v[54:57], v70 offset:15936
	ds_read_b128 v[100:103], v70 offset:15424
	;; [unrolled: 1-line block ×3, first 2 shown]
	s_waitcnt lgkmcnt(3)
	v_fma_f64 v[67:68], -v[24:25], v[96:97], v[67:68]
	v_fma_f64 v[58:59], -v[32:33], v[84:85], v[58:59]
	;; [unrolled: 1-line block ×3, first 2 shown]
	ds_read_b128 v[92:95], v70 offset:15440
	s_waitcnt lgkmcnt(2)
	v_fma_f64 v[96:97], -v[16:17], v[100:101], v[108:109]
	v_fma_f64 v[90:91], -v[14:15], v[90:91], v[63:64]
	ds_read2_b64 v[108:111], v110 offset0:88 offset1:218
	ds_read_b128 v[63:66], v70 offset:13488
	v_fma_f64 v[67:68], -v[26:27], v[98:99], v[67:68]
	v_fma_f64 v[58:59], -v[34:35], v[86:87], v[58:59]
	v_fma_f64 v[76:77], -v[20:21], v[80:81], v[88:89]
	s_waitcnt lgkmcnt(1)
	v_fma_f64 v[108:109], -v[61:62], v[108:109], v[112:113]
	v_fma_f64 v[80:81], -v[18:19], v[102:103], v[96:97]
	;; [unrolled: 1-line block ×4, first 2 shown]
	ds_read_b128 v[72:75], v70 offset:14944
	v_fma_f64 v[67:68], -v[28:29], v[104:105], v[67:68]
	v_fma_f64 v[76:77], -v[22:23], v[82:83], v[76:77]
	;; [unrolled: 1-line block ×4, first 2 shown]
	ds_read_b128 v[54:57], v70 offset:14960
	ds_read_b128 v[80:83], v70 offset:15952
	v_fma_f64 v[67:68], -v[30:31], v[106:107], v[67:68]
	s_waitcnt lgkmcnt(2)
	v_fma_f64 v[72:73], -v[24:25], v[72:73], v[76:77]
	v_fma_f64 v[76:77], -v[22:23], v[94:95], v[84:85]
	s_waitcnt lgkmcnt(0)
	v_fma_f64 v[80:81], -v[20:21], v[80:81], v[88:89]
	ds_read_b128 v[84:87], v70 offset:15968
	ds_read_b128 v[88:91], v70 offset:15456
	;; [unrolled: 1-line block ×5, first 2 shown]
	v_fma_f64 v[104:105], -v[26:27], v[74:75], v[72:73]
	s_waitcnt lgkmcnt(2)
	v_fma_f64 v[58:59], -v[36:37], v[92:93], v[58:59]
	v_fma_f64 v[76:77], -v[24:25], v[88:89], v[76:77]
	;; [unrolled: 1-line block ×3, first 2 shown]
	s_waitcnt lgkmcnt(1)
	v_fma_f64 v[67:68], -v[32:33], v[96:97], v[67:68]
	v_fma_f64 v[96:97], -v[44:45], v[63:64], v[112:113]
	ds_read_b128 v[72:75], v70 offset:15472
	ds_read_b128 v[80:83], v70 offset:13984
	v_fma_f64 v[54:55], -v[28:29], v[54:55], v[104:105]
	v_fma_f64 v[58:59], -v[38:39], v[94:95], v[58:59]
	;; [unrolled: 1-line block ×6, first 2 shown]
	ds_read_b128 v[88:91], v70 offset:13504
	v_mul_f64 v[63:64], v[78:79], v[108:109]
	v_fma_f64 v[96:97], -v[30:31], v[56:57], v[54:55]
	ds_read_b128 v[54:57], v70 offset:14976
	s_waitcnt lgkmcnt(3)
	v_fma_f64 v[72:73], -v[28:29], v[72:73], v[76:77]
	v_fma_f64 v[84:85], -v[26:27], v[86:87], v[84:85]
	;; [unrolled: 1-line block ×3, first 2 shown]
	ds_read_b128 v[65:68], v70 offset:14992
	ds_read_b128 v[76:79], v70 offset:15984
	s_waitcnt lgkmcnt(4)
	v_fma_f64 v[58:59], -v[40:41], v[80:81], v[58:59]
	s_waitcnt lgkmcnt(3)
	v_fma_f64 v[88:89], -v[61:62], v[88:89], v[92:93]
	;; [unrolled: 2-line block ×3, first 2 shown]
	v_fma_f64 v[80:81], -v[30:31], v[74:75], v[72:73]
	s_waitcnt lgkmcnt(0)
	v_fma_f64 v[76:77], -v[28:29], v[76:77], v[84:85]
	ds_read_b128 v[84:87], v70 offset:15488
	v_fma_f64 v[96:97], -v[38:39], v[102:103], v[94:95]
	ds_read_b128 v[92:95], v70 offset:14496
	ds_read_b128 v[72:75], v70 offset:16000
	v_fma_f64 v[98:99], -v[34:35], v[56:57], v[54:55]
	v_fma_f64 v[58:59], -v[42:43], v[82:83], v[58:59]
	s_waitcnt lgkmcnt(2)
	v_fma_f64 v[84:85], -v[32:33], v[84:85], v[80:81]
	v_fma_f64 v[100:101], -v[30:31], v[78:79], v[76:77]
	ds_read_b128 v[54:57], v70 offset:15504
	ds_read_b128 v[76:79], v70 offset:14000
	;; [unrolled: 1-line block ×3, first 2 shown]
	s_waitcnt lgkmcnt(4)
	v_fma_f64 v[92:93], -v[40:41], v[92:93], v[96:97]
	v_fma_f64 v[65:66], -v[36:37], v[65:66], v[98:99]
	s_waitcnt lgkmcnt(1)
	v_fma_f64 v[58:59], -v[44:45], v[76:77], v[58:59]
	v_fma_f64 v[96:97], -v[34:35], v[86:87], v[84:85]
	;; [unrolled: 1-line block ×4, first 2 shown]
	ds_read_b128 v[84:87], v70 offset:14016
	v_fma_f64 v[90:91], -v[42:43], v[94:95], v[92:93]
	v_fma_f64 v[88:89], -v[38:39], v[67:68], v[65:66]
	ds_read_b128 v[65:68], v70 offset:15008
	v_fma_f64 v[54:55], -v[36:37], v[54:55], v[96:97]
	v_fma_f64 v[92:93], -v[34:35], v[74:75], v[72:73]
	;; [unrolled: 1-line block ×3, first 2 shown]
	ds_read_b128 v[72:75], v70 offset:15024
	ds_read_b128 v[76:79], v70 offset:16016
	s_waitcnt lgkmcnt(4)
	v_fma_f64 v[80:81], -v[44:45], v[80:81], v[90:91]
	s_waitcnt lgkmcnt(2)
	v_fma_f64 v[65:66], -v[40:41], v[65:66], v[88:89]
	v_fma_f64 v[96:97], -v[38:39], v[56:57], v[54:55]
	s_waitcnt lgkmcnt(0)
	v_fma_f64 v[76:77], -v[36:37], v[76:77], v[92:93]
	ds_read_b128 v[54:57], v70 offset:16032
	ds_read_b128 v[88:91], v70 offset:15520
	ds_read2_b64 v[92:95], v60 offset0:154 offset1:219
	v_fma_f64 v[58:59], -v[61:62], v[84:85], v[58:59]
	v_fma_f64 v[100:101], -v[46:47], v[82:83], v[80:81]
	v_fma_f64 v[84:85], -v[42:43], v[67:68], v[65:66]
	ds_read_b128 v[65:68], v70 offset:15536
	s_waitcnt lgkmcnt(2)
	v_fma_f64 v[88:89], -v[40:41], v[88:89], v[96:97]
	v_fma_f64 v[96:97], -v[38:39], v[78:79], v[76:77]
	s_waitcnt lgkmcnt(1)
	v_mul_f64 v[76:77], v[92:93], v[98:99]
	ds_read_b128 v[78:81], v70 offset:14528
	v_fma_f64 v[58:59], -v[63:64], v[86:87], v[58:59]
	v_add_u32_e32 v60, 0x3800, v71
	v_fma_f64 v[72:73], -v[44:45], v[72:73], v[84:85]
	ds_read_b128 v[82:85], v70 offset:14544
	v_fma_f64 v[86:87], -v[42:43], v[90:91], v[88:89]
	v_fma_f64 v[54:55], -v[40:41], v[54:55], v[96:97]
	s_waitcnt lgkmcnt(1)
	v_fma_f64 v[78:79], -v[61:62], v[78:79], v[100:101]
	v_fma_f64 v[58:59], -v[76:77], v[110:111], v[58:59]
	;; [unrolled: 1-line block ×3, first 2 shown]
	ds_read_b128 v[72:75], v70 offset:15040
	v_fma_f64 v[65:66], -v[44:45], v[65:66], v[86:87]
	v_fma_f64 v[92:93], -v[42:43], v[56:57], v[54:55]
	ds_read_b128 v[54:57], v70 offset:15056
	ds_read_b128 v[86:89], v70 offset:16048
	v_fma_f64 v[80:81], -v[63:64], v[80:81], v[78:79]
	v_mul_f64 v[78:79], v[94:95], v[58:59]
	s_waitcnt lgkmcnt(2)
	v_fma_f64 v[72:73], -v[61:62], v[72:73], v[90:91]
	v_fma_f64 v[58:59], -v[46:47], v[67:68], v[65:66]
	s_waitcnt lgkmcnt(0)
	v_fma_f64 v[86:87], -v[44:45], v[86:87], v[92:93]
	ds_read_b128 v[90:93], v70 offset:15552
	v_fma_f64 v[80:81], -v[76:77], v[82:83], v[80:81]
	ds_read_b128 v[65:68], v70 offset:16064
	;; [unrolled: 2-line block ×3, first 2 shown]
	s_waitcnt lgkmcnt(2)
	v_fma_f64 v[58:59], -v[61:62], v[90:91], v[58:59]
	v_fma_f64 v[86:87], -v[46:47], v[88:89], v[86:87]
	;; [unrolled: 1-line block ×4, first 2 shown]
	ds_read2_b64 v[80:83], v60 offset0:28 offset1:93
	v_fma_f64 v[58:59], -v[63:64], v[92:93], v[58:59]
	s_waitcnt lgkmcnt(2)
	v_fma_f64 v[65:66], -v[61:62], v[65:66], v[86:87]
	s_waitcnt lgkmcnt(0)
	v_mul_f64 v[54:55], v[80:81], v[84:85]
	v_fma_f64 v[80:81], -v[78:79], v[56:57], v[88:89]
	v_add_u32_e32 v56, 0x3800, v70
	v_fma_f64 v[71:72], -v[76:77], v[72:73], v[58:59]
	v_fma_f64 v[84:85], -v[63:64], v[67:68], v[65:66]
	ds_read2_b64 v[56:59], v56 offset0:92 offset1:222
	ds_read_b128 v[65:68], v70 offset:16080
	s_waitcnt lgkmcnt(1)
	v_fma_f64 v[56:57], -v[54:55], v[56:57], v[80:81]
	v_fma_f64 v[80:81], -v[78:79], v[74:75], v[71:72]
	s_waitcnt lgkmcnt(0)
	v_fma_f64 v[65:66], -v[76:77], v[65:66], v[84:85]
	ds_read_b128 v[71:74], v70 offset:16096
	ds_read_b128 v[84:87], v70 offset:15584
	v_mul_f64 v[56:57], v[82:83], v[56:57]
	s_waitcnt lgkmcnt(0)
	v_fma_f64 v[69:70], -v[54:55], v[84:85], v[80:81]
	v_fma_f64 v[65:66], -v[78:79], v[67:68], v[65:66]
	;; [unrolled: 1-line block ×4, first 2 shown]
	ds_read2_b64 v[65:68], v60 offset0:158 offset1:223
	global_store_dwordx4 v[52:53], v[0:3], off
	global_store_dwordx4 v[52:53], v[4:7], off offset:16
	global_store_dwordx4 v[52:53], v[8:11], off offset:32
	;; [unrolled: 1-line block ×14, first 2 shown]
	s_waitcnt lgkmcnt(0)
	v_mul_f64 v[65:66], v[65:66], v[69:70]
	v_fma_f64 v[69:70], -v[56:57], v[73:74], v[71:72]
	v_fma_f64 v[0:1], -v[65:66], v[58:59], v[69:70]
	v_mul_f64 v[67:68], v[67:68], v[0:1]
	global_store_dwordx4 v[52:53], v[65:68], off offset:240
	s_cbranch_scc1 .LBB108_16
; %bb.15:                               ;   in Loop: Header=BB108_10 Depth=1
	s_mov_b32 s6, s8
	s_branch .LBB108_10
.LBB108_16:
	s_cmp_lt_i32 s8, s22
	s_cbranch_scc0 .LBB108_36
; %bb.17:
	s_add_i32 s6, s8, 3
	s_cmp_ge_i32 s6, s22
	s_cbranch_scc1 .LBB108_30
; %bb.18:
	s_add_i32 s6, s8, -1
	s_lshl_b32 s7, s8, 9
	s_add_u32 s4, s14, s4
	s_addc_u32 s5, s15, s5
	s_add_u32 s2, s4, s2
	s_addc_u32 s3, s5, s3
	v_mov_b32_e32 v0, s3
	v_add_co_u32_e32 v14, vcc, s2, v50
	v_addc_co_u32_e32 v15, vcc, v0, v51, vcc
	v_add_co_u32_e32 v0, vcc, 56, v14
	v_addc_co_u32_e32 v1, vcc, 0, v15, vcc
	s_mov_b32 s3, 0
	s_mov_b32 s4, s8
	;; [unrolled: 1-line block ×3, first 2 shown]
.LBB108_19:                             ; =>This Loop Header: Depth=1
                                        ;     Child Loop BB108_22 Depth 2
                                        ;     Child Loop BB108_25 Depth 2
	s_ashr_i32 s9, s8, 31
	s_lshl_b64 s[12:13], s[8:9], 3
	v_mov_b32_e32 v3, s13
	v_add_co_u32_e32 v2, vcc, s12, v48
	v_addc_co_u32_e32 v3, vcc, v49, v3, vcc
	global_load_dwordx4 v[4:7], v[2:3], off
	global_load_dwordx4 v[16:19], v[2:3], off offset:16
	s_cmp_eq_u32 s8, 0
	s_waitcnt vmcnt(1)
	v_mul_f64 v[10:11], s[0:1], v[4:5]
	v_mul_f64 v[8:9], s[0:1], v[6:7]
	s_waitcnt vmcnt(0)
	v_mul_f64 v[6:7], s[0:1], v[16:17]
	v_mul_f64 v[4:5], s[0:1], v[18:19]
	s_cbranch_scc1 .LBB108_27
; %bb.20:                               ;   in Loop: Header=BB108_19 Depth=1
	s_lshl_b32 s2, s5, 2
	s_add_i32 s2, s6, s2
	s_cmp_lt_u32 s2, 7
	s_mov_b32 s2, 0
	s_cbranch_scc1 .LBB108_23
; %bb.21:                               ;   in Loop: Header=BB108_19 Depth=1
	v_mov_b32_e32 v13, v1
	s_and_b32 s2, s8, -8
	s_mov_b32 s9, 0
	v_mov_b32_e32 v12, v0
	s_mov_b32 s11, s7
.LBB108_22:                             ;   Parent Loop BB108_19 Depth=1
                                        ; =>  This Inner Loop Header: Depth=2
	global_load_dwordx4 v[16:19], v[12:13], off offset:-56
	global_load_dwordx4 v[20:23], v[12:13], off offset:-40
	;; [unrolled: 1-line block ×4, first 2 shown]
	v_mov_b32_e32 v66, s11
	ds_read_b128 v[32:35], v66
	ds_read_b128 v[36:39], v66 offset:16
	ds_read_b128 v[40:43], v66 offset:512
	;; [unrolled: 1-line block ×7, first 2 shown]
	s_add_i32 s9, s9, 8
	s_add_i32 s11, s11, 64
	v_add_co_u32_e32 v12, vcc, 64, v12
	s_cmp_lg_u32 s2, s9
	v_addc_co_u32_e32 v13, vcc, 0, v13, vcc
	s_waitcnt vmcnt(3) lgkmcnt(7)
	v_fma_f64 v[10:11], -v[16:17], v[32:33], v[10:11]
	s_waitcnt lgkmcnt(5)
	v_fma_f64 v[8:9], -v[16:17], v[40:41], v[8:9]
	s_waitcnt lgkmcnt(3)
	;; [unrolled: 2-line block ×3, first 2 shown]
	v_fma_f64 v[4:5], -v[16:17], v[58:59], v[4:5]
	v_fma_f64 v[10:11], -v[18:19], v[34:35], v[10:11]
	;; [unrolled: 1-line block ×5, first 2 shown]
	s_waitcnt vmcnt(2)
	v_fma_f64 v[36:37], -v[20:21], v[36:37], v[10:11]
	v_fma_f64 v[40:41], -v[20:21], v[44:45], v[8:9]
	;; [unrolled: 1-line block ×3, first 2 shown]
	s_waitcnt lgkmcnt(0)
	v_fma_f64 v[20:21], -v[20:21], v[62:63], v[4:5]
	ds_read_b128 v[4:7], v66 offset:32
	ds_read_b128 v[8:11], v66 offset:48
	;; [unrolled: 1-line block ×4, first 2 shown]
	v_fma_f64 v[50:51], -v[22:23], v[38:39], v[36:37]
	v_fma_f64 v[52:53], -v[22:23], v[46:47], v[40:41]
	;; [unrolled: 1-line block ×4, first 2 shown]
	ds_read_b128 v[20:23], v66 offset:1056
	ds_read_b128 v[36:39], v66 offset:1072
	;; [unrolled: 1-line block ×4, first 2 shown]
	s_waitcnt vmcnt(1) lgkmcnt(7)
	v_fma_f64 v[4:5], -v[24:25], v[4:5], v[50:51]
	s_waitcnt lgkmcnt(5)
	v_fma_f64 v[16:17], -v[24:25], v[16:17], v[52:53]
	s_waitcnt lgkmcnt(3)
	;; [unrolled: 2-line block ×3, first 2 shown]
	v_fma_f64 v[24:25], -v[24:25], v[40:41], v[56:57]
	v_fma_f64 v[4:5], -v[26:27], v[6:7], v[4:5]
	;; [unrolled: 1-line block ×5, first 2 shown]
	s_waitcnt vmcnt(0)
	v_fma_f64 v[4:5], -v[28:29], v[8:9], v[4:5]
	v_fma_f64 v[6:7], -v[28:29], v[32:33], v[6:7]
	;; [unrolled: 1-line block ×3, first 2 shown]
	s_waitcnt lgkmcnt(0)
	v_fma_f64 v[18:19], -v[28:29], v[44:45], v[18:19]
	v_fma_f64 v[10:11], -v[30:31], v[10:11], v[4:5]
	;; [unrolled: 1-line block ×5, first 2 shown]
	s_cbranch_scc1 .LBB108_22
.LBB108_23:                             ;   in Loop: Header=BB108_19 Depth=1
	s_and_b32 s9, s8, 7
	s_cmp_eq_u32 s9, 0
	s_cbranch_scc1 .LBB108_26
; %bb.24:                               ;   in Loop: Header=BB108_19 Depth=1
	s_lshl_b64 s[12:13], s[2:3], 3
	v_mov_b32_e32 v13, s13
	v_add_co_u32_e32 v12, vcc, s12, v14
	s_and_b32 s9, s4, 7
	s_lshl_b32 s11, s2, 3
	v_addc_co_u32_e32 v13, vcc, v15, v13, vcc
.LBB108_25:                             ;   Parent Loop BB108_19 Depth=1
                                        ; =>  This Inner Loop Header: Depth=2
	global_load_dwordx2 v[24:25], v[12:13], off
	s_add_i32 s2, s7, s11
	v_mov_b32_e32 v20, s2
	ds_read2st64_b64 v[16:19], v20 offset1:1
	ds_read2st64_b64 v[20:23], v20 offset0:2 offset1:3
	s_add_i32 s11, s11, 8
	s_add_i32 s9, s9, -1
	v_add_co_u32_e32 v12, vcc, 8, v12
	s_cmp_lg_u32 s9, 0
	v_addc_co_u32_e32 v13, vcc, 0, v13, vcc
	s_waitcnt vmcnt(0) lgkmcnt(1)
	v_fma_f64 v[10:11], -v[24:25], v[16:17], v[10:11]
	v_fma_f64 v[8:9], -v[24:25], v[18:19], v[8:9]
	s_waitcnt lgkmcnt(0)
	v_fma_f64 v[6:7], -v[24:25], v[20:21], v[6:7]
	v_fma_f64 v[4:5], -v[24:25], v[22:23], v[4:5]
	s_cbranch_scc1 .LBB108_25
.LBB108_26:                             ;   in Loop: Header=BB108_19 Depth=1
	s_lshl_b32 s2, s8, 9
	s_branch .LBB108_28
.LBB108_27:                             ;   in Loop: Header=BB108_19 Depth=1
	s_mov_b32 s2, 0
.LBB108_28:                             ;   in Loop: Header=BB108_19 Depth=1
	s_lshl_b32 s9, s8, 3
	s_add_i32 s2, s9, s2
	v_mov_b32_e32 v32, s2
	ds_read2_b64 v[16:19], v32 offset1:65
	s_lshl_b32 s2, s8, 9
	s_add_i32 s2, s2, s9
	v_mov_b32_e32 v12, s2
	ds_read2_b64 v[20:23], v12 offset0:64 offset1:194
	s_waitcnt lgkmcnt(1)
	v_mul_f64 v[10:11], v[16:17], v[10:11]
	ds_read2_b64 v[24:27], v12 offset0:128 offset1:129
	ds_read2_b64 v[28:31], v12 offset0:192 offset1:193
	s_add_i32 s2, s8, 4
	s_add_i32 s8, s8, 7
	;; [unrolled: 1-line block ×3, first 2 shown]
	s_addk_i32 s7, 0x800
	s_add_i32 s4, s4, 4
	s_cmp_lt_i32 s8, s22
	s_waitcnt lgkmcnt(2)
	v_fma_f64 v[8:9], -v[10:11], v[20:21], v[8:9]
	s_waitcnt lgkmcnt(1)
	v_fma_f64 v[6:7], -v[10:11], v[24:25], v[6:7]
	;; [unrolled: 2-line block ×3, first 2 shown]
	v_mul_f64 v[12:13], v[18:19], v[8:9]
	v_fma_f64 v[8:9], -v[12:13], v[26:27], v[6:7]
	ds_read2_b64 v[4:7], v32 offset0:130 offset1:195
	global_store_dwordx4 v[2:3], v[10:13], off
	s_waitcnt lgkmcnt(0)
	v_mul_f64 v[4:5], v[4:5], v[8:9]
	v_fma_f64 v[8:9], -v[12:13], v[30:31], v[16:17]
	v_fma_f64 v[8:9], -v[4:5], v[22:23], v[8:9]
	v_mul_f64 v[6:7], v[6:7], v[8:9]
	global_store_dwordx4 v[2:3], v[4:7], off offset:16
	s_cbranch_scc0 .LBB108_31
; %bb.29:                               ;   in Loop: Header=BB108_19 Depth=1
	s_mov_b32 s8, s2
	s_branch .LBB108_19
.LBB108_30:
	s_mov_b32 s2, s8
.LBB108_31:
	s_cmp_ge_i32 s2, s22
	s_cbranch_scc1 .LBB108_36
; %bb.32:
	s_lshl_b32 s4, s2, 9
	s_branch .LBB108_34
.LBB108_33:                             ;   in Loop: Header=BB108_34 Depth=1
	s_mul_i32 s3, s2, 0x208
	v_mov_b32_e32 v4, s3
	ds_read_b64 v[4:5], v4
	s_add_i32 s2, s2, 1
	s_addk_i32 s4, 0x200
	s_cmp_ge_i32 s2, s22
	s_waitcnt lgkmcnt(0)
	v_mul_f64 v[2:3], v[4:5], v[2:3]
	global_store_dwordx2 v[0:1], v[2:3], off
	s_cbranch_scc1 .LBB108_36
.LBB108_34:                             ; =>This Loop Header: Depth=1
                                        ;     Child Loop BB108_35 Depth 2
	s_ashr_i32 s3, s2, 31
	s_lshl_b64 s[6:7], s[2:3], 3
	v_mov_b32_e32 v1, s7
	v_add_co_u32_e32 v0, vcc, s6, v48
	v_addc_co_u32_e32 v1, vcc, v49, v1, vcc
	global_load_dwordx2 v[2:3], v[0:1], off
	v_mov_b32_e32 v4, v48
	s_cmp_eq_u32 s2, 0
	v_mov_b32_e32 v5, v49
	s_mov_b32 s3, s2
	s_mov_b32 s5, s4
	s_waitcnt vmcnt(0)
	v_mul_f64 v[2:3], s[0:1], v[2:3]
	s_cbranch_scc1 .LBB108_33
.LBB108_35:                             ;   Parent Loop BB108_34 Depth=1
                                        ; =>  This Inner Loop Header: Depth=2
	global_load_dwordx2 v[6:7], v[4:5], off
	v_mov_b32_e32 v8, s5
	ds_read_b64 v[8:9], v8
	s_add_i32 s5, s5, 8
	s_add_i32 s3, s3, -1
	v_add_co_u32_e32 v4, vcc, 8, v4
	s_cmp_lg_u32 s3, 0
	v_addc_co_u32_e32 v5, vcc, 0, v5, vcc
	s_waitcnt vmcnt(0) lgkmcnt(0)
	v_fma_f64 v[2:3], -v[6:7], v[8:9], v[2:3]
	s_cbranch_scc1 .LBB108_35
	s_branch .LBB108_33
.LBB108_36:
	s_mov_b64 s[6:7], 0
.LBB108_37:
	s_and_b64 vcc, exec, s[6:7]
	s_cbranch_vccz .LBB108_70
; %bb.38:
	s_add_i32 s14, s22, -1
	s_cmp_lt_i32 s10, 32
	s_mov_b32 s2, s14
	s_cbranch_scc1 .LBB108_45
; %bb.39:
	s_lshl_b32 s15, s22, 9
	s_addk_i32 s15, 0xfd08
	s_mov_b32 s3, 0
	s_mov_b32 s5, s14
	s_branch .LBB108_41
.LBB108_40:                             ;   in Loop: Header=BB108_41 Depth=1
	s_add_i32 s2, s4, -1
	s_lshl_b32 s5, s2, 3
	s_lshl_b32 s17, s4, 9
	s_add_i32 s6, s5, s17
	v_mov_b32_e32 v68, s6
	ds_read2_b64 v[68:71], v68 offset1:1
	s_lshl_b32 s18, s2, 9
	s_add_i32 s5, s5, s18
	v_mov_b32_e32 v72, s5
	ds_read_b64 v[74:75], v72
	s_waitcnt lgkmcnt(1)
	v_mul_f64 v[4:5], v[70:71], v[4:5]
	s_add_i32 s6, s4, -3
	s_lshl_b32 s5, s6, 3
	s_add_i32 s7, s5, s17
	s_lshl_b64 s[8:9], s[2:3], 3
	s_add_i32 s2, s4, -2
	s_lshl_b32 s21, s6, 9
	s_lshl_b32 s23, s2, 9
	v_fma_f64 v[76:77], -v[4:5], v[68:69], v[66:67]
	v_mov_b32_e32 v66, s7
	ds_read2_b64 v[66:69], v66 offset1:1
	s_add_i32 s7, s5, s18
	v_mov_b32_e32 v70, s7
	ds_read2_b64 v[70:73], v70 offset1:1
	s_add_i32 s7, s5, s21
	s_waitcnt lgkmcnt(1)
	v_fma_f64 v[68:69], -v[4:5], v[68:69], v[8:9]
	v_mul_f64 v[8:9], v[74:75], v[76:77]
	s_add_i32 s5, s5, s23
	v_mov_b32_e32 v78, s9
	v_add_co_u32_e32 v74, vcc, s8, v48
	v_mov_b32_e32 v76, s7
	v_addc_co_u32_e32 v75, vcc, v49, v78, vcc
	s_waitcnt lgkmcnt(0)
	v_fma_f64 v[68:69], -v[8:9], v[72:73], v[68:69]
	v_fma_f64 v[72:73], -v[4:5], v[66:67], v[64:65]
	v_mov_b32_e32 v64, s5
	ds_read2_b64 v[64:67], v64 offset1:1
	ds_read_b64 v[76:77], v76
	global_store_dwordx2 v[10:11], v[4:5], off
	global_store_dwordx2 v[74:75], v[8:9], off
	s_add_i32 s8, s4, -5
	s_lshl_b32 s9, s8, 3
	s_waitcnt lgkmcnt(1)
	v_mul_f64 v[10:11], v[66:67], v[68:69]
	v_fma_f64 v[70:71], -v[8:9], v[70:71], v[72:73]
	s_lshl_b64 s[10:11], s[2:3], 3
	s_add_i32 s2, s9, s17
	v_mov_b32_e32 v66, s2
	ds_read2_b64 v[66:69], v66 offset1:1
	s_add_i32 s2, s9, s18
	v_mov_b32_e32 v74, s11
	s_mov_b32 s7, s3
	v_fma_f64 v[64:65], -v[10:11], v[64:65], v[70:71]
	v_mov_b32_e32 v70, s2
	ds_read2_b64 v[70:73], v70 offset1:1
	s_waitcnt lgkmcnt(1)
	v_fma_f64 v[68:69], -v[4:5], v[68:69], v[12:13]
	v_add_co_u32_e32 v12, vcc, s10, v48
	v_addc_co_u32_e32 v13, vcc, v49, v74, vcc
	s_add_i32 s2, s9, s23
	global_store_dwordx2 v[12:13], v[10:11], off
	v_mul_f64 v[12:13], v[76:77], v[64:65]
	s_waitcnt lgkmcnt(0)
	v_fma_f64 v[68:69], -v[8:9], v[72:73], v[68:69]
	v_mov_b32_e32 v64, s2
	ds_read2_b64 v[72:75], v64 offset1:1
	v_fma_f64 v[66:67], -v[4:5], v[66:67], v[62:63]
	s_add_i32 s2, s9, s21
	v_mov_b32_e32 v62, s2
	ds_read2_b64 v[62:65], v62 offset1:1
	s_add_i32 s2, s4, -4
	s_waitcnt lgkmcnt(1)
	v_fma_f64 v[68:69], -v[10:11], v[74:75], v[68:69]
	s_lshl_b64 s[6:7], s[6:7], 3
	s_lshl_b32 s5, s2, 9
	v_fma_f64 v[70:71], -v[8:9], v[70:71], v[66:67]
	v_mov_b32_e32 v76, s7
	v_add_co_u32_e32 v74, vcc, s6, v48
	s_add_i32 s6, s9, s5
	v_addc_co_u32_e32 v75, vcc, v49, v76, vcc
	s_waitcnt lgkmcnt(0)
	v_fma_f64 v[76:77], -v[12:13], v[64:65], v[68:69]
	v_mov_b32_e32 v64, s6
	s_add_i32 s6, s4, -7
	s_lshl_b32 s7, s6, 3
	s_add_i32 s10, s7, s17
	v_mov_b32_e32 v68, s10
	v_fma_f64 v[78:79], -v[10:11], v[72:73], v[70:71]
	ds_read2_b64 v[68:71], v68 offset1:1
	s_add_i32 s10, s7, s18
	v_mov_b32_e32 v72, s10
	global_store_dwordx2 v[74:75], v[12:13], off
	ds_read2_b64 v[72:75], v72 offset1:1
	s_waitcnt lgkmcnt(1)
	v_fma_f64 v[70:71], -v[4:5], v[70:71], v[14:15]
	ds_read2_b64 v[64:67], v64 offset1:1
	s_lshl_b32 s16, s8, 9
	s_add_i32 s9, s9, s16
	v_mov_b32_e32 v14, s9
	ds_read_b64 v[80:81], v14
	s_waitcnt lgkmcnt(1)
	v_mul_f64 v[14:15], v[66:67], v[76:77]
	v_fma_f64 v[62:63], -v[12:13], v[62:63], v[78:79]
	v_fma_f64 v[70:71], -v[8:9], v[74:75], v[70:71]
	s_lshl_b64 s[10:11], s[2:3], 3
	s_add_i32 s2, s7, s23
	v_mov_b32_e32 v66, s2
	v_fma_f64 v[16:17], -v[4:5], v[68:69], v[16:17]
	ds_read2_b64 v[66:69], v66 offset1:1
	s_add_i32 s2, s7, s21
	v_fma_f64 v[74:75], -v[14:15], v[64:65], v[62:63]
	v_mov_b32_e32 v62, s2
	ds_read2_b64 v[62:65], v62 offset1:1
	s_waitcnt lgkmcnt(1)
	v_fma_f64 v[68:69], -v[10:11], v[68:69], v[70:71]
	v_mov_b32_e32 v76, s11
	v_fma_f64 v[70:71], -v[8:9], v[72:73], v[16:17]
	v_add_co_u32_e32 v16, vcc, s10, v48
	s_add_i32 s2, s7, s5
	v_addc_co_u32_e32 v17, vcc, v49, v76, vcc
	s_waitcnt lgkmcnt(0)
	v_fma_f64 v[72:73], -v[12:13], v[64:65], v[68:69]
	v_mov_b32_e32 v64, s2
	global_store_dwordx2 v[16:17], v[14:15], off
	v_mul_f64 v[16:17], v[80:81], v[74:75]
	v_fma_f64 v[74:75], -v[10:11], v[66:67], v[70:71]
	ds_read2_b64 v[64:67], v64 offset1:1
	s_add_i32 s2, s7, s16
	v_mov_b32_e32 v68, s2
	ds_read2_b64 v[68:71], v68 offset1:1
	s_mov_b32 s9, s3
	s_waitcnt lgkmcnt(1)
	v_fma_f64 v[66:67], -v[14:15], v[66:67], v[72:73]
	s_add_i32 s2, s4, -6
	v_fma_f64 v[62:63], -v[12:13], v[62:63], v[74:75]
	s_lshl_b64 s[8:9], s[8:9], 3
	s_lshl_b32 s19, s2, 9
	v_add_co_u32_e32 v78, vcc, s8, v48
	s_add_i32 s8, s7, s19
	s_waitcnt lgkmcnt(0)
	v_fma_f64 v[66:67], -v[16:17], v[70:71], v[66:67]
	v_mov_b32_e32 v70, s8
	s_add_i32 s8, s4, -9
	v_mov_b32_e32 v72, s9
	s_lshl_b32 s9, s8, 3
	s_add_i32 s10, s9, s17
	v_fma_f64 v[80:81], -v[14:15], v[64:65], v[62:63]
	v_mov_b32_e32 v62, s10
	ds_read2_b64 v[62:65], v62 offset1:1
	s_add_i32 s10, s9, s18
	v_mov_b32_e32 v74, s10
	ds_read2_b64 v[74:77], v74 offset1:1
	v_addc_co_u32_e32 v79, vcc, v49, v72, vcc
	s_waitcnt lgkmcnt(1)
	v_fma_f64 v[64:65], -v[4:5], v[64:65], v[20:21]
	ds_read2_b64 v[70:73], v70 offset1:1
	s_lshl_b32 s20, s6, 9
	s_add_i32 s7, s7, s20
	v_mov_b32_e32 v20, s7
	ds_read_b64 v[82:83], v20
	s_waitcnt lgkmcnt(1)
	v_mul_f64 v[20:21], v[72:73], v[66:67]
	v_fma_f64 v[68:69], -v[16:17], v[68:69], v[80:81]
	v_fma_f64 v[72:73], -v[8:9], v[76:77], v[64:65]
	s_lshl_b64 s[10:11], s[2:3], 3
	s_add_i32 s2, s9, s23
	v_fma_f64 v[62:63], -v[4:5], v[62:63], v[22:23]
	v_mov_b32_e32 v64, s2
	ds_read2_b64 v[64:67], v64 offset1:1
	s_add_i32 s2, s9, s21
	v_fma_f64 v[76:77], -v[20:21], v[70:71], v[68:69]
	v_mov_b32_e32 v68, s2
	ds_read2_b64 v[68:71], v68 offset1:1
	s_waitcnt lgkmcnt(1)
	v_fma_f64 v[66:67], -v[10:11], v[66:67], v[72:73]
	v_fma_f64 v[62:63], -v[8:9], v[74:75], v[62:63]
	s_add_i32 s2, s9, s5
	global_store_dwordx2 v[78:79], v[16:17], off
	v_mov_b32_e32 v78, s11
	v_add_co_u32_e32 v22, vcc, s10, v48
	v_addc_co_u32_e32 v23, vcc, v49, v78, vcc
	s_waitcnt lgkmcnt(0)
	v_fma_f64 v[66:67], -v[12:13], v[70:71], v[66:67]
	v_fma_f64 v[74:75], -v[10:11], v[64:65], v[62:63]
	v_mov_b32_e32 v70, s2
	ds_read2_b64 v[70:73], v70 offset1:1
	s_add_i32 s2, s9, s16
	global_store_dwordx2 v[22:23], v[20:21], off
	v_mul_f64 v[22:23], v[82:83], v[76:77]
	v_mov_b32_e32 v76, s2
	ds_read2_b64 v[62:65], v76 offset1:1
	s_waitcnt lgkmcnt(1)
	v_fma_f64 v[66:67], -v[14:15], v[72:73], v[66:67]
	v_fma_f64 v[68:69], -v[12:13], v[68:69], v[74:75]
	s_mov_b32 s7, s3
	s_lshl_b64 s[6:7], s[6:7], 3
	v_mov_b32_e32 v72, s7
	v_add_co_u32_e32 v88, vcc, s6, v48
	v_addc_co_u32_e32 v89, vcc, v49, v72, vcc
	s_waitcnt lgkmcnt(0)
	v_fma_f64 v[72:73], -v[16:17], v[64:65], v[66:67]
	s_add_i32 s6, s9, s19
	v_fma_f64 v[76:77], -v[14:15], v[70:71], v[68:69]
	v_mov_b32_e32 v64, s6
	ds_read2_b64 v[64:67], v64 offset1:1
	s_add_i32 s6, s9, s20
	v_mov_b32_e32 v74, s6
	ds_read2_b64 v[68:71], v74 offset1:1
	s_add_i32 s6, s4, -11
	s_waitcnt lgkmcnt(1)
	v_fma_f64 v[66:67], -v[20:21], v[66:67], v[72:73]
	v_fma_f64 v[62:63], -v[16:17], v[62:63], v[76:77]
	s_lshl_b32 s7, s6, 3
	s_add_i32 s10, s7, s17
	v_mov_b32_e32 v72, s10
	s_add_i32 s2, s4, -8
	ds_read2_b64 v[72:75], v72 offset1:1
	s_add_i32 s10, s7, s18
	s_lshl_b32 s24, s2, 9
	v_mov_b32_e32 v76, s10
	s_add_i32 s10, s9, s24
	s_waitcnt lgkmcnt(1)
	v_fma_f64 v[66:67], -v[22:23], v[70:71], v[66:67]
	v_mov_b32_e32 v70, s10
	s_add_i32 s10, s7, s23
	ds_read2_b64 v[76:79], v76 offset1:1
	ds_read2_b64 v[80:83], v70 offset1:1
	v_fma_f64 v[70:71], -v[20:21], v[64:65], v[62:63]
	v_mov_b32_e32 v62, s10
	ds_read2_b64 v[62:65], v62 offset1:1
	s_waitcnt lgkmcnt(3)
	v_fma_f64 v[26:27], -v[4:5], v[74:75], v[26:27]
	s_add_i32 s10, s7, s21
	v_mov_b32_e32 v74, s10
	s_lshl_b32 s25, s8, 9
	ds_read2_b64 v[84:87], v74 offset1:1
	s_add_i32 s9, s9, s25
	v_fma_f64 v[68:69], -v[22:23], v[68:69], v[70:71]
	s_lshl_b64 s[10:11], s[2:3], 3
	s_waitcnt lgkmcnt(3)
	v_fma_f64 v[26:27], -v[8:9], v[78:79], v[26:27]
	s_add_i32 s2, s7, s5
	v_fma_f64 v[72:73], -v[4:5], v[72:73], v[28:29]
	v_add_co_u32_e32 v28, vcc, s10, v48
	global_store_dwordx2 v[88:89], v[22:23], off
	s_lshl_b32 s27, s6, 9
	s_mul_i32 s41, s4, 0x208
	s_waitcnt lgkmcnt(1)
	v_fma_f64 v[64:65], -v[10:11], v[64:65], v[26:27]
	v_mov_b32_e32 v26, s9
	ds_read_b64 v[74:75], v26
	v_mul_f64 v[26:27], v[82:83], v[66:67]
	v_mov_b32_e32 v82, s11
	v_addc_co_u32_e32 v29, vcc, v49, v82, vcc
	s_mov_b32 s9, s3
	s_waitcnt lgkmcnt(1)
	v_fma_f64 v[78:79], -v[12:13], v[86:87], v[64:65]
	v_mov_b32_e32 v64, s2
	ds_read2_b64 v[64:67], v64 offset1:1
	v_fma_f64 v[80:81], -v[26:27], v[80:81], v[68:69]
	s_add_i32 s2, s7, s16
	v_mov_b32_e32 v68, s2
	ds_read2_b64 v[68:71], v68 offset1:1
	global_store_dwordx2 v[28:29], v[26:27], off
	s_waitcnt lgkmcnt(1)
	v_fma_f64 v[66:67], -v[14:15], v[66:67], v[78:79]
	s_add_i32 s2, s7, s19
	s_lshl_b64 s[10:11], s[8:9], 3
	v_mul_f64 v[28:29], v[74:75], v[80:81]
	v_fma_f64 v[74:75], -v[8:9], v[76:77], v[72:73]
	s_add_i32 s8, s4, -13
	s_lshl_b32 s9, s8, 3
	v_mov_b32_e32 v86, s11
	s_waitcnt lgkmcnt(0)
	v_fma_f64 v[66:67], -v[16:17], v[70:71], v[66:67]
	v_mov_b32_e32 v70, s2
	ds_read2_b64 v[70:73], v70 offset1:1
	s_add_i32 s2, s7, s20
	v_fma_f64 v[62:63], -v[10:11], v[62:63], v[74:75]
	v_mov_b32_e32 v76, s2
	s_add_i32 s2, s9, s17
	ds_read2_b64 v[74:77], v76 offset1:1
	s_waitcnt lgkmcnt(1)
	v_fma_f64 v[66:67], -v[20:21], v[72:73], v[66:67]
	v_mov_b32_e32 v72, s2
	ds_read2_b64 v[78:81], v72 offset1:1
	s_add_i32 s2, s9, s18
	v_fma_f64 v[62:63], -v[12:13], v[84:85], v[62:63]
	v_mov_b32_e32 v72, s2
	ds_read2_b64 v[82:85], v72 offset1:1
	s_waitcnt lgkmcnt(1)
	v_fma_f64 v[34:35], -v[4:5], v[80:81], v[34:35]
	v_add_co_u32_e32 v72, vcc, s10, v48
	v_addc_co_u32_e32 v73, vcc, v49, v86, vcc
	global_store_dwordx2 v[72:73], v[28:29], off
	v_fma_f64 v[72:73], -v[14:15], v[64:65], v[62:63]
	s_add_i32 s11, s9, s23
	s_waitcnt lgkmcnt(0)
	v_fma_f64 v[34:35], -v[8:9], v[84:85], v[34:35]
	v_mov_b32_e32 v62, s11
	ds_read2_b64 v[62:65], v62 offset1:1
	s_add_i32 s11, s9, s21
	v_fma_f64 v[76:77], -v[22:23], v[76:77], v[66:67]
	v_mov_b32_e32 v66, s11
	v_fma_f64 v[72:73], -v[16:17], v[68:69], v[72:73]
	ds_read2_b64 v[66:69], v66 offset1:1
	s_waitcnt lgkmcnt(1)
	v_fma_f64 v[34:35], -v[10:11], v[64:65], v[34:35]
	s_add_i32 s10, s7, s24
	v_mov_b32_e32 v64, s10
	ds_read2_b64 v[84:87], v64 offset1:1
	s_add_i32 s10, s7, s25
	s_add_i32 s2, s4, -10
	v_fma_f64 v[64:65], -v[20:21], v[70:71], v[72:73]
	v_mov_b32_e32 v70, s10
	s_waitcnt lgkmcnt(1)
	v_fma_f64 v[34:35], -v[12:13], v[68:69], v[34:35]
	s_add_i32 s10, s9, s5
	v_mov_b32_e32 v68, s10
	ds_read2_b64 v[70:73], v70 offset1:1
	s_waitcnt lgkmcnt(1)
	v_fma_f64 v[80:81], -v[26:27], v[86:87], v[76:77]
	ds_read2_b64 v[86:89], v68 offset1:1
	s_add_i32 s10, s9, s16
	v_mov_b32_e32 v68, s10
	v_fma_f64 v[64:65], -v[22:23], v[74:75], v[64:65]
	ds_read2_b64 v[74:77], v68 offset1:1
	s_waitcnt lgkmcnt(1)
	v_fma_f64 v[34:35], -v[14:15], v[88:89], v[34:35]
	s_lshl_b32 s26, s2, 9
	s_add_i32 s10, s7, s26
	v_fma_f64 v[68:69], -v[28:29], v[72:73], v[80:81]
	v_mov_b32_e32 v72, s10
	s_add_i32 s10, s9, s19
	v_fma_f64 v[32:33], -v[4:5], v[78:79], v[32:33]
	ds_read2_b64 v[88:91], v72 offset1:1
	s_waitcnt lgkmcnt(1)
	v_fma_f64 v[34:35], -v[16:17], v[76:77], v[34:35]
	v_mov_b32_e32 v72, s10
	ds_read2_b64 v[76:79], v72 offset1:1
	s_add_i32 s7, s7, s27
	s_add_i32 s10, s9, s20
	v_mov_b32_e32 v72, s10
	ds_read2_b64 v[92:95], v72 offset1:1
	v_fma_f64 v[64:65], -v[26:27], v[84:85], v[64:65]
	s_waitcnt lgkmcnt(1)
	v_fma_f64 v[34:35], -v[20:21], v[78:79], v[34:35]
	v_mov_b32_e32 v78, s7
	ds_read_b64 v[78:79], v78
	v_fma_f64 v[72:73], -v[8:9], v[82:83], v[32:33]
	v_mul_f64 v[32:33], v[90:91], v[68:69]
	s_lshl_b64 s[10:11], s[2:3], 3
	s_add_i32 s2, s9, s24
	v_fma_f64 v[68:69], -v[28:29], v[70:71], v[64:65]
	s_waitcnt lgkmcnt(1)
	v_fma_f64 v[34:35], -v[22:23], v[94:95], v[34:35]
	s_mov_b32 s7, s3
	v_mov_b32_e32 v82, s11
	v_fma_f64 v[72:73], -v[10:11], v[62:63], v[72:73]
	v_mov_b32_e32 v62, s2
	ds_read2_b64 v[62:65], v62 offset1:1
	s_add_i32 s2, s9, s25
	v_fma_f64 v[80:81], -v[32:33], v[88:89], v[68:69]
	v_mov_b32_e32 v68, s2
	ds_read2_b64 v[68:71], v68 offset1:1
	s_waitcnt lgkmcnt(1)
	v_fma_f64 v[64:65], -v[26:27], v[64:65], v[34:35]
	v_fma_f64 v[66:67], -v[12:13], v[66:67], v[72:73]
	v_add_co_u32_e32 v34, vcc, s10, v48
	s_lshl_b64 s[10:11], s[6:7], 3
	s_add_i32 s6, s4, -15
	s_lshl_b32 s7, s6, 3
	v_mov_b32_e32 v90, s11
	s_add_i32 s11, s7, s17
	v_fma_f64 v[72:73], -v[14:15], v[86:87], v[66:67]
	v_addc_co_u32_e32 v35, vcc, v49, v82, vcc
	s_waitcnt lgkmcnt(0)
	v_fma_f64 v[82:83], -v[28:29], v[70:71], v[64:65]
	v_mov_b32_e32 v64, s11
	ds_read2_b64 v[64:67], v64 offset1:1
	s_add_i32 s11, s7, s18
	v_mov_b32_e32 v70, s11
	v_fma_f64 v[74:75], -v[16:17], v[74:75], v[72:73]
	ds_read2_b64 v[70:73], v70 offset1:1
	s_waitcnt lgkmcnt(1)
	v_fma_f64 v[60:61], -v[4:5], v[66:67], v[60:61]
	s_add_i32 s2, s9, s26
	v_mov_b32_e32 v66, s2
	global_store_dwordx2 v[34:35], v[32:33], off
	v_mul_f64 v[34:35], v[78:79], v[80:81]
	ds_read2_b64 v[78:81], v66 offset1:1
	v_fma_f64 v[66:67], -v[20:21], v[76:77], v[74:75]
	s_add_i32 s2, s9, s27
	s_waitcnt lgkmcnt(1)
	v_fma_f64 v[60:61], -v[8:9], v[72:73], v[60:61]
	v_mov_b32_e32 v74, s2
	s_add_i32 s2, s7, s23
	v_mov_b32_e32 v72, s2
	ds_read2_b64 v[74:77], v74 offset1:1
	s_waitcnt lgkmcnt(1)
	v_fma_f64 v[88:89], -v[32:33], v[80:81], v[82:83]
	ds_read2_b64 v[80:83], v72 offset1:1
	v_fma_f64 v[66:67], -v[22:23], v[92:93], v[66:67]
	s_add_i32 s2, s7, s21
	v_mov_b32_e32 v72, s2
	ds_read2_b64 v[84:87], v72 offset1:1
	s_waitcnt lgkmcnt(1)
	v_fma_f64 v[60:61], -v[10:11], v[82:83], v[60:61]
	v_add_co_u32_e32 v72, vcc, s10, v48
	v_addc_co_u32_e32 v73, vcc, v49, v90, vcc
	v_fma_f64 v[66:67], -v[26:27], v[62:63], v[66:67]
	global_store_dwordx2 v[72:73], v[34:35], off
	v_fma_f64 v[72:73], -v[34:35], v[76:77], v[88:89]
	s_waitcnt lgkmcnt(0)
	v_fma_f64 v[76:77], -v[12:13], v[86:87], v[60:61]
	s_add_i32 s10, s7, s5
	v_mov_b32_e32 v60, s10
	ds_read2_b64 v[60:63], v60 offset1:1
	s_add_i32 s10, s7, s16
	v_fma_f64 v[82:83], -v[28:29], v[68:69], v[66:67]
	v_mov_b32_e32 v66, s10
	ds_read2_b64 v[66:69], v66 offset1:1
	s_waitcnt lgkmcnt(1)
	v_fma_f64 v[62:63], -v[14:15], v[62:63], v[76:77]
	s_add_i32 s2, s4, -12
	s_lshl_b32 s28, s2, 9
	v_fma_f64 v[38:39], -v[4:5], v[64:65], v[38:39]
	s_add_i32 s10, s9, s28
	v_mov_b32_e32 v76, s10
	ds_read2_b64 v[86:89], v76 offset1:1
	v_fma_f64 v[76:77], -v[32:33], v[78:79], v[82:83]
	s_waitcnt lgkmcnt(1)
	v_fma_f64 v[78:79], -v[16:17], v[68:69], v[62:63]
	s_add_i32 s10, s7, s19
	v_mov_b32_e32 v62, s10
	ds_read2_b64 v[62:65], v62 offset1:1
	s_lshl_b32 s29, s8, 9
	v_fma_f64 v[82:83], -v[8:9], v[70:71], v[38:39]
	s_add_i32 s9, s9, s29
	v_mov_b32_e32 v38, s9
	ds_read_b64 v[90:91], v38
	s_waitcnt lgkmcnt(1)
	v_fma_f64 v[64:65], -v[20:21], v[64:65], v[78:79]
	s_add_i32 s10, s7, s20
	v_mov_b32_e32 v68, s10
	ds_read2_b64 v[68:71], v68 offset1:1
	v_fma_f64 v[78:79], -v[10:11], v[80:81], v[82:83]
	s_lshl_b64 s[10:11], s[2:3], 3
	s_add_i32 s2, s7, s24
	v_mul_f64 v[38:39], v[88:89], v[72:73]
	s_waitcnt lgkmcnt(0)
	v_fma_f64 v[64:65], -v[22:23], v[70:71], v[64:65]
	v_mov_b32_e32 v70, s2
	ds_read2_b64 v[70:73], v70 offset1:1
	s_add_i32 s2, s7, s25
	v_fma_f64 v[78:79], -v[12:13], v[84:85], v[78:79]
	v_fma_f64 v[80:81], -v[34:35], v[74:75], v[76:77]
	v_mov_b32_e32 v74, s2
	ds_read2_b64 v[74:77], v74 offset1:1
	s_waitcnt lgkmcnt(1)
	v_fma_f64 v[64:65], -v[26:27], v[72:73], v[64:65]
	v_mov_b32_e32 v88, s11
	v_add_co_u32_e32 v72, vcc, s10, v48
	v_fma_f64 v[60:61], -v[14:15], v[60:61], v[78:79]
	v_addc_co_u32_e32 v73, vcc, v49, v88, vcc
	global_store_dwordx2 v[72:73], v[38:39], off
	v_fma_f64 v[72:73], -v[38:39], v[86:87], v[80:81]
	s_waitcnt lgkmcnt(0)
	v_fma_f64 v[80:81], -v[28:29], v[76:77], v[64:65]
	s_add_i32 s2, s7, s26
	v_mov_b32_e32 v64, s2
	ds_read2_b64 v[76:79], v64 offset1:1
	v_fma_f64 v[60:61], -v[16:17], v[66:67], v[60:61]
	s_sub_i32 s10, s4, 17
	s_add_i32 s2, s7, s27
	s_lshl_b32 s11, s10, 3
	v_mov_b32_e32 v64, s2
	s_add_i32 s2, s11, s17
	s_waitcnt lgkmcnt(0)
	v_fma_f64 v[82:83], -v[32:33], v[78:79], v[80:81]
	v_mov_b32_e32 v78, s2
	ds_read2_b64 v[78:81], v78 offset1:1
	v_fma_f64 v[84:85], -v[20:21], v[62:63], v[60:61]
	s_add_i32 s2, s11, s18
	v_mov_b32_e32 v60, s2
	ds_read2_b64 v[64:67], v64 offset1:1
	ds_read2_b64 v[60:63], v60 offset1:1
	s_waitcnt lgkmcnt(2)
	v_fma_f64 v[80:81], -v[4:5], v[80:81], v[40:41]
	v_mul_f64 v[40:41], v[90:91], v[72:73]
	s_mov_b32 s9, s3
	v_fma_f64 v[72:73], -v[22:23], v[68:69], v[84:85]
	s_lshl_b64 s[8:9], s[8:9], 3
	v_mov_b32_e32 v92, s9
	s_add_i32 s9, s11, s23
	s_waitcnt lgkmcnt(1)
	v_fma_f64 v[88:89], -v[34:35], v[66:67], v[82:83]
	s_waitcnt lgkmcnt(0)
	v_fma_f64 v[62:63], -v[8:9], v[62:63], v[80:81]
	v_mov_b32_e32 v66, s9
	ds_read2_b64 v[66:69], v66 offset1:1
	s_add_i32 s9, s11, s21
	v_fma_f64 v[84:85], -v[26:27], v[70:71], v[72:73]
	v_mov_b32_e32 v70, s9
	ds_read2_b64 v[70:73], v70 offset1:1
	s_add_i32 s2, s7, s28
	s_waitcnt lgkmcnt(1)
	v_fma_f64 v[62:63], -v[10:11], v[68:69], v[62:63]
	v_mov_b32_e32 v68, s2
	ds_read2_b64 v[80:83], v68 offset1:1
	s_add_i32 s2, s7, s29
	v_fma_f64 v[68:69], -v[28:29], v[74:75], v[84:85]
	v_mov_b32_e32 v74, s2
	s_add_i32 s2, s11, s5
	ds_read2_b64 v[84:87], v74 offset1:1
	s_waitcnt lgkmcnt(2)
	v_fma_f64 v[62:63], -v[12:13], v[72:73], v[62:63]
	v_mov_b32_e32 v72, s2
	ds_read2_b64 v[72:75], v72 offset1:1
	s_add_i32 s2, s11, s16
	v_fma_f64 v[68:69], -v[32:33], v[76:77], v[68:69]
	v_mov_b32_e32 v76, s2
	s_waitcnt lgkmcnt(2)
	v_fma_f64 v[82:83], -v[38:39], v[82:83], v[88:89]
	ds_read2_b64 v[88:91], v76 offset1:1
	s_waitcnt lgkmcnt(1)
	v_fma_f64 v[62:63], -v[14:15], v[74:75], v[62:63]
	v_add_co_u32_e32 v74, vcc, s8, v48
	s_add_i32 s8, s11, s19
	v_fma_f64 v[68:69], -v[34:35], v[64:65], v[68:69]
	v_addc_co_u32_e32 v75, vcc, v49, v92, vcc
	v_fma_f64 v[86:87], -v[40:41], v[86:87], v[82:83]
	s_waitcnt lgkmcnt(0)
	v_fma_f64 v[82:83], -v[16:17], v[90:91], v[62:63]
	v_mov_b32_e32 v62, s8
	ds_read2_b64 v[62:65], v62 offset1:1
	s_add_i32 s8, s11, s20
	global_store_dwordx2 v[74:75], v[40:41], off
	v_mov_b32_e32 v74, s8
	ds_read2_b64 v[74:77], v74 offset1:1
	v_fma_f64 v[46:47], -v[4:5], v[78:79], v[46:47]
	s_waitcnt lgkmcnt(1)
	v_fma_f64 v[64:65], -v[20:21], v[64:65], v[82:83]
	s_add_i32 s2, s4, -14
	s_lshl_b32 s30, s2, 9
	s_add_i32 s8, s7, s30
	v_mov_b32_e32 v78, s8
	s_add_i32 s8, s11, s24
	ds_read2_b64 v[90:93], v78 offset1:1
	v_fma_f64 v[46:47], -v[8:9], v[60:61], v[46:47]
	s_waitcnt lgkmcnt(1)
	v_fma_f64 v[60:61], -v[22:23], v[76:77], v[64:65]
	v_mov_b32_e32 v64, s8
	ds_read2_b64 v[76:79], v64 offset1:1
	s_add_i32 s8, s11, s25
	v_mov_b32_e32 v64, s8
	v_fma_f64 v[68:69], -v[38:39], v[80:81], v[68:69]
	ds_read2_b64 v[80:83], v64 offset1:1
	v_fma_f64 v[64:65], -v[10:11], v[66:67], v[46:47]
	s_waitcnt lgkmcnt(1)
	v_fma_f64 v[60:61], -v[26:27], v[78:79], v[60:61]
	s_lshl_b32 s31, s6, 9
	s_add_i32 s7, s7, s31
	s_lshl_b64 s[8:9], s[2:3], 3
	s_add_i32 s2, s11, s26
	v_fma_f64 v[78:79], -v[40:41], v[84:85], v[68:69]
	v_mov_b32_e32 v46, s7
	v_fma_f64 v[84:85], -v[12:13], v[70:71], v[64:65]
	s_waitcnt lgkmcnt(0)
	v_fma_f64 v[60:61], -v[28:29], v[82:83], v[60:61]
	v_mov_b32_e32 v64, s2
	ds_read_b64 v[94:95], v46
	ds_read2_b64 v[64:67], v64 offset1:1
	v_mul_f64 v[46:47], v[92:93], v[86:87]
	s_add_i32 s2, s11, s27
	v_mov_b32_e32 v68, s2
	v_fma_f64 v[72:73], -v[14:15], v[72:73], v[84:85]
	s_waitcnt lgkmcnt(0)
	v_fma_f64 v[60:61], -v[32:33], v[66:67], v[60:61]
	ds_read2_b64 v[68:71], v68 offset1:1
	v_add_co_u32_e32 v66, vcc, s8, v48
	s_sub_i32 s8, s4, 19
	v_mov_b32_e32 v86, s9
	s_lshl_b32 s9, s8, 3
	v_addc_co_u32_e32 v67, vcc, v49, v86, vcc
	s_add_i32 s7, s9, s17
	global_store_dwordx2 v[66:67], v[46:47], off
	v_fma_f64 v[66:67], -v[46:47], v[90:91], v[78:79]
	v_fma_f64 v[78:79], -v[16:17], v[88:89], v[72:73]
	s_waitcnt lgkmcnt(0)
	v_fma_f64 v[86:87], -v[34:35], v[70:71], v[60:61]
	v_mov_b32_e32 v60, s7
	ds_read2_b64 v[70:73], v60 offset1:1
	s_add_i32 s7, s9, s18
	v_mov_b32_e32 v60, s7
	s_add_i32 s2, s11, s28
	s_mov_b32 s7, s3
	s_waitcnt lgkmcnt(0)
	v_fma_f64 v[50:51], -v[4:5], v[72:73], v[50:51]
	v_fma_f64 v[78:79], -v[20:21], v[62:63], v[78:79]
	ds_read2_b64 v[60:63], v60 offset1:1
	v_mov_b32_e32 v72, s2
	ds_read2_b64 v[82:85], v72 offset1:1
	s_add_i32 s2, s11, s29
	v_mov_b32_e32 v72, s2
	s_add_i32 s2, s9, s23
	s_waitcnt lgkmcnt(1)
	v_fma_f64 v[50:51], -v[8:9], v[62:63], v[50:51]
	v_fma_f64 v[78:79], -v[22:23], v[74:75], v[78:79]
	v_mov_b32_e32 v62, s2
	ds_read2_b64 v[72:75], v72 offset1:1
	s_waitcnt lgkmcnt(1)
	v_fma_f64 v[88:89], -v[38:39], v[84:85], v[86:87]
	ds_read2_b64 v[84:87], v62 offset1:1
	s_add_i32 s2, s9, s21
	s_lshl_b64 s[6:7], s[6:7], 3
	v_fma_f64 v[56:57], -v[4:5], v[70:71], v[56:57]
	v_fma_f64 v[62:63], -v[26:27], v[76:77], v[78:79]
	s_waitcnt lgkmcnt(0)
	v_fma_f64 v[86:87], -v[10:11], v[86:87], v[50:51]
	v_mov_b32_e32 v76, s2
	ds_read2_b64 v[76:79], v76 offset1:1
	v_mul_f64 v[50:51], v[94:95], v[66:67]
	v_mov_b32_e32 v94, s7
	s_add_i32 s7, s9, s5
	v_fma_f64 v[74:75], -v[40:41], v[74:75], v[88:89]
	v_fma_f64 v[62:63], -v[28:29], v[80:81], v[62:63]
	s_waitcnt lgkmcnt(0)
	v_fma_f64 v[66:67], -v[12:13], v[78:79], v[86:87]
	v_mov_b32_e32 v78, s7
	ds_read2_b64 v[78:81], v78 offset1:1
	s_add_i32 s7, s9, s16
	s_add_i32 s2, s11, s30
	v_fma_f64 v[56:57], -v[8:9], v[60:61], v[56:57]
	v_add_co_u32_e32 v70, vcc, s6, v48
	s_waitcnt lgkmcnt(0)
	v_fma_f64 v[80:81], -v[14:15], v[80:81], v[66:67]
	v_fma_f64 v[90:91], -v[32:33], v[64:65], v[62:63]
	v_mov_b32_e32 v62, s7
	ds_read2_b64 v[62:65], v62 offset1:1
	v_mov_b32_e32 v66, s2
	ds_read2_b64 v[86:89], v66 offset1:1
	s_add_i32 s2, s11, s31
	v_mov_b32_e32 v66, s2
	s_waitcnt lgkmcnt(1)
	v_fma_f64 v[64:65], -v[16:17], v[64:65], v[80:81]
	s_add_i32 s2, s9, s19
	v_mov_b32_e32 v80, s2
	v_fma_f64 v[92:93], -v[34:35], v[68:69], v[90:91]
	ds_read2_b64 v[66:69], v66 offset1:1
	s_waitcnt lgkmcnt(1)
	v_fma_f64 v[74:75], -v[46:47], v[88:89], v[74:75]
	ds_read2_b64 v[88:91], v80 offset1:1
	s_add_i32 s2, s9, s20
	v_mov_b32_e32 v80, s2
	s_add_i32 s6, s9, s24
	v_addc_co_u32_e32 v71, vcc, v49, v94, vcc
	s_waitcnt lgkmcnt(0)
	v_fma_f64 v[64:65], -v[20:21], v[90:91], v[64:65]
	v_fma_f64 v[92:93], -v[38:39], v[82:83], v[92:93]
	ds_read2_b64 v[80:83], v80 offset1:1
	global_store_dwordx2 v[70:71], v[50:51], off
	v_fma_f64 v[94:95], -v[50:51], v[68:69], v[74:75]
	v_fma_f64 v[56:57], -v[10:11], v[84:85], v[56:57]
	s_add_i32 s2, s4, -16
	s_lshl_b32 s33, s2, 9
	s_waitcnt lgkmcnt(0)
	v_fma_f64 v[60:61], -v[22:23], v[82:83], v[64:65]
	v_mov_b32_e32 v64, s6
	ds_read2_b64 v[68:71], v64 offset1:1
	s_add_i32 s6, s9, s25
	v_mov_b32_e32 v64, s6
	v_fma_f64 v[90:91], -v[40:41], v[72:73], v[92:93]
	ds_read2_b64 v[72:75], v64 offset1:1
	v_fma_f64 v[56:57], -v[12:13], v[76:77], v[56:57]
	s_waitcnt lgkmcnt(1)
	v_fma_f64 v[60:61], -v[26:27], v[70:71], v[60:61]
	s_add_i32 s6, s11, s33
	s_add_i32 s7, s9, s26
	v_mov_b32_e32 v64, s6
	v_mov_b32_e32 v70, s7
	ds_read2_b64 v[82:85], v64 offset1:1
	s_add_i32 s7, s9, s27
	s_lshl_b32 s34, s10, 9
	s_waitcnt lgkmcnt(1)
	v_fma_f64 v[60:61], -v[28:29], v[74:75], v[60:61]
	ds_read2_b64 v[74:77], v70 offset1:1
	v_mov_b32_e32 v70, s7
	v_fma_f64 v[64:65], -v[46:47], v[86:87], v[90:91]
	ds_read2_b64 v[90:93], v70 offset1:1
	v_fma_f64 v[70:71], -v[14:15], v[78:79], v[56:57]
	s_add_i32 s6, s11, s34
	v_mov_b32_e32 v56, s6
	s_waitcnt lgkmcnt(1)
	v_fma_f64 v[60:61], -v[32:33], v[76:77], v[60:61]
	s_lshl_b64 s[6:7], s[2:3], 3
	s_add_i32 s2, s9, s28
	ds_read_b64 v[96:97], v56
	v_fma_f64 v[76:77], -v[50:51], v[66:67], v[64:65]
	v_fma_f64 v[70:71], -v[16:17], v[62:63], v[70:71]
	s_lshl_b32 s36, s8, 9
	s_waitcnt lgkmcnt(1)
	v_fma_f64 v[78:79], -v[34:35], v[92:93], v[60:61]
	v_mov_b32_e32 v60, s2
	ds_read2_b64 v[60:63], v60 offset1:1
	v_mul_f64 v[56:57], v[84:85], v[94:95]
	s_add_i32 s2, s9, s29
	v_fma_f64 v[70:71], -v[20:21], v[88:89], v[70:71]
	v_mov_b32_e32 v64, s2
	ds_read2_b64 v[64:67], v64 offset1:1
	s_waitcnt lgkmcnt(1)
	v_fma_f64 v[62:63], -v[38:39], v[62:63], v[78:79]
	v_add_co_u32_e32 v78, vcc, s6, v48
	s_sub_i32 s6, s4, 21
	v_mov_b32_e32 v84, s7
	v_fma_f64 v[70:71], -v[22:23], v[80:81], v[70:71]
	s_lshl_b32 s7, s6, 3
	s_add_i32 s11, s7, s17
	v_addc_co_u32_e32 v79, vcc, v49, v84, vcc
	s_waitcnt lgkmcnt(0)
	v_fma_f64 v[62:63], -v[40:41], v[66:67], v[62:63]
	v_mov_b32_e32 v66, s11
	global_store_dwordx2 v[78:79], v[56:57], off
	v_fma_f64 v[88:89], -v[56:57], v[82:83], v[76:77]
	ds_read2_b64 v[76:79], v66 offset1:1
	v_fma_f64 v[70:71], -v[26:27], v[68:69], v[70:71]
	s_add_i32 s11, s7, s18
	v_mov_b32_e32 v66, s11
	ds_read2_b64 v[66:69], v66 offset1:1
	s_waitcnt lgkmcnt(1)
	v_fma_f64 v[58:59], -v[4:5], v[78:79], v[58:59]
	s_add_i32 s2, s9, s30
	v_mov_b32_e32 v78, s2
	ds_read2_b64 v[78:81], v78 offset1:1
	s_add_i32 s2, s9, s31
	v_fma_f64 v[84:85], -v[28:29], v[72:73], v[70:71]
	v_mov_b32_e32 v70, s2
	ds_read2_b64 v[70:73], v70 offset1:1
	s_waitcnt lgkmcnt(2)
	v_fma_f64 v[58:59], -v[8:9], v[68:69], v[58:59]
	s_add_i32 s2, s7, s23
	v_mov_b32_e32 v68, s2
	s_waitcnt lgkmcnt(1)
	v_fma_f64 v[62:63], -v[46:47], v[80:81], v[62:63]
	ds_read2_b64 v[80:83], v68 offset1:1
	s_add_i32 s2, s7, s21
	v_fma_f64 v[68:69], -v[32:33], v[74:75], v[84:85]
	v_mov_b32_e32 v74, s2
	ds_read2_b64 v[84:87], v74 offset1:1
	s_waitcnt lgkmcnt(1)
	v_fma_f64 v[74:75], -v[10:11], v[82:83], v[58:59]
	s_mov_b32 s11, s3
	s_lshl_b64 s[10:11], s[10:11], 3
	v_mov_b32_e32 v98, s11
	s_add_i32 s11, s7, s5
	v_fma_f64 v[68:69], -v[34:35], v[90:91], v[68:69]
	v_fma_f64 v[82:83], -v[50:51], v[72:73], v[62:63]
	v_mov_b32_e32 v62, s11
	s_waitcnt lgkmcnt(0)
	v_fma_f64 v[86:87], -v[12:13], v[86:87], v[74:75]
	ds_read2_b64 v[72:75], v62 offset1:1
	s_add_i32 s11, s7, s16
	s_add_i32 s2, s9, s33
	v_fma_f64 v[54:55], -v[4:5], v[76:77], v[54:55]
	v_fma_f64 v[68:69], -v[38:39], v[60:61], v[68:69]
	v_mov_b32_e32 v60, s11
	ds_read2_b64 v[60:63], v60 offset1:1
	s_waitcnt lgkmcnt(1)
	v_fma_f64 v[74:75], -v[14:15], v[74:75], v[86:87]
	v_mov_b32_e32 v86, s2
	s_add_i32 s2, s9, s34
	v_mul_f64 v[58:59], v[96:97], v[88:89]
	v_fma_f64 v[54:55], -v[8:9], v[66:67], v[54:55]
	v_fma_f64 v[68:69], -v[40:41], v[64:65], v[68:69]
	v_mov_b32_e32 v64, s2
	ds_read2_b64 v[90:93], v64 offset1:1
	s_waitcnt lgkmcnt(1)
	v_fma_f64 v[74:75], -v[16:17], v[62:63], v[74:75]
	s_add_i32 s2, s7, s19
	v_mov_b32_e32 v62, s2
	ds_read2_b64 v[62:65], v62 offset1:1
	s_add_i32 s2, s7, s20
	v_fma_f64 v[68:69], -v[46:47], v[78:79], v[68:69]
	v_mov_b32_e32 v78, s2
	ds_read2_b64 v[94:97], v78 offset1:1
	s_waitcnt lgkmcnt(1)
	v_fma_f64 v[64:65], -v[20:21], v[64:65], v[74:75]
	v_add_co_u32_e32 v74, vcc, s10, v48
	v_addc_co_u32_e32 v75, vcc, v49, v98, vcc
	global_store_dwordx2 v[74:75], v[58:59], off
	s_add_i32 s10, s7, s24
	v_fma_f64 v[54:55], -v[10:11], v[80:81], v[54:55]
	s_waitcnt lgkmcnt(0)
	v_fma_f64 v[74:75], -v[22:23], v[96:97], v[64:65]
	v_mov_b32_e32 v64, s10
	ds_read2_b64 v[64:67], v64 offset1:1
	s_add_i32 s10, s7, s25
	ds_read2_b64 v[86:89], v86 offset1:1
	v_fma_f64 v[78:79], -v[50:51], v[70:71], v[68:69]
	v_mov_b32_e32 v68, s10
	ds_read2_b64 v[68:71], v68 offset1:1
	s_waitcnt lgkmcnt(2)
	v_fma_f64 v[66:67], -v[26:27], v[66:67], v[74:75]
	s_waitcnt lgkmcnt(1)
	v_fma_f64 v[82:83], -v[56:57], v[88:89], v[82:83]
	v_fma_f64 v[54:55], -v[12:13], v[84:85], v[54:55]
	s_sub_i32 s2, s4, 18
	s_lshl_b32 s35, s2, 9
	s_add_i32 s10, s9, s35
	v_mov_b32_e32 v74, s10
	s_add_i32 s10, s7, s26
	s_waitcnt lgkmcnt(0)
	v_fma_f64 v[66:67], -v[28:29], v[70:71], v[66:67]
	v_mov_b32_e32 v70, s10
	s_add_i32 s10, s7, s27
	ds_read2_b64 v[74:77], v74 offset1:1
	v_fma_f64 v[86:87], -v[56:57], v[86:87], v[78:79]
	ds_read2_b64 v[78:81], v70 offset1:1
	v_mov_b32_e32 v70, s10
	v_fma_f64 v[88:89], -v[58:59], v[92:93], v[82:83]
	ds_read2_b64 v[82:85], v70 offset1:1
	v_fma_f64 v[70:71], -v[14:15], v[72:73], v[54:55]
	s_waitcnt lgkmcnt(1)
	v_fma_f64 v[66:67], -v[32:33], v[80:81], v[66:67]
	s_add_i32 s9, s9, s36
	s_lshl_b64 s[10:11], s[2:3], 3
	s_add_i32 s2, s7, s28
	v_mov_b32_e32 v54, s9
	ds_read_b64 v[80:81], v54
	s_lshl_b32 s38, s6, 9
	v_fma_f64 v[60:61], -v[16:17], v[60:61], v[70:71]
	s_waitcnt lgkmcnt(1)
	v_fma_f64 v[66:67], -v[34:35], v[84:85], v[66:67]
	v_mov_b32_e32 v70, s2
	ds_read2_b64 v[70:73], v70 offset1:1
	v_mul_f64 v[54:55], v[76:77], v[88:89]
	v_fma_f64 v[76:77], -v[58:59], v[90:91], v[86:87]
	s_add_i32 s2, s7, s29
	v_mov_b32_e32 v88, s11
	v_fma_f64 v[60:61], -v[20:21], v[62:63], v[60:61]
	s_waitcnt lgkmcnt(0)
	v_fma_f64 v[62:63], -v[38:39], v[72:73], v[66:67]
	v_mov_b32_e32 v84, s2
	v_add_co_u32_e32 v66, vcc, s10, v48
	ds_read2_b64 v[84:87], v84 offset1:1
	v_addc_co_u32_e32 v67, vcc, v49, v88, vcc
	global_store_dwordx2 v[66:67], v[54:55], off
	v_fma_f64 v[66:67], -v[22:23], v[94:95], v[60:61]
	s_sub_i32 s10, s4, 23
	s_lshl_b32 s11, s10, 3
	s_add_i32 s9, s11, s17
	v_mov_b32_e32 v60, s9
	v_fma_f64 v[90:91], -v[54:55], v[74:75], v[76:77]
	s_waitcnt lgkmcnt(0)
	v_fma_f64 v[76:77], -v[40:41], v[86:87], v[62:63]
	ds_read2_b64 v[60:63], v60 offset1:1
	s_add_i32 s9, s11, s18
	v_fma_f64 v[86:87], -v[26:27], v[64:65], v[66:67]
	v_mov_b32_e32 v64, s9
	ds_read2_b64 v[64:67], v64 offset1:1
	s_waitcnt lgkmcnt(1)
	v_fma_f64 v[52:53], -v[4:5], v[62:63], v[52:53]
	s_add_i32 s2, s7, s30
	v_mov_b32_e32 v62, s2
	ds_read2_b64 v[72:75], v62 offset1:1
	s_add_i32 s2, s7, s31
	v_fma_f64 v[62:63], -v[28:29], v[68:69], v[86:87]
	v_mov_b32_e32 v68, s2
	s_add_i32 s2, s11, s23
	s_waitcnt lgkmcnt(1)
	v_fma_f64 v[52:53], -v[8:9], v[66:67], v[52:53]
	v_mov_b32_e32 v66, s2
	ds_read2_b64 v[86:89], v68 offset1:1
	ds_read2_b64 v[66:69], v66 offset1:1
	s_add_i32 s2, s11, s21
	s_waitcnt lgkmcnt(2)
	v_fma_f64 v[92:93], -v[46:47], v[74:75], v[76:77]
	v_fma_f64 v[62:63], -v[32:33], v[78:79], v[62:63]
	v_mov_b32_e32 v74, s2
	ds_read2_b64 v[74:77], v74 offset1:1
	s_waitcnt lgkmcnt(1)
	v_fma_f64 v[68:69], -v[10:11], v[68:69], v[52:53]
	s_mov_b32 s9, s3
	v_mul_f64 v[52:53], v[80:81], v[90:91]
	s_lshl_b64 s[8:9], s[8:9], 3
	v_mov_b32_e32 v94, s9
	v_fma_f64 v[62:63], -v[34:35], v[82:83], v[62:63]
	s_add_i32 s9, s11, s5
	v_fma_f64 v[88:89], -v[50:51], v[88:89], v[92:93]
	s_waitcnt lgkmcnt(0)
	v_fma_f64 v[80:81], -v[12:13], v[76:77], v[68:69]
	v_mov_b32_e32 v68, s9
	ds_read2_b64 v[76:79], v68 offset1:1
	s_add_i32 s9, s11, s16
	v_mov_b32_e32 v68, s9
	v_fma_f64 v[62:63], -v[38:39], v[70:71], v[62:63]
	ds_read2_b64 v[68:71], v68 offset1:1
	s_add_i32 s2, s7, s33
	s_waitcnt lgkmcnt(1)
	v_fma_f64 v[90:91], -v[14:15], v[78:79], v[80:81]
	v_mov_b32_e32 v78, s2
	ds_read2_b64 v[78:81], v78 offset1:1
	s_add_i32 s2, s7, s34
	v_mov_b32_e32 v82, s2
	v_fma_f64 v[62:63], -v[40:41], v[84:85], v[62:63]
	s_add_i32 s2, s11, s19
	ds_read2_b64 v[82:85], v82 offset1:1
	s_waitcnt lgkmcnt(2)
	v_fma_f64 v[92:93], -v[16:17], v[70:71], v[90:91]
	v_mov_b32_e32 v70, s2
	s_waitcnt lgkmcnt(1)
	v_fma_f64 v[80:81], -v[56:57], v[80:81], v[88:89]
	ds_read2_b64 v[88:91], v70 offset1:1
	s_add_i32 s2, s11, s20
	v_fma_f64 v[62:63], -v[46:47], v[72:73], v[62:63]
	v_mov_b32_e32 v70, s2
	ds_read2_b64 v[70:73], v70 offset1:1
	s_waitcnt lgkmcnt(1)
	v_fma_f64 v[90:91], -v[20:21], v[90:91], v[92:93]
	s_add_i32 s2, s7, s35
	v_fma_f64 v[98:99], -v[58:59], v[84:85], v[80:81]
	v_mov_b32_e32 v80, s2
	v_fma_f64 v[44:45], -v[4:5], v[60:61], v[44:45]
	v_fma_f64 v[62:63], -v[50:51], v[86:87], v[62:63]
	ds_read2_b64 v[84:87], v80 offset1:1
	s_add_i32 s2, s11, s24
	s_waitcnt lgkmcnt(1)
	v_fma_f64 v[72:73], -v[22:23], v[72:73], v[90:91]
	v_mov_b32_e32 v80, s2
	ds_read2_b64 v[90:93], v80 offset1:1
	s_add_i32 s2, s11, s25
	v_fma_f64 v[44:45], -v[8:9], v[64:65], v[44:45]
	v_fma_f64 v[62:63], -v[56:57], v[78:79], v[62:63]
	v_mov_b32_e32 v78, s2
	ds_read2_b64 v[78:81], v78 offset1:1
	s_waitcnt lgkmcnt(1)
	v_fma_f64 v[72:73], -v[26:27], v[92:93], v[72:73]
	v_add_co_u32_e32 v96, vcc, s8, v48
	s_add_i32 s8, s7, s36
	v_mov_b32_e32 v92, s8
	v_fma_f64 v[86:87], -v[54:55], v[86:87], v[98:99]
	v_fma_f64 v[98:99], -v[58:59], v[82:83], v[62:63]
	v_fma_f64 v[44:45], -v[10:11], v[66:67], v[44:45]
	v_addc_co_u32_e32 v97, vcc, v49, v94, vcc
	ds_read2_b64 v[92:95], v92 offset1:1
	s_waitcnt lgkmcnt(1)
	v_fma_f64 v[72:73], -v[28:29], v[80:81], v[72:73]
	s_add_i32 s8, s11, s26
	v_mov_b32_e32 v60, s8
	ds_read2_b64 v[60:63], v60 offset1:1
	s_sub_i32 s2, s4, 20
	s_add_i32 s8, s11, s27
	s_lshl_b32 s37, s2, 9
	v_mov_b32_e32 v80, s8
	s_add_i32 s8, s7, s37
	s_add_i32 s7, s7, s38
	v_fma_f64 v[66:67], -v[54:55], v[84:85], v[98:99]
	v_fma_f64 v[98:99], -v[12:13], v[74:75], v[44:45]
	v_mov_b32_e32 v44, s7
	ds_read_b64 v[100:101], v44
	s_waitcnt lgkmcnt(1)
	v_fma_f64 v[72:73], -v[32:33], v[62:63], v[72:73]
	ds_read2_b64 v[80:83], v80 offset1:1
	v_fma_f64 v[86:87], -v[52:53], v[94:95], v[86:87]
	v_mov_b32_e32 v62, s8
	s_add_i32 s8, s11, s28
	ds_read2_b64 v[62:65], v62 offset1:1
	v_fma_f64 v[76:77], -v[14:15], v[76:77], v[98:99]
	s_add_i32 s7, s11, s30
	s_waitcnt lgkmcnt(1)
	v_fma_f64 v[94:95], -v[34:35], v[82:83], v[72:73]
	v_mov_b32_e32 v72, s8
	ds_read2_b64 v[82:85], v72 offset1:1
	s_add_i32 s8, s11, s29
	v_mov_b32_e32 v72, s8
	ds_read2_b64 v[72:75], v72 offset1:1
	s_waitcnt lgkmcnt(2)
	v_mul_f64 v[44:45], v[64:65], v[86:87]
	v_mov_b32_e32 v64, s7
	s_waitcnt lgkmcnt(1)
	v_fma_f64 v[84:85], -v[38:39], v[84:85], v[94:95]
	v_fma_f64 v[92:93], -v[52:53], v[92:93], v[66:67]
	ds_read2_b64 v[64:67], v64 offset1:1
	v_fma_f64 v[86:87], -v[16:17], v[68:69], v[76:77]
	s_sub_i32 s8, s4, 25
	s_add_i32 s7, s11, s31
	s_lshl_b32 s9, s8, 3
	global_store_dwordx2 v[96:97], v[52:53], off
	s_waitcnt lgkmcnt(1)
	v_fma_f64 v[84:85], -v[40:41], v[74:75], v[84:85]
	v_mov_b32_e32 v74, s7
	s_add_i32 s7, s9, s17
	ds_read2_b64 v[74:77], v74 offset1:1
	v_fma_f64 v[88:89], -v[20:21], v[88:89], v[86:87]
	v_fma_f64 v[96:97], -v[44:45], v[62:63], v[92:93]
	s_lshl_b64 s[12:13], s[2:3], 3
	s_add_i32 s2, s11, s33
	s_waitcnt lgkmcnt(1)
	v_fma_f64 v[94:95], -v[46:47], v[66:67], v[84:85]
	v_mov_b32_e32 v66, s7
	ds_read2_b64 v[66:69], v66 offset1:1
	s_add_i32 s7, s9, s18
	v_mov_b32_e32 v84, s7
	ds_read2_b64 v[84:87], v84 offset1:1
	v_fma_f64 v[88:89], -v[22:23], v[70:71], v[88:89]
	s_waitcnt lgkmcnt(1)
	v_fma_f64 v[42:43], -v[4:5], v[68:69], v[42:43]
	s_add_i32 s7, s9, s23
	v_mov_b32_e32 v68, s7
	ds_read2_b64 v[68:71], v68 offset1:1
	v_fma_f64 v[62:63], -v[50:51], v[76:77], v[94:95]
	s_add_i32 s7, s9, s21
	v_mov_b32_e32 v102, s13
	v_fma_f64 v[76:77], -v[26:27], v[90:91], v[88:89]
	s_waitcnt lgkmcnt(1)
	v_fma_f64 v[42:43], -v[8:9], v[86:87], v[42:43]
	v_mov_b32_e32 v86, s7
	ds_read2_b64 v[86:89], v86 offset1:1
	v_fma_f64 v[36:37], -v[4:5], v[66:67], v[36:37]
	s_mov_b32 s7, s3
	s_lshl_b64 s[6:7], s[6:7], 3
	s_lshl_b32 s40, s10, 9
	s_waitcnt lgkmcnt(1)
	v_fma_f64 v[42:43], -v[10:11], v[70:71], v[42:43]
	v_mov_b32_e32 v70, s2
	ds_read2_b64 v[90:93], v70 offset1:1
	s_add_i32 s2, s11, s34
	v_fma_f64 v[70:71], -v[28:29], v[78:79], v[76:77]
	v_mov_b32_e32 v76, s2
	s_add_i32 s2, s9, s5
	s_waitcnt lgkmcnt(0)
	v_fma_f64 v[98:99], -v[56:57], v[92:93], v[62:63]
	v_mov_b32_e32 v62, s2
	ds_read2_b64 v[92:95], v62 offset1:1
	v_fma_f64 v[42:43], -v[12:13], v[88:89], v[42:43]
	s_add_i32 s2, s9, s16
	v_fma_f64 v[70:71], -v[32:33], v[60:61], v[70:71]
	v_mov_b32_e32 v60, s2
	ds_read2_b64 v[76:79], v76 offset1:1
	ds_read2_b64 v[60:63], v60 offset1:1
	s_add_i32 s2, s11, s35
	v_fma_f64 v[36:37], -v[8:9], v[84:85], v[36:37]
	s_waitcnt lgkmcnt(2)
	v_fma_f64 v[88:89], -v[14:15], v[94:95], v[42:43]
	v_add_co_u32_e32 v42, vcc, s12, v48
	v_fma_f64 v[70:71], -v[34:35], v[80:81], v[70:71]
	s_add_i32 s12, s9, s19
	s_waitcnt lgkmcnt(1)
	v_fma_f64 v[98:99], -v[58:59], v[78:79], v[98:99]
	v_mov_b32_e32 v78, s12
	ds_read2_b64 v[78:81], v78 offset1:1
	s_waitcnt lgkmcnt(1)
	v_fma_f64 v[62:63], -v[16:17], v[62:63], v[88:89]
	s_add_i32 s12, s9, s20
	v_addc_co_u32_e32 v43, vcc, v49, v102, vcc
	v_fma_f64 v[70:71], -v[38:39], v[82:83], v[70:71]
	v_mov_b32_e32 v82, s12
	global_store_dwordx2 v[42:43], v[44:45], off
	v_mul_f64 v[42:43], v[100:101], v[96:97]
	ds_read2_b64 v[94:97], v82 offset1:1
	s_waitcnt lgkmcnt(1)
	v_fma_f64 v[62:63], -v[20:21], v[80:81], v[62:63]
	v_mov_b32_e32 v80, s2
	ds_read2_b64 v[80:83], v80 offset1:1
	v_fma_f64 v[88:89], -v[40:41], v[72:73], v[70:71]
	s_add_i32 s2, s11, s36
	v_mov_b32_e32 v70, s2
	s_add_i32 s2, s9, s24
	ds_read2_b64 v[70:73], v70 offset1:1
	s_waitcnt lgkmcnt(2)
	v_fma_f64 v[100:101], -v[22:23], v[96:97], v[62:63]
	v_mov_b32_e32 v62, s2
	s_waitcnt lgkmcnt(1)
	v_fma_f64 v[82:83], -v[54:55], v[82:83], v[98:99]
	ds_read2_b64 v[96:99], v62 offset1:1
	v_fma_f64 v[88:89], -v[46:47], v[64:65], v[88:89]
	s_add_i32 s2, s9, s25
	v_mov_b32_e32 v62, s2
	ds_read2_b64 v[62:65], v62 offset1:1
	s_waitcnt lgkmcnt(1)
	v_fma_f64 v[98:99], -v[26:27], v[98:99], v[100:101]
	s_add_i32 s2, s11, s37
	v_fma_f64 v[100:101], -v[52:53], v[72:73], v[82:83]
	v_mov_b32_e32 v103, s2
	v_fma_f64 v[72:73], -v[50:51], v[74:75], v[88:89]
	s_add_i32 s2, s9, s26
	v_fma_f64 v[36:37], -v[10:11], v[68:69], v[36:37]
	v_mov_b32_e32 v102, s7
	s_waitcnt lgkmcnt(0)
	v_fma_f64 v[82:83], -v[28:29], v[64:65], v[98:99]
	v_mov_b32_e32 v64, s2
	ds_read2_b64 v[64:67], v64 offset1:1
	s_add_i32 s2, s9, s27
	v_fma_f64 v[88:89], -v[56:57], v[90:91], v[72:73]
	v_mov_b32_e32 v72, s2
	ds_read2_b64 v[72:75], v72 offset1:1
	v_fma_f64 v[36:37], -v[12:13], v[86:87], v[36:37]
	s_waitcnt lgkmcnt(1)
	v_fma_f64 v[90:91], -v[32:33], v[66:67], v[82:83]
	s_add_i32 s2, s11, s38
	v_mov_b32_e32 v66, s2
	s_add_i32 s2, s9, s28
	v_fma_f64 v[88:89], -v[58:59], v[76:77], v[88:89]
	ds_read2_b64 v[66:69], v66 offset1:1
	ds_read2_b64 v[82:85], v103 offset1:1
	v_fma_f64 v[36:37], -v[14:15], v[92:93], v[36:37]
	s_waitcnt lgkmcnt(2)
	v_fma_f64 v[90:91], -v[34:35], v[74:75], v[90:91]
	v_mov_b32_e32 v74, s2
	ds_read2_b64 v[74:77], v74 offset1:1
	s_add_i32 s2, s9, s29
	s_waitcnt lgkmcnt(1)
	v_fma_f64 v[98:99], -v[44:45], v[84:85], v[100:101]
	v_mov_b32_e32 v84, s2
	v_fma_f64 v[80:81], -v[54:55], v[80:81], v[88:89]
	v_fma_f64 v[36:37], -v[16:17], v[60:61], v[36:37]
	s_waitcnt lgkmcnt(0)
	v_fma_f64 v[76:77], -v[38:39], v[76:77], v[90:91]
	ds_read2_b64 v[84:87], v84 offset1:1
	v_add_co_u32_e32 v88, vcc, s6, v48
	s_add_i32 s6, s9, s30
	v_fma_f64 v[92:93], -v[42:43], v[68:69], v[98:99]
	v_mov_b32_e32 v68, s6
	v_fma_f64 v[36:37], -v[20:21], v[78:79], v[36:37]
	s_waitcnt lgkmcnt(0)
	v_fma_f64 v[60:61], -v[40:41], v[86:87], v[76:77]
	v_fma_f64 v[80:81], -v[52:53], v[70:71], v[80:81]
	ds_read2_b64 v[68:71], v68 offset1:1
	s_add_i32 s6, s9, s31
	v_addc_co_u32_e32 v89, vcc, v49, v102, vcc
	v_mov_b32_e32 v76, s6
	global_store_dwordx2 v[88:89], v[42:43], off
	ds_read2_b64 v[86:89], v76 offset1:1
	s_waitcnt lgkmcnt(1)
	v_fma_f64 v[60:61], -v[46:47], v[70:71], v[60:61]
	v_fma_f64 v[36:37], -v[22:23], v[94:95], v[36:37]
	s_sub_i32 s2, s4, 22
	s_lshl_b32 s39, s2, 9
	s_add_i32 s6, s11, s39
	v_mov_b32_e32 v70, s6
	s_add_i32 s6, s11, s40
	s_add_i32 s7, s9, s33
	s_waitcnt lgkmcnt(0)
	v_fma_f64 v[60:61], -v[50:51], v[88:89], v[60:61]
	v_fma_f64 v[94:95], -v[26:27], v[96:97], v[36:37]
	v_mov_b32_e32 v36, s6
	ds_read2_b64 v[76:79], v70 offset1:1
	ds_read_b64 v[102:103], v36
	v_fma_f64 v[70:71], -v[44:45], v[82:83], v[80:81]
	v_mov_b32_e32 v80, s7
	ds_read2_b64 v[80:83], v80 offset1:1
	s_add_i32 s7, s9, s34
	v_mov_b32_e32 v88, s7
	ds_read2_b64 v[88:91], v88 offset1:1
	s_waitcnt lgkmcnt(3)
	v_mul_f64 v[36:37], v[78:79], v[92:93]
	s_waitcnt lgkmcnt(1)
	v_fma_f64 v[60:61], -v[56:57], v[82:83], v[60:61]
	v_fma_f64 v[78:79], -v[42:43], v[66:67], v[70:71]
	;; [unrolled: 1-line block ×3, first 2 shown]
	s_sub_i32 s6, s4, 27
	s_lshl_b32 s7, s6, 3
	s_add_i32 s11, s7, s17
	s_lshl_b64 s[12:13], s[2:3], 3
	s_add_i32 s2, s9, s35
	s_waitcnt lgkmcnt(0)
	v_fma_f64 v[82:83], -v[58:59], v[90:91], v[60:61]
	v_mov_b32_e32 v60, s11
	ds_read2_b64 v[60:63], v60 offset1:1
	s_add_i32 s11, s7, s18
	v_fma_f64 v[70:71], -v[32:33], v[64:65], v[66:67]
	v_mov_b32_e32 v64, s11
	ds_read2_b64 v[64:67], v64 offset1:1
	s_waitcnt lgkmcnt(1)
	v_fma_f64 v[30:31], -v[4:5], v[62:63], v[30:31]
	v_mov_b32_e32 v62, s2
	ds_read2_b64 v[90:93], v62 offset1:1
	s_add_i32 s2, s9, s36
	v_mov_b32_e32 v100, s13
	v_fma_f64 v[62:63], -v[34:35], v[72:73], v[70:71]
	v_mov_b32_e32 v70, s2
	s_add_i32 s2, s7, s23
	s_waitcnt lgkmcnt(1)
	v_fma_f64 v[30:31], -v[8:9], v[66:67], v[30:31]
	v_mov_b32_e32 v66, s2
	ds_read2_b64 v[70:73], v70 offset1:1
	s_waitcnt lgkmcnt(1)
	v_fma_f64 v[82:83], -v[54:55], v[92:93], v[82:83]
	ds_read2_b64 v[92:95], v66 offset1:1
	v_fma_f64 v[62:63], -v[38:39], v[74:75], v[62:63]
	s_add_i32 s2, s7, s21
	v_mov_b32_e32 v66, s2
	ds_read2_b64 v[96:99], v66 offset1:1
	s_waitcnt lgkmcnt(1)
	v_fma_f64 v[30:31], -v[10:11], v[94:95], v[30:31]
	v_add_co_u32_e32 v66, vcc, s12, v48
	v_addc_co_u32_e32 v67, vcc, v49, v100, vcc
	v_fma_f64 v[62:63], -v[40:41], v[84:85], v[62:63]
	s_add_i32 s11, s7, s5
	global_store_dwordx2 v[66:67], v[36:37], off
	s_waitcnt lgkmcnt(0)
	v_fma_f64 v[30:31], -v[12:13], v[98:99], v[30:31]
	v_mov_b32_e32 v66, s11
	v_fma_f64 v[94:95], -v[36:37], v[76:77], v[78:79]
	v_fma_f64 v[78:79], -v[52:53], v[72:73], v[82:83]
	ds_read2_b64 v[72:75], v66 offset1:1
	v_fma_f64 v[62:63], -v[46:47], v[68:69], v[62:63]
	s_add_i32 s11, s7, s16
	v_mov_b32_e32 v66, s11
	ds_read2_b64 v[66:69], v66 offset1:1
	s_waitcnt lgkmcnt(1)
	v_fma_f64 v[30:31], -v[14:15], v[74:75], v[30:31]
	s_add_i32 s2, s9, s37
	v_mov_b32_e32 v74, s2
	ds_read2_b64 v[74:77], v74 offset1:1
	s_add_i32 s2, s9, s38
	v_fma_f64 v[62:63], -v[50:51], v[86:87], v[62:63]
	v_mov_b32_e32 v82, s2
	s_add_i32 s2, s7, s19
	s_waitcnt lgkmcnt(1)
	v_fma_f64 v[30:31], -v[16:17], v[68:69], v[30:31]
	v_mov_b32_e32 v68, s2
	ds_read2_b64 v[82:85], v82 offset1:1
	s_waitcnt lgkmcnt(1)
	v_fma_f64 v[86:87], -v[44:45], v[76:77], v[78:79]
	ds_read2_b64 v[76:79], v68 offset1:1
	s_add_i32 s2, s7, s20
	v_mov_b32_e32 v68, s2
	v_fma_f64 v[62:63], -v[56:57], v[80:81], v[62:63]
	ds_read2_b64 v[98:101], v68 offset1:1
	s_waitcnt lgkmcnt(1)
	v_fma_f64 v[68:69], -v[20:21], v[78:79], v[30:31]
	s_mov_b32 s11, s3
	s_lshl_b64 s[10:11], s[10:11], 3
	v_mov_b32_e32 v104, s11
	s_add_i32 s11, s7, s24
	v_mov_b32_e32 v78, s11
	v_fma_f64 v[62:63], -v[58:59], v[88:89], v[62:63]
	ds_read2_b64 v[78:81], v78 offset1:1
	s_waitcnt lgkmcnt(1)
	v_fma_f64 v[68:69], -v[22:23], v[100:101], v[68:69]
	s_add_i32 s11, s7, s25
	v_mul_f64 v[30:31], v[102:103], v[94:95]
	v_fma_f64 v[94:95], -v[42:43], v[84:85], v[86:87]
	v_mov_b32_e32 v84, s11
	ds_read2_b64 v[84:87], v84 offset1:1
	v_fma_f64 v[62:63], -v[54:55], v[90:91], v[62:63]
	v_fma_f64 v[24:25], -v[4:5], v[60:61], v[24:25]
	s_waitcnt lgkmcnt(1)
	v_fma_f64 v[80:81], -v[26:27], v[80:81], v[68:69]
	s_add_i32 s2, s9, s39
	v_mov_b32_e32 v68, s2
	ds_read2_b64 v[88:91], v68 offset1:1
	s_add_i32 s2, s9, s40
	v_mov_b32_e32 v68, s2
	v_fma_f64 v[100:101], -v[52:53], v[70:71], v[62:63]
	s_add_i32 s2, s7, s26
	s_waitcnt lgkmcnt(1)
	v_fma_f64 v[80:81], -v[28:29], v[86:87], v[80:81]
	v_mov_b32_e32 v60, s2
	ds_read2_b64 v[68:71], v68 offset1:1
	ds_read2_b64 v[60:63], v60 offset1:1
	v_fma_f64 v[24:25], -v[8:9], v[64:65], v[24:25]
	s_waitcnt lgkmcnt(2)
	v_fma_f64 v[90:91], -v[36:37], v[90:91], v[94:95]
	v_fma_f64 v[74:75], -v[44:45], v[74:75], v[100:101]
	s_add_i32 s2, s7, s27
	s_waitcnt lgkmcnt(0)
	v_fma_f64 v[62:63], -v[32:33], v[62:63], v[80:81]
	v_mov_b32_e32 v86, s2
	ds_read2_b64 v[100:103], v86 offset1:1
	v_add_co_u32_e32 v64, vcc, s10, v48
	v_fma_f64 v[24:25], -v[10:11], v[92:93], v[24:25]
	v_fma_f64 v[86:87], -v[30:31], v[70:71], v[90:91]
	;; [unrolled: 1-line block ×3, first 2 shown]
	s_waitcnt lgkmcnt(0)
	v_fma_f64 v[74:75], -v[34:35], v[102:103], v[62:63]
	s_add_i32 s10, s7, s28
	v_addc_co_u32_e32 v65, vcc, v49, v104, vcc
	v_mov_b32_e32 v62, s10
	global_store_dwordx2 v[64:65], v[30:31], off
	ds_read2_b64 v[62:65], v62 offset1:1
	v_fma_f64 v[24:25], -v[12:13], v[96:97], v[24:25]
	s_add_i32 s10, s7, s29
	v_mov_b32_e32 v80, s10
	ds_read2_b64 v[80:83], v80 offset1:1
	s_waitcnt lgkmcnt(1)
	v_fma_f64 v[64:65], -v[38:39], v[64:65], v[74:75]
	s_sub_i32 s2, s4, 24
	s_lshl_b32 s11, s2, 9
	s_add_i32 s9, s9, s11
	v_fma_f64 v[24:25], -v[14:15], v[72:73], v[24:25]
	s_add_i32 s10, s7, s30
	v_mov_b32_e32 v74, s9
	ds_read2_b64 v[90:93], v74 offset1:1
	s_waitcnt lgkmcnt(1)
	v_fma_f64 v[82:83], -v[40:41], v[82:83], v[64:65]
	v_mov_b32_e32 v64, s10
	v_fma_f64 v[74:75], -v[36:37], v[88:89], v[70:71]
	ds_read2_b64 v[70:73], v64 offset1:1
	v_fma_f64 v[88:89], -v[16:17], v[66:67], v[24:25]
	s_add_i32 s9, s41, 0xffffcd38
	v_mov_b32_e32 v24, s9
	ds_read_b64 v[94:95], v24
	s_waitcnt lgkmcnt(1)
	v_fma_f64 v[72:73], -v[46:47], v[72:73], v[82:83]
	s_add_i32 s10, s7, s31
	v_mov_b32_e32 v64, s10
	ds_read2_b64 v[64:67], v64 offset1:1
	v_fma_f64 v[76:77], -v[20:21], v[76:77], v[88:89]
	v_mul_f64 v[24:25], v[92:93], v[86:87]
	s_lshl_b64 s[12:13], s[2:3], 3
	s_add_i32 s2, s7, s33
	s_waitcnt lgkmcnt(0)
	v_fma_f64 v[86:87], -v[50:51], v[66:67], v[72:73]
	v_mov_b32_e32 v66, s2
	v_fma_f64 v[82:83], -v[30:31], v[68:69], v[74:75]
	ds_read2_b64 v[66:69], v66 offset1:1
	v_fma_f64 v[76:77], -v[22:23], v[98:99], v[76:77]
	s_add_i32 s2, s7, s34
	v_mov_b32_e32 v72, s2
	ds_read2_b64 v[72:75], v72 offset1:1
	s_waitcnt lgkmcnt(1)
	v_fma_f64 v[68:69], -v[56:57], v[68:69], v[86:87]
	s_add_i32 s2, s7, s35
	v_mov_b32_e32 v92, s13
	v_add_co_u32_e32 v86, vcc, s12, v48
	v_fma_f64 v[78:79], -v[26:27], v[78:79], v[76:77]
	v_addc_co_u32_e32 v87, vcc, v49, v92, vcc
	s_waitcnt lgkmcnt(0)
	v_fma_f64 v[68:69], -v[58:59], v[74:75], v[68:69]
	v_mov_b32_e32 v74, s2
	ds_read2_b64 v[74:77], v74 offset1:1
	global_store_dwordx2 v[86:87], v[24:25], off
	s_sub_i32 s10, s4, 29
	v_fma_f64 v[86:87], -v[28:29], v[84:85], v[78:79]
	s_add_i32 s2, s7, s36
	s_lshl_b32 s42, s10, 3
	v_fma_f64 v[90:91], -v[24:25], v[90:91], v[82:83]
	v_mov_b32_e32 v82, s2
	s_add_i32 s2, s42, s17
	ds_read2_b64 v[82:85], v82 offset1:1
	s_waitcnt lgkmcnt(1)
	v_fma_f64 v[68:69], -v[54:55], v[76:77], v[68:69]
	v_mov_b32_e32 v76, s2
	ds_read2_b64 v[76:79], v76 offset1:1
	s_add_i32 s2, s42, s18
	v_fma_f64 v[60:61], -v[32:33], v[60:61], v[86:87]
	v_mov_b32_e32 v86, s2
	ds_read2_b64 v[86:89], v86 offset1:1
	s_waitcnt lgkmcnt(1)
	v_fma_f64 v[78:79], -v[4:5], v[78:79], v[18:19]
	s_add_i32 s2, s7, s37
	v_mov_b32_e32 v92, s2
	s_add_i32 s2, s42, s23
	v_fma_f64 v[68:69], -v[52:53], v[84:85], v[68:69]
	v_fma_f64 v[60:61], -v[34:35], v[100:101], v[60:61]
	v_mov_b32_e32 v84, s2
	v_mul_f64 v[18:19], v[94:95], v[90:91]
	s_waitcnt lgkmcnt(0)
	v_fma_f64 v[78:79], -v[8:9], v[88:89], v[78:79]
	ds_read2_b64 v[88:91], v84 offset1:1
	s_add_i32 s2, s42, s21
	v_fma_f64 v[6:7], -v[4:5], v[76:77], v[6:7]
	s_mov_b32 s9, s3
	v_fma_f64 v[84:85], -v[38:39], v[62:63], v[60:61]
	v_mov_b32_e32 v60, s2
	ds_read2_b64 v[60:63], v60 offset1:1
	s_waitcnt lgkmcnt(1)
	v_fma_f64 v[78:79], -v[10:11], v[90:91], v[78:79]
	ds_read2_b64 v[90:93], v92 offset1:1
	s_add_i32 s2, s7, s38
	v_mov_b32_e32 v94, s2
	s_add_i32 s2, s42, s5
	v_fma_f64 v[84:85], -v[40:41], v[80:81], v[84:85]
	s_waitcnt lgkmcnt(0)
	v_fma_f64 v[68:69], -v[44:45], v[92:93], v[68:69]
	v_fma_f64 v[6:7], -v[8:9], v[86:87], v[6:7]
	;; [unrolled: 1-line block ×3, first 2 shown]
	v_mov_b32_e32 v78, s2
	ds_read2_b64 v[78:81], v78 offset1:1
	s_add_i32 s2, s42, s16
	v_mov_b32_e32 v92, s2
	ds_read2_b64 v[98:101], v92 offset1:1
	ds_read2_b64 v[94:97], v94 offset1:1
	s_lshl_b64 s[12:13], s[8:9], 3
	s_waitcnt lgkmcnt(2)
	v_fma_f64 v[62:63], -v[14:15], v[80:81], v[62:63]
	v_mov_b32_e32 v102, s13
	v_add_co_u32_e32 v76, vcc, s12, v48
	s_add_i32 s2, s7, s39
	v_fma_f64 v[6:7], -v[10:11], v[88:89], v[6:7]
	v_addc_co_u32_e32 v77, vcc, v49, v102, vcc
	s_waitcnt lgkmcnt(1)
	v_fma_f64 v[62:63], -v[16:17], v[100:101], v[62:63]
	v_mov_b32_e32 v92, s2
	s_add_i32 s2, s42, s19
	global_store_dwordx2 v[76:77], v[18:19], off
	ds_read2_b64 v[100:103], v92 offset1:1
	s_waitcnt lgkmcnt(1)
	v_fma_f64 v[76:77], -v[42:43], v[96:97], v[68:69]
	v_mov_b32_e32 v68, s2
	v_fma_f64 v[80:81], -v[46:47], v[70:71], v[84:85]
	ds_read2_b64 v[68:71], v68 offset1:1
	s_add_i32 s2, s42, s20
	v_mov_b32_e32 v84, s2
	ds_read2_b64 v[84:87], v84 offset1:1
	v_fma_f64 v[6:7], -v[12:13], v[60:61], v[6:7]
	s_waitcnt lgkmcnt(1)
	v_fma_f64 v[70:71], -v[20:21], v[70:71], v[62:63]
	s_add_i32 s2, s7, s40
	v_mov_b32_e32 v62, s2
	s_add_i32 s2, s42, s24
	v_fma_f64 v[92:93], -v[36:37], v[102:103], v[76:77]
	v_mov_b32_e32 v76, s2
	ds_read2_b64 v[60:63], v62 offset1:1
	v_fma_f64 v[6:7], -v[14:15], v[78:79], v[6:7]
	s_waitcnt lgkmcnt(1)
	v_fma_f64 v[70:71], -v[22:23], v[86:87], v[70:71]
	ds_read2_b64 v[86:89], v76 offset1:1
	s_add_i32 s2, s42, s25
	v_fma_f64 v[64:65], -v[50:51], v[64:65], v[80:81]
	v_mov_b32_e32 v76, s2
	ds_read2_b64 v[76:79], v76 offset1:1
	s_add_i32 s9, s7, s11
	v_fma_f64 v[6:7], -v[16:17], v[98:99], v[6:7]
	s_waitcnt lgkmcnt(1)
	v_fma_f64 v[70:71], -v[26:27], v[88:89], v[70:71]
	v_fma_f64 v[88:89], -v[30:31], v[62:63], v[92:93]
	v_mov_b32_e32 v62, s9
	s_add_i32 s9, s42, s26
	v_fma_f64 v[66:67], -v[56:57], v[66:67], v[64:65]
	ds_read2_b64 v[62:65], v62 offset1:1
	s_sub_i32 s2, s4, 26
	v_fma_f64 v[6:7], -v[20:21], v[68:69], v[6:7]
	s_waitcnt lgkmcnt(1)
	v_fma_f64 v[70:71], -v[28:29], v[78:79], v[70:71]
	v_mov_b32_e32 v78, s9
	ds_read2_b64 v[78:81], v78 offset1:1
	s_add_i32 s9, s42, s27
	v_fma_f64 v[72:73], -v[58:59], v[72:73], v[66:67]
	v_mov_b32_e32 v66, s9
	ds_read2_b64 v[66:69], v66 offset1:1
	v_fma_f64 v[6:7], -v[22:23], v[84:85], v[6:7]
	s_waitcnt lgkmcnt(1)
	v_fma_f64 v[80:81], -v[32:33], v[80:81], v[70:71]
	s_lshl_b32 s9, s8, 9
	s_add_i32 s8, s7, s9
	v_mov_b32_e32 v70, s8
	s_add_i32 s8, s42, s28
	v_fma_f64 v[74:75], -v[54:55], v[74:75], v[72:73]
	v_fma_f64 v[64:65], -v[24:25], v[64:65], v[88:89]
	;; [unrolled: 1-line block ×3, first 2 shown]
	s_waitcnt lgkmcnt(0)
	v_fma_f64 v[68:69], -v[34:35], v[68:69], v[80:81]
	v_mov_b32_e32 v80, s8
	ds_read2_b64 v[84:87], v80 offset1:1
	s_add_i32 s8, s42, s29
	ds_read2_b64 v[70:73], v70 offset1:1
	v_fma_f64 v[88:89], -v[52:53], v[82:83], v[74:75]
	v_mov_b32_e32 v74, s8
	v_fma_f64 v[6:7], -v[28:29], v[76:77], v[6:7]
	s_waitcnt lgkmcnt(1)
	v_fma_f64 v[68:69], -v[38:39], v[86:87], v[68:69]
	ds_read2_b64 v[80:83], v74 offset1:1
	s_lshl_b32 s43, s2, 9
	s_add_i32 s7, s7, s43
	s_waitcnt lgkmcnt(1)
	v_fma_f64 v[64:65], -v[18:19], v[72:73], v[64:65]
	v_mov_b32_e32 v72, s7
	s_add_i32 s7, s42, s30
	v_fma_f64 v[6:7], -v[32:33], v[78:79], v[6:7]
	s_waitcnt lgkmcnt(0)
	v_fma_f64 v[68:69], -v[40:41], v[82:83], v[68:69]
	v_mov_b32_e32 v76, s7
	ds_read2_b64 v[76:79], v76 offset1:1
	s_add_i32 s8, s42, s31
	v_mov_b32_e32 v82, s8
	v_fma_f64 v[90:91], -v[44:45], v[90:91], v[88:89]
	ds_read2_b64 v[86:89], v82 offset1:1
	v_fma_f64 v[66:67], -v[34:35], v[66:67], v[6:7]
	s_waitcnt lgkmcnt(1)
	v_fma_f64 v[68:69], -v[46:47], v[78:79], v[68:69]
	ds_read2_b64 v[72:75], v72 offset1:1
	s_lshl_b64 s[12:13], s[2:3], 3
	s_sub_i32 s8, s4, 31
	s_add_i32 s7, s41, 0xffffc928
	v_mov_b32_e32 v98, s13
	s_add_i32 s2, s42, s33
	s_lshl_b32 s13, s8, 3
	s_waitcnt lgkmcnt(1)
	v_fma_f64 v[88:89], -v[50:51], v[88:89], v[68:69]
	v_fma_f64 v[68:69], -v[38:39], v[84:85], v[66:67]
	v_mov_b32_e32 v6, s7
	v_mov_b32_e32 v82, s2
	s_add_i32 s2, s13, s17
	ds_read_b64 v[92:93], v6
	s_waitcnt lgkmcnt(1)
	v_mul_f64 v[6:7], v[74:75], v[64:65]
	v_mov_b32_e32 v64, s2
	ds_read2_b64 v[64:67], v64 offset1:1
	s_add_i32 s2, s13, s18
	v_fma_f64 v[74:75], -v[42:43], v[94:95], v[90:91]
	v_fma_f64 v[90:91], -v[40:41], v[80:81], v[68:69]
	v_mov_b32_e32 v68, s2
	ds_read2_b64 v[78:81], v68 offset1:1
	s_waitcnt lgkmcnt(1)
	v_fma_f64 v[2:3], -v[4:5], v[66:67], v[2:3]
	v_fma_f64 v[4:5], -v[4:5], v[64:65], v[0:1]
	s_add_i32 s2, s42, s34
	ds_read2_b64 v[66:69], v82 offset1:1
	v_fma_f64 v[94:95], -v[36:37], v[100:101], v[74:75]
	v_mov_b32_e32 v74, s2
	s_add_i32 s2, s13, s23
	ds_read2_b64 v[82:85], v74 offset1:1
	s_waitcnt lgkmcnt(2)
	v_fma_f64 v[2:3], -v[8:9], v[80:81], v[2:3]
	v_mov_b32_e32 v74, s2
	v_fma_f64 v[96:97], -v[46:47], v[76:77], v[90:91]
	ds_read2_b64 v[74:77], v74 offset1:1
	s_add_i32 s2, s13, s21
	v_mov_b32_e32 v80, s2
	v_fma_f64 v[4:5], -v[8:9], v[78:79], v[4:5]
	s_waitcnt lgkmcnt(2)
	v_fma_f64 v[68:69], -v[56:57], v[68:69], v[88:89]
	ds_read2_b64 v[88:91], v80 offset1:1
	s_waitcnt lgkmcnt(1)
	v_fma_f64 v[64:65], -v[10:11], v[76:77], v[2:3]
	s_add_i32 s2, s42, s35
	v_mov_b32_e32 v0, s2
	s_add_i32 s2, s13, s5
	v_fma_f64 v[80:81], -v[50:51], v[86:87], v[96:97]
	v_fma_f64 v[4:5], -v[10:11], v[74:75], v[4:5]
	;; [unrolled: 1-line block ×3, first 2 shown]
	ds_read2_b64 v[0:3], v0 offset1:1
	s_waitcnt lgkmcnt(1)
	v_fma_f64 v[8:9], -v[12:13], v[90:91], v[64:65]
	v_mov_b32_e32 v64, s2
	ds_read2_b64 v[76:79], v64 offset1:1
	s_add_i32 s2, s13, s16
	v_mov_b32_e32 v64, s2
	v_fma_f64 v[12:13], -v[12:13], v[88:89], v[4:5]
	ds_read2_b64 v[84:87], v64 offset1:1
	v_fma_f64 v[60:61], -v[30:31], v[60:61], v[94:95]
	s_waitcnt lgkmcnt(1)
	v_fma_f64 v[64:65], -v[14:15], v[78:79], v[8:9]
	s_add_i32 s2, s42, s36
	v_mov_b32_e32 v8, s2
	s_add_i32 s2, s13, s19
	ds_read2_b64 v[8:11], v8 offset1:1
	v_fma_f64 v[12:13], -v[14:15], v[76:77], v[12:13]
	v_fma_f64 v[68:69], -v[54:55], v[2:3], v[68:69]
	v_mov_b32_e32 v2, s2
	s_waitcnt lgkmcnt(1)
	v_fma_f64 v[64:65], -v[16:17], v[86:87], v[64:65]
	ds_read2_b64 v[2:5], v2 offset1:1
	s_add_i32 s2, s13, s20
	v_fma_f64 v[74:75], -v[24:25], v[62:63], v[60:61]
	v_mov_b32_e32 v60, s2
	v_fma_f64 v[14:15], -v[16:17], v[84:85], v[12:13]
	ds_read2_b64 v[60:63], v60 offset1:1
	v_fma_f64 v[66:67], -v[56:57], v[66:67], v[80:81]
	s_waitcnt lgkmcnt(1)
	v_fma_f64 v[4:5], -v[20:21], v[4:5], v[64:65]
	s_add_i32 s2, s42, s37
	v_fma_f64 v[68:69], -v[52:53], v[10:11], v[68:69]
	v_fma_f64 v[70:71], -v[18:19], v[70:71], v[74:75]
	v_mov_b32_e32 v74, s2
	v_fma_f64 v[20:21], -v[20:21], v[2:3], v[14:15]
	s_add_i32 s2, s13, s24
	v_fma_f64 v[16:17], -v[58:59], v[82:83], v[66:67]
	s_waitcnt lgkmcnt(0)
	v_fma_f64 v[62:63], -v[22:23], v[62:63], v[4:5]
	v_mov_b32_e32 v4, s2
	ds_read2_b64 v[10:13], v4 offset1:1
	s_add_i32 s2, s13, s25
	v_mov_b32_e32 v2, s2
	s_add_i32 s2, s42, s38
	v_mov_b32_e32 v66, s2
	v_fma_f64 v[60:61], -v[22:23], v[60:61], v[20:21]
	ds_read2_b64 v[20:23], v66 offset1:1
	s_waitcnt lgkmcnt(1)
	v_fma_f64 v[62:63], -v[26:27], v[12:13], v[62:63]
	ds_read2_b64 v[12:15], v74 offset1:1
	ds_read2_b64 v[2:5], v2 offset1:1
	s_add_i32 s2, s13, s26
	v_fma_f64 v[0:1], -v[54:55], v[0:1], v[16:17]
	s_add_i32 s5, s42, s43
	s_waitcnt lgkmcnt(1)
	v_fma_f64 v[66:67], -v[44:45], v[14:15], v[68:69]
	v_mov_b32_e32 v14, s2
	v_fma_f64 v[10:11], -v[26:27], v[10:11], v[60:61]
	ds_read2_b64 v[14:17], v14 offset1:1
	s_waitcnt lgkmcnt(1)
	v_fma_f64 v[4:5], -v[28:29], v[4:5], v[62:63]
	s_add_i32 s2, s13, s27
	v_mov_b32_e32 v26, s2
	ds_read2_b64 v[60:63], v26 offset1:1
	s_add_i32 s2, s42, s39
	v_fma_f64 v[26:27], -v[52:53], v[8:9], v[0:1]
	v_fma_f64 v[10:11], -v[28:29], v[2:3], v[10:11]
	;; [unrolled: 1-line block ×3, first 2 shown]
	s_waitcnt lgkmcnt(1)
	v_fma_f64 v[4:5], -v[32:33], v[16:17], v[4:5]
	v_mov_b32_e32 v16, s2
	s_add_i32 s2, s13, s28
	v_mov_b32_e32 v0, s2
	ds_read2_b64 v[0:3], v0 offset1:1
	s_add_i32 s2, s13, s29
	v_fma_f64 v[14:15], -v[32:33], v[14:15], v[10:11]
	v_mov_b32_e32 v8, s2
	s_waitcnt lgkmcnt(1)
	v_fma_f64 v[4:5], -v[34:35], v[62:63], v[4:5]
	ds_read2_b64 v[8:11], v8 offset1:1
	s_add_i32 s2, s42, s40
	v_add_co_u32_e32 v64, vcc, s12, v48
	v_addc_co_u32_e32 v65, vcc, v49, v98, vcc
	v_fma_f64 v[32:33], -v[34:35], v[60:61], v[14:15]
	s_waitcnt lgkmcnt(1)
	v_fma_f64 v[28:29], -v[38:39], v[2:3], v[4:5]
	ds_read2_b64 v[2:5], v16 offset1:1
	v_mov_b32_e32 v16, s2
	s_add_i32 s2, s13, s30
	ds_read2_b64 v[14:17], v16 offset1:1
	global_store_dwordx2 v[64:65], v[6:7], off
	s_waitcnt lgkmcnt(1)
	v_fma_f64 v[4:5], -v[36:37], v[4:5], v[22:23]
	v_fma_f64 v[0:1], -v[38:39], v[0:1], v[32:33]
	;; [unrolled: 1-line block ×4, first 2 shown]
	v_mov_b32_e32 v10, s2
	ds_read2_b64 v[10:13], v10 offset1:1
	s_add_i32 s2, s13, s31
	v_mov_b32_e32 v26, s2
	s_add_i32 s2, s42, s11
	v_mov_b32_e32 v32, s2
	s_add_i32 s2, s13, s33
	v_fma_f64 v[0:1], -v[40:41], v[8:9], v[0:1]
	v_mov_b32_e32 v8, s2
	ds_read2_b64 v[26:29], v26 offset1:1
	s_waitcnt lgkmcnt(2)
	v_fma_f64 v[4:5], -v[30:31], v[16:17], v[4:5]
	v_fma_f64 v[16:17], -v[42:43], v[20:21], v[22:23]
	ds_read2_b64 v[20:23], v8 offset1:1
	s_waitcnt lgkmcnt(2)
	v_fma_f64 v[12:13], -v[46:47], v[12:13], v[34:35]
	s_add_i32 s2, s13, s34
	v_fma_f64 v[0:1], -v[46:47], v[10:11], v[0:1]
	v_mov_b32_e32 v8, s2
	ds_read2_b64 v[8:11], v8 offset1:1
	ds_read2_b64 v[32:35], v32 offset1:1
	s_add_i32 s2, s42, s9
	v_fma_f64 v[16:17], -v[36:37], v[2:3], v[16:17]
	s_waitcnt lgkmcnt(3)
	v_fma_f64 v[12:13], -v[50:51], v[28:29], v[12:13]
	v_mov_b32_e32 v28, s2
	s_add_i32 s2, s13, s35
	s_waitcnt lgkmcnt(0)
	v_fma_f64 v[4:5], -v[24:25], v[34:35], v[4:5]
	v_fma_f64 v[64:65], -v[6:7], v[72:73], v[70:71]
	s_add_i32 s11, s13, s11
	s_add_i32 s9, s13, s9
	v_fma_f64 v[16:17], -v[30:31], v[14:15], v[16:17]
	v_fma_f64 v[12:13], -v[56:57], v[22:23], v[12:13]
	;; [unrolled: 1-line block ×3, first 2 shown]
	v_mov_b32_e32 v0, s2
	ds_read2_b64 v[0:3], v0 offset1:1
	s_add_i32 s2, s13, s36
	ds_read2_b64 v[26:29], v28 offset1:1
	v_mul_f64 v[38:39], v[92:93], v[64:65]
	v_fma_f64 v[32:33], -v[24:25], v[32:33], v[16:17]
	v_fma_f64 v[34:35], -v[58:59], v[10:11], v[12:13]
	;; [unrolled: 1-line block ×3, first 2 shown]
	v_mov_b32_e32 v10, s2
	ds_read2_b64 v[10:13], v10 offset1:1
	s_waitcnt lgkmcnt(1)
	v_fma_f64 v[28:29], -v[18:19], v[28:29], v[4:5]
	s_sub_i32 s2, s4, 28
	s_mov_b32 s7, s3
	v_fma_f64 v[32:33], -v[18:19], v[26:27], v[32:33]
	v_fma_f64 v[22:23], -v[54:55], v[2:3], v[34:35]
	;; [unrolled: 1-line block ×3, first 2 shown]
	v_mov_b32_e32 v2, s5
	s_add_i32 s5, s13, s37
	ds_read2_b64 v[2:5], v2 offset1:1
	s_waitcnt lgkmcnt(1)
	v_fma_f64 v[34:35], -v[52:53], v[12:13], v[22:23]
	v_fma_f64 v[0:1], -v[54:55], v[0:1], v[8:9]
	v_mov_b32_e32 v12, s5
	ds_read2_b64 v[12:15], v12 offset1:1
	s_add_i32 s5, s13, s38
	v_mov_b32_e32 v8, s5
	ds_read2_b64 v[20:23], v8 offset1:1
	s_lshl_b32 s5, s6, 9
	s_waitcnt lgkmcnt(1)
	v_fma_f64 v[14:15], -v[44:45], v[14:15], v[34:35]
	v_fma_f64 v[0:1], -v[52:53], v[10:11], v[0:1]
	s_add_i32 s12, s42, s5
	v_mov_b32_e32 v8, s12
	s_add_i32 s12, s13, s39
	v_fma_f64 v[4:5], -v[6:7], v[4:5], v[28:29]
	ds_read2_b64 v[8:11], v8 offset1:1
	s_lshl_b64 s[6:7], s[6:7], 3
	s_waitcnt lgkmcnt(1)
	v_fma_f64 v[22:23], -v[42:43], v[22:23], v[14:15]
	v_fma_f64 v[0:1], -v[44:45], v[12:13], v[0:1]
	v_mov_b32_e32 v14, s12
	ds_read2_b64 v[14:17], v14 offset1:1
	s_add_i32 s12, s13, s40
	v_mov_b32_e32 v12, s12
	ds_read2_b64 v[26:29], v12 offset1:1
	s_lshl_b32 s12, s2, 9
	s_waitcnt lgkmcnt(1)
	v_fma_f64 v[16:17], -v[36:37], v[16:17], v[22:23]
	v_fma_f64 v[0:1], -v[42:43], v[20:21], v[0:1]
	;; [unrolled: 1-line block ×3, first 2 shown]
	v_mov_b32_e32 v2, s11
	s_add_i32 s16, s42, s12
	s_add_i32 s5, s13, s5
	s_add_i32 s11, s41, 0xffffc518
	v_mov_b32_e32 v32, s11
	s_waitcnt lgkmcnt(0)
	v_fma_f64 v[22:23], -v[30:31], v[28:29], v[16:17]
	v_fma_f64 v[28:29], -v[36:37], v[14:15], v[0:1]
	ds_read2_b64 v[0:3], v2 offset1:1
	v_fma_f64 v[4:5], -v[38:39], v[10:11], v[4:5]
	v_mov_b32_e32 v10, s16
	v_mov_b32_e32 v14, s9
	ds_read2_b64 v[10:13], v10 offset1:1
	ds_read2_b64 v[14:17], v14 offset1:1
	s_waitcnt lgkmcnt(2)
	v_fma_f64 v[2:3], -v[24:25], v[2:3], v[22:23]
	v_fma_f64 v[22:23], -v[30:31], v[26:27], v[28:29]
	v_mov_b32_e32 v28, s7
	s_waitcnt lgkmcnt(1)
	v_mul_f64 v[12:13], v[12:13], v[4:5]
	v_fma_f64 v[4:5], -v[38:39], v[8:9], v[20:21]
	s_add_i32 s7, s13, s43
	v_mov_b32_e32 v8, s5
	ds_read_b64 v[26:27], v32
	s_waitcnt lgkmcnt(1)
	v_fma_f64 v[16:17], -v[18:19], v[16:17], v[2:3]
	v_fma_f64 v[20:21], -v[24:25], v[0:1], v[22:23]
	v_mov_b32_e32 v0, s7
	ds_read2_b64 v[0:3], v0 offset1:1
	v_fma_f64 v[4:5], -v[12:13], v[10:11], v[4:5]
	ds_read2_b64 v[8:11], v8 offset1:1
	s_mov_b32 s11, s3
	s_mov_b32 s9, s3
	s_waitcnt lgkmcnt(1)
	v_fma_f64 v[2:3], -v[6:7], v[2:3], v[16:17]
	v_fma_f64 v[14:15], -v[18:19], v[14:15], v[20:21]
	v_add_co_u32_e32 v16, vcc, s6, v48
	s_lshl_b64 s[6:7], s[2:3], 3
	s_add_i32 s2, s13, s12
	v_addc_co_u32_e32 v17, vcc, v49, v28, vcc
	s_waitcnt lgkmcnt(0)
	v_fma_f64 v[10:11], -v[38:39], v[10:11], v[2:3]
	v_fma_f64 v[14:15], -v[6:7], v[0:1], v[14:15]
	v_mov_b32_e32 v0, s2
	ds_read2_b64 v[0:3], v0 offset1:1
	s_lshl_b32 s2, s10, 9
	s_add_i32 s2, s13, s2
	global_store_dwordx2 v[16:17], v[38:39], off
	v_mul_f64 v[16:17], v[26:27], v[4:5]
	v_mov_b32_e32 v4, s2
	ds_read2_b64 v[4:7], v4 offset1:1
	s_waitcnt lgkmcnt(1)
	v_fma_f64 v[2:3], -v[12:13], v[2:3], v[10:11]
	v_fma_f64 v[8:9], -v[38:39], v[8:9], v[14:15]
	s_sub_i32 s2, s4, 30
	s_lshl_b32 s5, s2, 9
	s_add_i32 s5, s13, s5
	v_mov_b32_e32 v18, s7
	v_add_co_u32_e32 v10, vcc, s6, v48
	s_waitcnt lgkmcnt(0)
	v_fma_f64 v[6:7], -v[16:17], v[6:7], v[2:3]
	v_fma_f64 v[8:9], -v[12:13], v[0:1], v[8:9]
	v_mov_b32_e32 v0, s5
	ds_read2_b64 v[0:3], v0 offset1:1
	v_addc_co_u32_e32 v11, vcc, v49, v18, vcc
	s_add_i32 s5, s41, 0xffffc108
	global_store_dwordx2 v[10:11], v[12:13], off
	v_mov_b32_e32 v10, s5
	ds_read_b64 v[10:11], v10
	s_waitcnt lgkmcnt(1)
	v_mul_f64 v[2:3], v[2:3], v[6:7]
	v_fma_f64 v[4:5], -v[16:17], v[4:5], v[8:9]
	s_lshl_b64 s[6:7], s[10:11], 3
	v_mov_b32_e32 v7, s7
	v_add_co_u32_e32 v6, vcc, s6, v48
	v_addc_co_u32_e32 v7, vcc, v49, v7, vcc
	s_lshl_b64 s[6:7], s[2:3], 3
	v_fma_f64 v[0:1], -v[2:3], v[0:1], v[4:5]
	v_mov_b32_e32 v5, s7
	v_add_co_u32_e32 v4, vcc, s6, v48
	v_addc_co_u32_e32 v5, vcc, v49, v5, vcc
	s_lshl_b64 s[6:7], s[8:9], 3
	global_store_dwordx2 v[4:5], v[2:3], off
	s_waitcnt lgkmcnt(0)
	v_mul_f64 v[0:1], v[10:11], v[0:1]
	v_mov_b32_e32 v3, s7
	v_add_co_u32_e32 v2, vcc, s6, v48
	s_mov_b32 s5, 31
	v_addc_co_u32_e32 v3, vcc, v49, v3, vcc
	s_cmp_gt_i32 s4, 62
	global_store_dwordx2 v[6:7], v[16:17], off
	global_store_dwordx2 v[2:3], v[0:1], off
	s_cbranch_scc0 .LBB108_44
.LBB108_41:                             ; =>This Loop Header: Depth=1
                                        ;     Child Loop BB108_43 Depth 2
	s_mov_b32 s4, s5
	s_mov_b32 s5, s3
	s_lshl_b64 s[6:7], s[4:5], 3
	v_mov_b32_e32 v0, s7
	v_add_co_u32_e32 v10, vcc, s6, v48
	s_ashr_i32 s5, s4, 31
	v_addc_co_u32_e32 v11, vcc, v49, v0, vcc
	s_lshl_b64 s[6:7], s[4:5], 3
	v_mov_b32_e32 v0, s7
	v_add_co_u32_e32 v6, vcc, s6, v48
	v_addc_co_u32_e32 v7, vcc, v49, v0, vcc
	global_load_dwordx2 v[4:5], v[10:11], off
	global_load_dwordx2 v[8:9], v[6:7], off offset:-8
	global_load_dwordx4 v[0:3], v[6:7], off offset:-24
	global_load_dwordx4 v[14:17], v[6:7], off offset:-40
	global_load_dwordx4 v[18:21], v[6:7], off offset:-56
	global_load_dwordx4 v[22:25], v[6:7], off offset:-72
	global_load_dwordx4 v[28:31], v[6:7], off offset:-88
	global_load_dwordx4 v[32:35], v[6:7], off offset:-104
	global_load_dwordx4 v[36:39], v[6:7], off offset:-120
	global_load_dwordx4 v[42:45], v[6:7], off offset:-136
	global_load_dwordx4 v[52:55], v[6:7], off offset:-152
	global_load_dwordx4 v[68:71], v[6:7], off offset:-168
	global_load_dwordx4 v[72:75], v[6:7], off offset:-184
	global_load_dwordx4 v[76:79], v[6:7], off offset:-200
	global_load_dwordx4 v[80:83], v[6:7], off offset:-216
	global_load_dwordx4 v[84:87], v[6:7], off offset:-232
	global_load_dwordx4 v[88:91], v[6:7], off offset:-248
	s_cmp_le_i32 s14, s4
	s_waitcnt vmcnt(15)
	v_mul_f64 v[66:67], s[0:1], v[8:9]
	s_waitcnt vmcnt(14)
	v_mul_f64 v[8:9], s[0:1], v[2:3]
	v_mul_f64 v[64:65], s[0:1], v[0:1]
	s_waitcnt vmcnt(13)
	v_mul_f64 v[12:13], s[0:1], v[16:17]
	;; [unrolled: 3-line block ×7, first 2 shown]
	v_mul_f64 v[4:5], s[0:1], v[4:5]
	v_mul_f64 v[38:39], s[0:1], v[36:37]
	s_waitcnt vmcnt(7)
	v_mul_f64 v[40:41], s[0:1], v[44:45]
	v_mul_f64 v[46:47], s[0:1], v[42:43]
	s_waitcnt vmcnt(6)
	;; [unrolled: 3-line block ×8, first 2 shown]
	v_mul_f64 v[2:3], s[0:1], v[90:91]
	v_mul_f64 v[0:1], s[0:1], v[88:89]
	s_cbranch_scc1 .LBB108_40
; %bb.42:                               ;   in Loop: Header=BB108_41 Depth=1
	s_lshl_b32 s2, s4, 3
	s_add_i32 s5, s15, s2
	s_mov_b32 s2, s14
.LBB108_43:                             ;   Parent Loop BB108_41 Depth=1
                                        ; =>  This Inner Loop Header: Depth=2
	s_lshl_b64 s[6:7], s[2:3], 3
	v_mov_b32_e32 v69, s7
	v_add_co_u32_e32 v68, vcc, s6, v48
	v_addc_co_u32_e32 v69, vcc, v49, v69, vcc
	global_load_dwordx2 v[132:133], v[68:69], off
	v_mov_b32_e32 v128, s5
	ds_read2_b64 v[68:71], v128 offset0:30 offset1:31
	ds_read2_b64 v[72:75], v128 offset0:28 offset1:29
	;; [unrolled: 1-line block ×15, first 2 shown]
	ds_read2_b64 v[128:131], v128 offset1:1
	s_add_i32 s2, s2, -1
	s_addk_i32 s5, 0xfe00
	s_cmp_gt_i32 s2, s4
	s_waitcnt vmcnt(0) lgkmcnt(14)
	v_fma_f64 v[4:5], -v[132:133], v[70:71], v[4:5]
	v_fma_f64 v[66:67], -v[132:133], v[68:69], v[66:67]
	;; [unrolled: 1-line block ×4, first 2 shown]
	s_waitcnt lgkmcnt(13)
	v_fma_f64 v[12:13], -v[132:133], v[78:79], v[12:13]
	v_fma_f64 v[62:63], -v[132:133], v[76:77], v[62:63]
	s_waitcnt lgkmcnt(12)
	v_fma_f64 v[14:15], -v[132:133], v[82:83], v[14:15]
	v_fma_f64 v[16:17], -v[132:133], v[80:81], v[16:17]
	s_waitcnt lgkmcnt(11)
	v_fma_f64 v[20:21], -v[132:133], v[86:87], v[20:21]
	v_fma_f64 v[22:23], -v[132:133], v[84:85], v[22:23]
	s_waitcnt lgkmcnt(10)
	v_fma_f64 v[26:27], -v[132:133], v[90:91], v[26:27]
	v_fma_f64 v[28:29], -v[132:133], v[88:89], v[28:29]
	s_waitcnt lgkmcnt(9)
	v_fma_f64 v[34:35], -v[132:133], v[94:95], v[34:35]
	v_fma_f64 v[32:33], -v[132:133], v[92:93], v[32:33]
	s_waitcnt lgkmcnt(8)
	v_fma_f64 v[60:61], -v[132:133], v[98:99], v[60:61]
	v_fma_f64 v[38:39], -v[132:133], v[96:97], v[38:39]
	s_waitcnt lgkmcnt(7)
	v_fma_f64 v[40:41], -v[132:133], v[102:103], v[40:41]
	v_fma_f64 v[46:47], -v[132:133], v[100:101], v[46:47]
	s_waitcnt lgkmcnt(6)
	v_fma_f64 v[50:51], -v[132:133], v[106:107], v[50:51]
	v_fma_f64 v[56:57], -v[132:133], v[104:105], v[56:57]
	s_waitcnt lgkmcnt(5)
	v_fma_f64 v[58:59], -v[132:133], v[110:111], v[58:59]
	v_fma_f64 v[54:55], -v[132:133], v[108:109], v[54:55]
	s_waitcnt lgkmcnt(4)
	v_fma_f64 v[52:53], -v[132:133], v[114:115], v[52:53]
	v_fma_f64 v[44:45], -v[132:133], v[112:113], v[44:45]
	s_waitcnt lgkmcnt(3)
	v_fma_f64 v[42:43], -v[132:133], v[118:119], v[42:43]
	v_fma_f64 v[36:37], -v[132:133], v[116:117], v[36:37]
	s_waitcnt lgkmcnt(2)
	v_fma_f64 v[30:31], -v[132:133], v[122:123], v[30:31]
	v_fma_f64 v[24:25], -v[132:133], v[120:121], v[24:25]
	s_waitcnt lgkmcnt(1)
	v_fma_f64 v[18:19], -v[132:133], v[126:127], v[18:19]
	v_fma_f64 v[6:7], -v[132:133], v[124:125], v[6:7]
	s_waitcnt lgkmcnt(0)
	v_fma_f64 v[2:3], -v[132:133], v[130:131], v[2:3]
	v_fma_f64 v[0:1], -v[132:133], v[128:129], v[0:1]
	s_cbranch_scc1 .LBB108_43
	s_branch .LBB108_40
.LBB108_44:
	s_sub_i32 s2, s4, 32
.LBB108_45:
	s_cmp_gt_i32 s2, -1
	s_cbranch_scc0 .LBB108_70
; %bb.46:
	s_cmp_lt_u32 s2, 3
	s_cbranch_scc1 .LBB108_52
; %bb.47:
	s_lshl_b32 s3, s22, 9
	s_lshl_b32 s4, s2, 3
	s_add_i32 s3, s3, s4
	s_add_i32 s6, s3, 0xfffffde8
	s_mov_b32 s5, 0
.LBB108_48:                             ; =>This Loop Header: Depth=1
                                        ;     Child Loop BB108_49 Depth 2
	s_mov_b32 s3, s5
	s_lshl_b64 s[8:9], s[2:3], 3
	v_mov_b32_e32 v1, s9
	v_add_co_u32_e32 v0, vcc, s8, v48
	v_addc_co_u32_e32 v1, vcc, v49, v1, vcc
	global_load_dwordx4 v[2:5], v[0:1], off offset:-8
	global_load_dwordx4 v[10:13], v[0:1], off offset:-24
	s_cmp_le_i32 s14, s2
	s_mov_b32 s3, s6
	s_mov_b32 s4, s14
	s_waitcnt vmcnt(1)
	v_mul_f64 v[8:9], s[0:1], v[4:5]
	v_mul_f64 v[6:7], s[0:1], v[2:3]
	s_waitcnt vmcnt(0)
	v_mul_f64 v[4:5], s[0:1], v[12:13]
	v_mul_f64 v[2:3], s[0:1], v[10:11]
	s_cbranch_scc1 .LBB108_50
.LBB108_49:                             ;   Parent Loop BB108_48 Depth=1
                                        ; =>  This Inner Loop Header: Depth=2
	s_lshl_b64 s[8:9], s[4:5], 3
	v_mov_b32_e32 v11, s9
	v_add_co_u32_e32 v10, vcc, s8, v48
	v_addc_co_u32_e32 v11, vcc, v49, v11, vcc
	global_load_dwordx2 v[18:19], v[10:11], off
	v_mov_b32_e32 v14, s3
	ds_read2_b64 v[10:13], v14 offset0:2 offset1:3
	ds_read2_b64 v[14:17], v14 offset1:1
	s_add_i32 s4, s4, -1
	s_addk_i32 s3, 0xfe00
	s_cmp_gt_i32 s4, s2
	s_waitcnt vmcnt(0) lgkmcnt(1)
	v_fma_f64 v[8:9], -v[18:19], v[12:13], v[8:9]
	v_fma_f64 v[6:7], -v[18:19], v[10:11], v[6:7]
	s_waitcnt lgkmcnt(0)
	v_fma_f64 v[4:5], -v[18:19], v[16:17], v[4:5]
	v_fma_f64 v[2:3], -v[18:19], v[14:15], v[2:3]
	s_cbranch_scc1 .LBB108_49
.LBB108_50:                             ;   in Loop: Header=BB108_48 Depth=1
	s_add_i32 s4, s2, -1
	s_lshl_b32 s3, s4, 3
	s_lshl_b32 s7, s2, 9
	s_add_i32 s8, s3, s7
	v_mov_b32_e32 v10, s8
	ds_read2_b64 v[10:13], v10 offset1:1
	s_lshl_b32 s9, s4, 9
	s_add_i32 s3, s3, s9
	v_mov_b32_e32 v14, s3
	ds_read_b64 v[14:15], v14
	s_waitcnt lgkmcnt(1)
	v_mul_f64 v[16:17], v[12:13], v[8:9]
	s_add_i32 s8, s2, -3
	s_lshl_b32 s3, s8, 3
	s_add_i32 s7, s3, s7
	s_lshl_b64 s[10:11], s[4:5], 3
	s_add_i32 s4, s2, -2
	s_lshl_b32 s12, s4, 9
	s_add_i32 s12, s3, s12
	v_fma_f64 v[18:19], -v[16:17], v[10:11], v[6:7]
	v_mov_b32_e32 v6, s7
	ds_read2_b64 v[6:9], v6 offset1:1
	s_add_i32 s7, s3, s9
	v_mov_b32_e32 v10, s7
	ds_read2_b64 v[10:13], v10 offset1:1
	s_lshl_b32 s7, s8, 9
	s_waitcnt lgkmcnt(1)
	v_fma_f64 v[4:5], -v[16:17], v[8:9], v[4:5]
	v_mul_f64 v[8:9], v[14:15], v[18:19]
	v_fma_f64 v[6:7], -v[16:17], v[6:7], v[2:3]
	v_mov_b32_e32 v2, s12
	s_add_i32 s3, s3, s7
	v_mov_b32_e32 v14, s3
	s_lshl_b64 s[12:13], s[4:5], 3
	s_mov_b32 s9, s5
	ds_read_b64 v[14:15], v14
	s_waitcnt lgkmcnt(1)
	v_fma_f64 v[12:13], -v[8:9], v[12:13], v[4:5]
	ds_read2_b64 v[2:5], v2 offset1:1
	v_fma_f64 v[6:7], -v[8:9], v[10:11], v[6:7]
	v_mov_b32_e32 v11, s11
	v_add_co_u32_e32 v10, vcc, s10, v48
	v_addc_co_u32_e32 v11, vcc, v49, v11, vcc
	s_waitcnt lgkmcnt(0)
	v_mul_f64 v[4:5], v[4:5], v[12:13]
	v_mov_b32_e32 v12, s13
	s_lshl_b64 s[8:9], s[8:9], 3
	s_add_i32 s7, s2, -4
	s_sub_i32 s6, s6, 32
	s_cmp_gt_i32 s2, 6
	v_fma_f64 v[2:3], -v[4:5], v[2:3], v[6:7]
	v_add_co_u32_e32 v6, vcc, s12, v48
	v_addc_co_u32_e32 v7, vcc, v49, v12, vcc
	global_store_dwordx2 v[0:1], v[16:17], off
	global_store_dwordx2 v[10:11], v[8:9], off
	global_store_dwordx2 v[6:7], v[4:5], off
	v_mul_f64 v[0:1], v[14:15], v[2:3]
	v_mov_b32_e32 v3, s9
	v_add_co_u32_e32 v2, vcc, s8, v48
	v_addc_co_u32_e32 v3, vcc, v49, v3, vcc
	global_store_dwordx2 v[2:3], v[0:1], off
	s_cbranch_scc0 .LBB108_53
; %bb.51:                               ;   in Loop: Header=BB108_48 Depth=1
	s_mov_b32 s2, s7
	s_branch .LBB108_48
.LBB108_52:
	s_mov_b32 s7, s2
.LBB108_53:
	s_cmp_lt_i32 s7, 0
	s_cbranch_scc1 .LBB108_70
; %bb.54:
	s_and_b32 s2, s7, 3
	s_cmp_eq_u32 s2, 3
	s_mov_b32 s2, s7
	s_cbranch_scc1 .LBB108_59
; %bb.55:
	s_add_i32 s2, s7, 1
	s_and_b32 s6, s2, 3
	s_lshl_b32 s2, s22, 9
	s_lshl_b32 s3, s7, 3
	s_add_i32 s2, s2, s3
	s_add_i32 s8, s2, 0xfffffe00
	s_mov_b32 s5, 0
	s_mov_b32 s2, s7
	;; [unrolled: 1-line block ×3, first 2 shown]
	s_branch .LBB108_57
.LBB108_56:                             ;   in Loop: Header=BB108_57 Depth=1
	s_mul_i32 s3, s2, 0x208
	v_mov_b32_e32 v4, s3
	ds_read_b64 v[4:5], v4
	s_add_i32 s2, s2, -1
	s_add_i32 s9, s9, 1
	s_add_i32 s8, s8, -8
	s_cmp_lg_u32 s9, s6
	s_waitcnt lgkmcnt(0)
	v_mul_f64 v[2:3], v[4:5], v[2:3]
	global_store_dwordx2 v[0:1], v[2:3], off
	s_cbranch_scc0 .LBB108_59
.LBB108_57:                             ; =>This Loop Header: Depth=1
                                        ;     Child Loop BB108_58 Depth 2
	s_mov_b32 s3, s5
	s_lshl_b64 s[10:11], s[2:3], 3
	v_mov_b32_e32 v1, s11
	v_add_co_u32_e32 v0, vcc, s10, v48
	v_addc_co_u32_e32 v1, vcc, v49, v1, vcc
	global_load_dwordx2 v[2:3], v[0:1], off
	s_cmp_le_i32 s14, s2
	s_mov_b32 s3, s8
	s_mov_b32 s4, s14
	s_waitcnt vmcnt(0)
	v_mul_f64 v[2:3], s[0:1], v[2:3]
	s_cbranch_scc1 .LBB108_56
.LBB108_58:                             ;   Parent Loop BB108_57 Depth=1
                                        ; =>  This Inner Loop Header: Depth=2
	s_lshl_b64 s[10:11], s[4:5], 3
	v_mov_b32_e32 v5, s11
	v_add_co_u32_e32 v4, vcc, s10, v48
	v_addc_co_u32_e32 v5, vcc, v49, v5, vcc
	global_load_dwordx2 v[4:5], v[4:5], off
	v_mov_b32_e32 v6, s3
	ds_read_b64 v[6:7], v6
	s_add_i32 s4, s4, -1
	s_addk_i32 s3, 0xfe00
	s_cmp_gt_i32 s4, s2
	s_waitcnt vmcnt(0) lgkmcnt(0)
	v_fma_f64 v[2:3], -v[4:5], v[6:7], v[2:3]
	s_cbranch_scc1 .LBB108_58
	s_branch .LBB108_56
.LBB108_59:
	s_cmp_lt_u32 s7, 3
	s_cbranch_scc1 .LBB108_70
; %bb.60:
	s_lshl_b32 s3, s22, 9
	s_lshl_b32 s4, s2, 3
	s_add_i32 s3, s3, s4
	s_add_i32 s8, s3, 0xfffffe00
	;; [unrolled: 1-line block ×5, first 2 shown]
	s_mov_b32 s5, 0
	s_branch .LBB108_62
.LBB108_61:                             ;   in Loop: Header=BB108_62 Depth=1
	s_addk_i32 s3, 0xfdf8
	v_mov_b32_e32 v2, s3
	ds_read_b64 v[2:3], v2
	s_add_i32 s3, s2, -4
	s_sub_i32 s8, s8, 32
	s_sub_i32 s9, s9, 32
	;; [unrolled: 1-line block ×3, first 2 shown]
	s_waitcnt lgkmcnt(0)
	v_mul_f64 v[2:3], v[2:3], v[4:5]
	s_sub_i32 s11, s11, 32
	s_cmp_lt_i32 s2, 4
	s_mov_b32 s2, s3
	global_store_dwordx2 v[0:1], v[2:3], off
	s_cbranch_scc1 .LBB108_70
.LBB108_62:                             ; =>This Loop Header: Depth=1
                                        ;     Child Loop BB108_63 Depth 2
                                        ;     Child Loop BB108_65 Depth 2
	;; [unrolled: 1-line block ×4, first 2 shown]
	s_mov_b32 s3, s5
	s_lshl_b64 s[6:7], s[2:3], 3
	v_mov_b32_e32 v0, s7
	v_add_co_u32_e32 v2, vcc, s6, v48
	v_addc_co_u32_e32 v3, vcc, v49, v0, vcc
	global_load_dwordx2 v[0:1], v[2:3], off
	s_cmp_le_i32 s14, s2
	s_mov_b32 s3, s8
	s_mov_b32 s4, s14
	s_waitcnt vmcnt(0)
	v_mul_f64 v[4:5], s[0:1], v[0:1]
	s_cbranch_scc1 .LBB108_64
.LBB108_63:                             ;   Parent Loop BB108_62 Depth=1
                                        ; =>  This Inner Loop Header: Depth=2
	s_lshl_b64 s[6:7], s[4:5], 3
	v_mov_b32_e32 v1, s7
	v_add_co_u32_e32 v0, vcc, s6, v48
	v_addc_co_u32_e32 v1, vcc, v49, v1, vcc
	global_load_dwordx2 v[0:1], v[0:1], off
	v_mov_b32_e32 v6, s3
	ds_read_b64 v[6:7], v6
	s_add_i32 s4, s4, -1
	s_addk_i32 s3, 0xfe00
	s_cmp_gt_i32 s4, s2
	s_waitcnt vmcnt(0) lgkmcnt(0)
	v_fma_f64 v[4:5], -v[0:1], v[6:7], v[4:5]
	s_cbranch_scc1 .LBB108_63
.LBB108_64:                             ;   in Loop: Header=BB108_62 Depth=1
	s_add_i32 s4, s2, -1
	s_lshl_b64 s[6:7], s[4:5], 3
	v_mov_b32_e32 v1, s7
	v_add_co_u32_e32 v0, vcc, s6, v48
	v_addc_co_u32_e32 v1, vcc, v49, v1, vcc
	global_load_dwordx2 v[6:7], v[0:1], off
	s_mul_i32 s3, s2, 0x208
	v_mov_b32_e32 v8, s3
	ds_read_b64 v[8:9], v8
	s_cmp_le_i32 s22, s2
	s_mov_b32 s6, s9
	s_mov_b32 s4, s22
	s_waitcnt lgkmcnt(0)
	v_mul_f64 v[8:9], v[8:9], v[4:5]
	global_store_dwordx2 v[2:3], v[8:9], off
	s_waitcnt vmcnt(1)
	v_mul_f64 v[4:5], s[0:1], v[6:7]
	s_cbranch_scc1 .LBB108_66
.LBB108_65:                             ;   Parent Loop BB108_62 Depth=1
                                        ; =>  This Inner Loop Header: Depth=2
	s_add_i32 s4, s4, -1
	s_lshl_b64 s[12:13], s[4:5], 3
	v_mov_b32_e32 v3, s13
	v_add_co_u32_e32 v2, vcc, s12, v48
	v_addc_co_u32_e32 v3, vcc, v49, v3, vcc
	global_load_dwordx2 v[2:3], v[2:3], off
	v_mov_b32_e32 v6, s6
	ds_read_b64 v[6:7], v6
	s_addk_i32 s6, 0xfe00
	s_cmp_gt_i32 s4, s2
	s_waitcnt vmcnt(0) lgkmcnt(0)
	v_fma_f64 v[4:5], -v[2:3], v[6:7], v[4:5]
	s_cbranch_scc1 .LBB108_65
.LBB108_66:                             ;   in Loop: Header=BB108_62 Depth=1
	s_add_i32 s6, s2, -2
	s_mov_b32 s7, s5
	s_lshl_b64 s[12:13], s[6:7], 3
	v_mov_b32_e32 v3, s13
	v_add_co_u32_e32 v2, vcc, s12, v48
	v_addc_co_u32_e32 v3, vcc, v49, v3, vcc
	global_load_dwordx2 v[6:7], v[2:3], off
	s_addk_i32 s3, 0xfdf8
	v_mov_b32_e32 v8, s3
	ds_read_b64 v[8:9], v8
	s_cmp_le_i32 s14, s6
	s_mov_b32 s7, s10
	s_mov_b32 s4, s14
	s_waitcnt lgkmcnt(0)
	v_mul_f64 v[8:9], v[8:9], v[4:5]
	global_store_dwordx2 v[0:1], v[8:9], off
	s_waitcnt vmcnt(1)
	v_mul_f64 v[4:5], s[0:1], v[6:7]
	s_cbranch_scc1 .LBB108_68
.LBB108_67:                             ;   Parent Loop BB108_62 Depth=1
                                        ; =>  This Inner Loop Header: Depth=2
	s_lshl_b64 s[12:13], s[4:5], 3
	v_mov_b32_e32 v1, s13
	v_add_co_u32_e32 v0, vcc, s12, v48
	v_addc_co_u32_e32 v1, vcc, v49, v1, vcc
	global_load_dwordx2 v[0:1], v[0:1], off
	v_mov_b32_e32 v6, s7
	ds_read_b64 v[6:7], v6
	s_add_i32 s4, s4, -1
	s_addk_i32 s7, 0xfe00
	s_cmp_gt_i32 s4, s6
	s_waitcnt vmcnt(0) lgkmcnt(0)
	v_fma_f64 v[4:5], -v[0:1], v[6:7], v[4:5]
	s_cbranch_scc1 .LBB108_67
.LBB108_68:                             ;   in Loop: Header=BB108_62 Depth=1
	s_add_i32 s6, s2, -3
	s_mov_b32 s7, s5
	s_lshl_b64 s[12:13], s[6:7], 3
	v_mov_b32_e32 v1, s13
	v_add_co_u32_e32 v0, vcc, s12, v48
	v_addc_co_u32_e32 v1, vcc, v49, v1, vcc
	global_load_dwordx2 v[6:7], v[0:1], off
	s_addk_i32 s3, 0xfdf8
	v_mov_b32_e32 v8, s3
	ds_read_b64 v[8:9], v8
	s_cmp_le_i32 s14, s6
	s_mov_b32 s7, s11
	s_mov_b32 s4, s14
	s_waitcnt lgkmcnt(0)
	v_mul_f64 v[8:9], v[8:9], v[4:5]
	global_store_dwordx2 v[2:3], v[8:9], off
	s_waitcnt vmcnt(1)
	v_mul_f64 v[4:5], s[0:1], v[6:7]
	s_cbranch_scc1 .LBB108_61
.LBB108_69:                             ;   Parent Loop BB108_62 Depth=1
                                        ; =>  This Inner Loop Header: Depth=2
	s_lshl_b64 s[12:13], s[4:5], 3
	v_mov_b32_e32 v3, s13
	v_add_co_u32_e32 v2, vcc, s12, v48
	v_addc_co_u32_e32 v3, vcc, v49, v3, vcc
	global_load_dwordx2 v[2:3], v[2:3], off
	v_mov_b32_e32 v6, s7
	ds_read_b64 v[6:7], v6
	s_add_i32 s4, s4, -1
	s_addk_i32 s7, 0xfe00
	s_cmp_gt_i32 s4, s6
	s_waitcnt vmcnt(0) lgkmcnt(0)
	v_fma_f64 v[4:5], -v[2:3], v[6:7], v[4:5]
	s_cbranch_scc1 .LBB108_69
	s_branch .LBB108_61
.LBB108_70:
	s_endpgm
	.section	.rodata,"a",@progbits
	.p2align	6, 0x0
	.amdhsa_kernel _ZL30rocblas_trsm_small_left_deviceILi64ELi32ELb0EddPKdPdEv13rocblas_fill_18rocblas_operation_17rocblas_diagonal_iiT3_T4_lilT5_lili
		.amdhsa_group_segment_fixed_size 32768
		.amdhsa_private_segment_fixed_size 0
		.amdhsa_kernarg_size 360
		.amdhsa_user_sgpr_count 6
		.amdhsa_user_sgpr_private_segment_buffer 1
		.amdhsa_user_sgpr_dispatch_ptr 0
		.amdhsa_user_sgpr_queue_ptr 0
		.amdhsa_user_sgpr_kernarg_segment_ptr 1
		.amdhsa_user_sgpr_dispatch_id 0
		.amdhsa_user_sgpr_flat_scratch_init 0
		.amdhsa_user_sgpr_private_segment_size 0
		.amdhsa_uses_dynamic_stack 0
		.amdhsa_system_sgpr_private_segment_wavefront_offset 0
		.amdhsa_system_sgpr_workgroup_id_x 1
		.amdhsa_system_sgpr_workgroup_id_y 0
		.amdhsa_system_sgpr_workgroup_id_z 1
		.amdhsa_system_sgpr_workgroup_info 0
		.amdhsa_system_vgpr_workitem_id 0
		.amdhsa_next_free_vgpr 184
		.amdhsa_next_free_sgpr 98
		.amdhsa_reserve_vcc 1
		.amdhsa_reserve_flat_scratch 0
		.amdhsa_float_round_mode_32 0
		.amdhsa_float_round_mode_16_64 0
		.amdhsa_float_denorm_mode_32 3
		.amdhsa_float_denorm_mode_16_64 3
		.amdhsa_dx10_clamp 1
		.amdhsa_ieee_mode 1
		.amdhsa_fp16_overflow 0
		.amdhsa_exception_fp_ieee_invalid_op 0
		.amdhsa_exception_fp_denorm_src 0
		.amdhsa_exception_fp_ieee_div_zero 0
		.amdhsa_exception_fp_ieee_overflow 0
		.amdhsa_exception_fp_ieee_underflow 0
		.amdhsa_exception_fp_ieee_inexact 0
		.amdhsa_exception_int_div_zero 0
	.end_amdhsa_kernel
	.section	.text._ZL30rocblas_trsm_small_left_deviceILi64ELi32ELb0EddPKdPdEv13rocblas_fill_18rocblas_operation_17rocblas_diagonal_iiT3_T4_lilT5_lili,"axG",@progbits,_ZL30rocblas_trsm_small_left_deviceILi64ELi32ELb0EddPKdPdEv13rocblas_fill_18rocblas_operation_17rocblas_diagonal_iiT3_T4_lilT5_lili,comdat
.Lfunc_end108:
	.size	_ZL30rocblas_trsm_small_left_deviceILi64ELi32ELb0EddPKdPdEv13rocblas_fill_18rocblas_operation_17rocblas_diagonal_iiT3_T4_lilT5_lili, .Lfunc_end108-_ZL30rocblas_trsm_small_left_deviceILi64ELi32ELb0EddPKdPdEv13rocblas_fill_18rocblas_operation_17rocblas_diagonal_iiT3_T4_lilT5_lili
                                        ; -- End function
	.set _ZL30rocblas_trsm_small_left_deviceILi64ELi32ELb0EddPKdPdEv13rocblas_fill_18rocblas_operation_17rocblas_diagonal_iiT3_T4_lilT5_lili.num_vgpr, 184
	.set _ZL30rocblas_trsm_small_left_deviceILi64ELi32ELb0EddPKdPdEv13rocblas_fill_18rocblas_operation_17rocblas_diagonal_iiT3_T4_lilT5_lili.num_agpr, 0
	.set _ZL30rocblas_trsm_small_left_deviceILi64ELi32ELb0EddPKdPdEv13rocblas_fill_18rocblas_operation_17rocblas_diagonal_iiT3_T4_lilT5_lili.numbered_sgpr, 44
	.set _ZL30rocblas_trsm_small_left_deviceILi64ELi32ELb0EddPKdPdEv13rocblas_fill_18rocblas_operation_17rocblas_diagonal_iiT3_T4_lilT5_lili.num_named_barrier, 0
	.set _ZL30rocblas_trsm_small_left_deviceILi64ELi32ELb0EddPKdPdEv13rocblas_fill_18rocblas_operation_17rocblas_diagonal_iiT3_T4_lilT5_lili.private_seg_size, 0
	.set _ZL30rocblas_trsm_small_left_deviceILi64ELi32ELb0EddPKdPdEv13rocblas_fill_18rocblas_operation_17rocblas_diagonal_iiT3_T4_lilT5_lili.uses_vcc, 1
	.set _ZL30rocblas_trsm_small_left_deviceILi64ELi32ELb0EddPKdPdEv13rocblas_fill_18rocblas_operation_17rocblas_diagonal_iiT3_T4_lilT5_lili.uses_flat_scratch, 0
	.set _ZL30rocblas_trsm_small_left_deviceILi64ELi32ELb0EddPKdPdEv13rocblas_fill_18rocblas_operation_17rocblas_diagonal_iiT3_T4_lilT5_lili.has_dyn_sized_stack, 0
	.set _ZL30rocblas_trsm_small_left_deviceILi64ELi32ELb0EddPKdPdEv13rocblas_fill_18rocblas_operation_17rocblas_diagonal_iiT3_T4_lilT5_lili.has_recursion, 0
	.set _ZL30rocblas_trsm_small_left_deviceILi64ELi32ELb0EddPKdPdEv13rocblas_fill_18rocblas_operation_17rocblas_diagonal_iiT3_T4_lilT5_lili.has_indirect_call, 0
	.section	.AMDGPU.csdata,"",@progbits
; Kernel info:
; codeLenInByte = 23144
; TotalNumSgprs: 48
; NumVgprs: 184
; ScratchSize: 0
; MemoryBound: 1
; FloatMode: 240
; IeeeMode: 1
; LDSByteSize: 32768 bytes/workgroup (compile time only)
; SGPRBlocks: 12
; VGPRBlocks: 45
; NumSGPRsForWavesPerEU: 102
; NumVGPRsForWavesPerEU: 184
; Occupancy: 1
; WaveLimiterHint : 0
; COMPUTE_PGM_RSRC2:SCRATCH_EN: 0
; COMPUTE_PGM_RSRC2:USER_SGPR: 6
; COMPUTE_PGM_RSRC2:TRAP_HANDLER: 0
; COMPUTE_PGM_RSRC2:TGID_X_EN: 1
; COMPUTE_PGM_RSRC2:TGID_Y_EN: 0
; COMPUTE_PGM_RSRC2:TGID_Z_EN: 1
; COMPUTE_PGM_RSRC2:TIDIG_COMP_CNT: 0
	.section	.text._ZL38rocblas_trsm_small_left_device_sharedBILi64ELi32ELb1EddPKdPdEv13rocblas_fill_18rocblas_operation_17rocblas_diagonal_iiT3_T4_lilT5_lili,"axG",@progbits,_ZL38rocblas_trsm_small_left_device_sharedBILi64ELi32ELb1EddPKdPdEv13rocblas_fill_18rocblas_operation_17rocblas_diagonal_iiT3_T4_lilT5_lili,comdat
	.globl	_ZL38rocblas_trsm_small_left_device_sharedBILi64ELi32ELb1EddPKdPdEv13rocblas_fill_18rocblas_operation_17rocblas_diagonal_iiT3_T4_lilT5_lili ; -- Begin function _ZL38rocblas_trsm_small_left_device_sharedBILi64ELi32ELb1EddPKdPdEv13rocblas_fill_18rocblas_operation_17rocblas_diagonal_iiT3_T4_lilT5_lili
	.p2align	8
	.type	_ZL38rocblas_trsm_small_left_device_sharedBILi64ELi32ELb1EddPKdPdEv13rocblas_fill_18rocblas_operation_17rocblas_diagonal_iiT3_T4_lilT5_lili,@function
_ZL38rocblas_trsm_small_left_device_sharedBILi64ELi32ELb1EddPKdPdEv13rocblas_fill_18rocblas_operation_17rocblas_diagonal_iiT3_T4_lilT5_lili: ; @_ZL38rocblas_trsm_small_left_device_sharedBILi64ELi32ELb1EddPKdPdEv13rocblas_fill_18rocblas_operation_17rocblas_diagonal_iiT3_T4_lilT5_lili
; %bb.0:
	s_load_dwordx4 s[8:11], s[4:5], 0x4
	s_load_dwordx4 s[12:15], s[4:5], 0x18
	s_load_dwordx2 s[20:21], s[4:5], 0x28
	s_load_dwordx4 s[0:3], s[4:5], 0x38
	s_load_dwordx2 s[16:17], s[4:5], 0x48
	s_waitcnt lgkmcnt(0)
	s_min_i32 s22, s10, 64
	v_cmp_gt_i32_e32 vcc, s22, v0
	v_lshlrev_b32_e32 v65, 3, v0
	s_and_saveexec_b64 s[18:19], vcc
	s_cbranch_execz .LBB109_6
; %bb.1:
	s_load_dword s24, s[4:5], 0x30
	s_mul_i32 s1, s1, s7
	s_mul_hi_u32 s23, s0, s7
	s_mul_i32 s0, s0, s7
	s_add_i32 s1, s23, s1
	s_waitcnt lgkmcnt(0)
	s_ashr_i32 s25, s24, 31
	s_lshl_b64 s[0:1], s[0:1], 3
	s_add_u32 s14, s14, s0
	s_addc_u32 s15, s15, s1
	s_lshl_b64 s[0:1], s[20:21], 3
	s_add_u32 s0, s14, s0
	s_addc_u32 s1, s15, s1
	v_mov_b32_e32 v2, s1
	v_add_co_u32_e32 v1, vcc, s0, v65
	s_lshl_b64 s[0:1], s[24:25], 3
	v_addc_co_u32_e32 v2, vcc, 0, v2, vcc
	v_mov_b32_e32 v3, s1
	v_mov_b32_e32 v4, v65
	s_mov_b32 s1, s22
.LBB109_2:                              ; =>This Inner Loop Header: Depth=1
	global_load_dwordx2 v[5:6], v[1:2], off
	v_add_co_u32_e32 v1, vcc, s0, v1
	s_add_i32 s1, s1, -1
	v_addc_co_u32_e32 v2, vcc, v2, v3, vcc
	s_cmp_eq_u32 s1, 0
	s_waitcnt vmcnt(0)
	ds_write_b64 v4, v[5:6]
	v_add_u32_e32 v4, 0x200, v4
	s_cbranch_scc0 .LBB109_2
; %bb.3:
	v_lshlrev_b32_e32 v3, 9, v0
	v_mov_b32_e32 v1, 0
	s_cmpk_lg_i32 s9, 0x84
	v_mov_b32_e32 v2, 0x3ff00000
	v_add_u32_e32 v3, v65, v3
	s_cbranch_scc0 .LBB109_5
; %bb.4:
	ds_read_b64 v[1:2], v3
	s_waitcnt lgkmcnt(0)
	v_div_scale_f64 v[4:5], s[0:1], v[1:2], v[1:2], 1.0
	v_div_scale_f64 v[10:11], vcc, 1.0, v[1:2], 1.0
	v_rcp_f64_e32 v[6:7], v[4:5]
	v_fma_f64 v[8:9], -v[4:5], v[6:7], 1.0
	v_fma_f64 v[6:7], v[6:7], v[8:9], v[6:7]
	v_fma_f64 v[8:9], -v[4:5], v[6:7], 1.0
	v_fma_f64 v[6:7], v[6:7], v[8:9], v[6:7]
	v_mul_f64 v[8:9], v[10:11], v[6:7]
	v_fma_f64 v[4:5], -v[4:5], v[8:9], v[10:11]
	v_div_fmas_f64 v[4:5], v[4:5], v[6:7], v[8:9]
	v_div_fixup_f64 v[1:2], v[4:5], v[1:2], 1.0
.LBB109_5:
	ds_write_b64 v3, v[1:2]
.LBB109_6:
	s_or_b64 exec, exec, s[18:19]
	s_load_dword s0, s[4:5], 0x68
	s_load_dwordx2 s[14:15], s[4:5], 0x58
	s_load_dword s9, s[4:5], 0x50
	s_waitcnt lgkmcnt(0)
	s_mul_i32 s1, s15, s7
	s_mul_hi_u32 s5, s14, s7
	s_mul_i32 s4, s14, s7
	s_add_i32 s5, s5, s1
	s_lshl_b64 s[4:5], s[4:5], 3
	s_add_u32 s1, s2, s4
	s_addc_u32 s4, s3, s5
	s_lshl_b64 s[2:3], s[16:17], 3
	s_add_u32 s2, s1, s2
	s_addc_u32 s3, s4, s3
	s_lshl_b32 s4, s6, 6
	s_add_i32 s0, s0, -1
	s_sub_i32 s1, s11, s4
	s_cmp_ge_u32 s6, s0
	s_cselect_b32 s5, s1, 64
	s_mul_hi_i32 s1, s9, s4
	s_mul_i32 s0, s9, s4
	s_lshl_b64 s[0:1], s[0:1], 3
	s_add_u32 s6, s2, s0
	s_addc_u32 s7, s3, s1
	s_cmp_gt_i32 s10, 0
	v_cmp_gt_i32_e64 s[0:1], s5, v0
	s_cselect_b64 s[2:3], -1, 0
	s_and_b64 s[14:15], s[0:1], s[2:3]
	s_and_saveexec_b64 s[4:5], s[14:15]
	s_cbranch_execz .LBB109_9
; %bb.7:
	v_mad_i64_i32 v[1:2], s[14:15], s9, v0, 0
	v_mov_b32_e32 v3, s7
	s_mov_b32 s11, s22
	v_lshlrev_b64 v[1:2], 3, v[1:2]
	v_add_co_u32_e32 v1, vcc, s6, v1
	v_addc_co_u32_e32 v2, vcc, v3, v2, vcc
	v_mov_b32_e32 v3, 0x8000
	v_lshl_or_b32 v3, v0, 3, v3
.LBB109_8:                              ; =>This Inner Loop Header: Depth=1
	global_load_dwordx2 v[4:5], v[1:2], off
	s_add_i32 s11, s11, -1
	v_add_co_u32_e32 v1, vcc, 8, v1
	v_addc_co_u32_e32 v2, vcc, 0, v2, vcc
	s_cmp_lg_u32 s11, 0
	s_waitcnt vmcnt(0)
	v_mul_f64 v[4:5], s[12:13], v[4:5]
	ds_write_b64 v3, v[4:5]
	v_add_u32_e32 v3, 0x200, v3
	s_cbranch_scc1 .LBB109_8
.LBB109_9:
	s_or_b64 exec, exec, s[4:5]
	v_mov_b32_e32 v1, 0x8000
	s_cmpk_eq_i32 s8, 0x6f
	v_lshl_or_b32 v91, v0, 3, v1
	s_mov_b64 s[4:5], -1
	s_waitcnt lgkmcnt(0)
	; wave barrier
	s_cbranch_scc1 .LBB109_43
; %bb.10:
	s_add_i32 s4, s22, -1
	s_cmp_lt_i32 s10, 32
	s_mov_b32 s5, s4
	s_cbranch_scc1 .LBB109_17
; %bb.11:
	v_lshl_or_b32 v1, s22, 9, v65
	s_lshl_b32 s5, s22, 3
	v_add_u32_e32 v66, 0x7e00, v1
	s_addk_i32 s5, 0xc1f8
	s_mov_b32 s11, s4
	s_branch .LBB109_13
.LBB109_12:                             ;   in Loop: Header=BB109_13 Depth=1
	s_mul_i32 s11, s8, 0x208
	v_mov_b32_e32 v68, s11
	ds_read_b64 v[72:73], v68
	s_add_i32 s11, s8, -1
	s_lshl_b32 s26, s11, 9
	s_lshl_b32 s11, s11, 3
	s_add_i32 s11, s26, s11
	s_waitcnt lgkmcnt(0)
	v_mul_f64 v[9:10], v[72:73], v[9:10]
	v_mov_b32_e32 v68, s11
	ds_read2_b64 v[68:71], v68 offset1:1
	s_add_i32 s11, s8, -2
	s_lshl_b32 s13, s8, 3
	s_lshl_b32 s21, s11, 9
	s_add_i32 s14, s21, s13
	s_add_i32 s12, s8, -3
	s_waitcnt lgkmcnt(0)
	v_fma_f64 v[63:64], -v[9:10], v[70:71], v[63:64]
	v_mov_b32_e32 v70, s14
	ds_read_b64 v[74:75], v70
	s_lshl_b32 s11, s11, 3
	s_add_i32 s11, s21, s11
	s_lshl_b32 s20, s12, 9
	v_mov_b32_e32 v70, s11
	s_waitcnt lgkmcnt(0)
	v_fma_f64 v[82:83], -v[9:10], v[74:75], v[11:12]
	v_mul_f64 v[11:12], v[68:69], v[63:64]
	s_add_i32 s11, s20, s13
	s_add_i32 s11, s11, -8
	v_mov_b32_e32 v63, s11
	s_lshl_b32 s11, s12, 3
	ds_read2_b64 v[70:73], v70 offset1:1
	ds_read2_b64 v[74:77], v63 offset1:1
	s_add_i32 s11, s20, s11
	v_mov_b32_e32 v63, s11
	s_add_i32 s11, s8, -4
	s_lshl_b32 s23, s11, 9
	s_add_i32 s12, s23, s13
	v_mov_b32_e32 v68, s12
	ds_read2_b64 v[78:81], v63 offset1:1
	ds_read_b64 v[68:69], v68
	s_waitcnt lgkmcnt(2)
	v_fma_f64 v[19:20], -v[9:10], v[76:77], v[19:20]
	v_fma_f64 v[63:64], -v[11:12], v[72:73], v[82:83]
	s_add_i32 s12, s12, -16
	v_mov_b32_e32 v72, s12
	s_waitcnt lgkmcnt(0)
	v_fma_f64 v[68:69], -v[9:10], v[68:69], v[15:16]
	s_add_i32 s12, s8, -5
	s_lshl_b32 s24, s12, 9
	s_add_i32 s14, s24, s13
	v_fma_f64 v[19:20], -v[11:12], v[74:75], v[19:20]
	v_mul_f64 v[15:16], v[70:71], v[63:64]
	ds_read2_b64 v[72:75], v72 offset1:1
	s_add_i32 s15, s14, -8
	s_lshl_b32 s11, s11, 3
	s_add_i32 s11, s23, s11
	s_add_i32 s25, s8, -10
	s_waitcnt lgkmcnt(0)
	v_fma_f64 v[63:64], -v[11:12], v[74:75], v[68:69]
	v_mov_b32_e32 v68, s15
	v_fma_f64 v[19:20], -v[15:16], v[80:81], v[19:20]
	ds_read2_b64 v[68:71], v68 offset1:1
	s_add_i32 s29, s8, -11
	s_waitcnt lgkmcnt(0)
	v_fma_f64 v[70:71], -v[9:10], v[70:71], v[61:62]
	v_fma_f64 v[72:73], -v[15:16], v[72:73], v[63:64]
	v_mul_f64 v[19:20], v[78:79], v[19:20]
	v_mov_b32_e32 v61, s11
	ds_read2_b64 v[61:64], v61 offset1:1
	s_sub_i32 s11, s14, 24
	v_fma_f64 v[76:77], -v[11:12], v[68:69], v[70:71]
	v_mov_b32_e32 v68, s11
	s_lshl_b32 s11, s12, 3
	s_add_i32 s11, s24, s11
	s_waitcnt lgkmcnt(0)
	v_fma_f64 v[63:64], -v[19:20], v[63:64], v[72:73]
	v_mov_b32_e32 v72, s11
	s_add_i32 s11, s8, -6
	s_lshl_b32 s12, s11, 9
	s_add_i32 s14, s12, s13
	ds_read2_b64 v[68:71], v68 offset1:1
	ds_read2_b64 v[72:75], v72 offset1:1
	v_mov_b32_e32 v78, s14
	ds_read_b64 v[80:81], v78
	s_add_i32 s15, s14, -16
	s_waitcnt lgkmcnt(2)
	v_fma_f64 v[70:71], -v[15:16], v[70:71], v[76:77]
	v_mov_b32_e32 v76, s15
	ds_read2_b64 v[76:79], v76 offset1:1
	s_waitcnt lgkmcnt(1)
	v_fma_f64 v[80:81], -v[9:10], v[80:81], v[21:22]
	v_mul_f64 v[21:22], v[61:62], v[63:64]
	s_sub_i32 s14, s14, 32
	s_lshl_b32 s11, s11, 3
	s_add_i32 s15, s8, -7
	v_fma_f64 v[61:62], -v[19:20], v[68:69], v[70:71]
	s_waitcnt lgkmcnt(0)
	v_fma_f64 v[63:64], -v[11:12], v[78:79], v[80:81]
	v_fma_f64 v[82:83], -v[21:22], v[74:75], v[61:62]
	v_mov_b32_e32 v61, s14
	s_add_i32 s14, s12, s11
	s_lshl_b32 s11, s15, 9
	s_add_i32 s16, s11, s13
	v_fma_f64 v[84:85], -v[15:16], v[76:77], v[63:64]
	s_add_i32 s17, s16, -8
	v_mov_b32_e32 v68, s17
	ds_read2_b64 v[61:64], v61 offset1:1
	ds_read2_b64 v[68:71], v68 offset1:1
	v_mov_b32_e32 v78, s14
	s_sub_i32 s14, s16, 24
	s_add_i32 s17, s8, -8
	s_waitcnt lgkmcnt(1)
	v_fma_f64 v[63:64], -v[19:20], v[63:64], v[84:85]
	s_waitcnt lgkmcnt(0)
	v_fma_f64 v[17:18], -v[9:10], v[70:71], v[17:18]
	v_mov_b32_e32 v74, s14
	s_lshl_b32 s14, s17, 9
	s_add_i32 s18, s14, s13
	ds_read2_b64 v[74:77], v74 offset1:1
	s_add_i32 s19, s18, -16
	ds_read2_b64 v[78:81], v78 offset1:1
	v_fma_f64 v[70:71], -v[21:22], v[61:62], v[63:64]
	v_fma_f64 v[68:69], -v[11:12], v[68:69], v[17:18]
	v_mov_b32_e32 v61, s18
	v_mul_f64 v[17:18], v[72:73], v[82:83]
	ds_read_b64 v[72:73], v61
	v_mov_b32_e32 v61, s19
	ds_read2_b64 v[61:64], v61 offset1:1
	s_sub_i32 s16, s16, 40
	s_lshl_b32 s15, s15, 3
	s_waitcnt lgkmcnt(1)
	v_fma_f64 v[23:24], -v[9:10], v[72:73], v[23:24]
	v_fma_f64 v[68:69], -v[15:16], v[76:77], v[68:69]
	;; [unrolled: 1-line block ×3, first 2 shown]
	s_add_i32 s15, s11, s15
	s_lshl_b32 s17, s17, 3
	s_add_i32 s17, s14, s17
	s_waitcnt lgkmcnt(0)
	v_fma_f64 v[23:24], -v[11:12], v[63:64], v[23:24]
	v_fma_f64 v[80:81], -v[19:20], v[74:75], v[68:69]
	v_mov_b32_e32 v63, s16
	ds_read2_b64 v[68:71], v63 offset1:1
	v_mov_b32_e32 v63, s15
	s_sub_i32 s15, s18, 32
	ds_read2_b64 v[72:75], v63 offset1:1
	v_fma_f64 v[23:24], -v[15:16], v[61:62], v[23:24]
	v_mov_b32_e32 v61, s15
	s_sub_i32 s15, s18, 48
	s_add_i32 s18, s8, -9
	s_waitcnt lgkmcnt(1)
	v_fma_f64 v[70:71], -v[21:22], v[70:71], v[80:81]
	v_mov_b32_e32 v80, s15
	s_lshl_b32 s15, s18, 9
	s_add_i32 s19, s15, s13
	s_add_i32 s16, s19, -8
	v_mov_b32_e32 v84, s16
	ds_read2_b64 v[61:64], v61 offset1:1
	ds_read2_b64 v[80:83], v80 offset1:1
	;; [unrolled: 1-line block ×3, first 2 shown]
	v_fma_f64 v[68:69], -v[17:18], v[68:69], v[70:71]
	s_sub_i32 s16, s19, 24
	s_waitcnt lgkmcnt(2)
	v_fma_f64 v[63:64], -v[19:20], v[63:64], v[23:24]
	v_mul_f64 v[23:24], v[78:79], v[76:77]
	s_waitcnt lgkmcnt(0)
	v_fma_f64 v[25:26], -v[9:10], v[86:87], v[25:26]
	v_fma_f64 v[70:71], -v[21:22], v[61:62], v[63:64]
	v_mov_b32_e32 v61, s16
	v_fma_f64 v[25:26], -v[11:12], v[84:85], v[25:26]
	ds_read2_b64 v[61:64], v61 offset1:1
	s_sub_i32 s16, s19, 40
	v_fma_f64 v[74:75], -v[23:24], v[74:75], v[68:69]
	v_mov_b32_e32 v68, s16
	s_lshl_b32 s16, s25, 9
	v_fma_f64 v[76:77], -v[17:18], v[82:83], v[70:71]
	ds_read2_b64 v[68:71], v68 offset1:1
	s_waitcnt lgkmcnt(1)
	v_fma_f64 v[63:64], -v[15:16], v[63:64], v[25:26]
	s_add_i32 s27, s16, s13
	s_add_i32 s28, s27, -16
	v_mul_f64 v[25:26], v[72:73], v[74:75]
	v_fma_f64 v[74:75], -v[23:24], v[80:81], v[76:77]
	v_fma_f64 v[72:73], -v[19:20], v[61:62], v[63:64]
	v_mov_b32_e32 v61, s27
	ds_read_b64 v[76:77], v61
	v_mov_b32_e32 v61, s28
	ds_read2_b64 v[61:64], v61 offset1:1
	s_waitcnt lgkmcnt(1)
	v_fma_f64 v[59:60], -v[9:10], v[76:77], v[59:60]
	v_fma_f64 v[76:77], -v[21:22], v[70:71], v[72:73]
	v_mov_b32_e32 v70, s17
	ds_read2_b64 v[70:73], v70 offset1:1
	s_sub_i32 s17, s19, 56
	s_waitcnt lgkmcnt(1)
	v_fma_f64 v[59:60], -v[11:12], v[63:64], v[59:60]
	v_fma_f64 v[63:64], -v[17:18], v[68:69], v[76:77]
	s_waitcnt lgkmcnt(0)
	v_fma_f64 v[88:89], -v[25:26], v[72:73], v[74:75]
	v_mov_b32_e32 v72, s17
	s_lshl_b32 s17, s18, 3
	s_add_i32 s17, s15, s17
	v_mov_b32_e32 v76, s17
	s_sub_i32 s17, s27, 32
	v_fma_f64 v[68:69], -v[15:16], v[61:62], v[59:60]
	v_mov_b32_e32 v59, s17
	ds_read2_b64 v[59:62], v59 offset1:1
	ds_read2_b64 v[72:75], v72 offset1:1
	;; [unrolled: 1-line block ×3, first 2 shown]
	s_sub_i32 s17, s27, 48
	v_mov_b32_e32 v80, s17
	s_lshl_b32 s17, s29, 9
	s_add_i32 s30, s17, s13
	s_add_i32 s18, s30, -8
	s_waitcnt lgkmcnt(2)
	v_fma_f64 v[68:69], -v[19:20], v[61:62], v[68:69]
	v_mov_b32_e32 v61, s18
	s_waitcnt lgkmcnt(1)
	v_fma_f64 v[74:75], -v[23:24], v[74:75], v[63:64]
	ds_read2_b64 v[61:64], v61 offset1:1
	s_sub_i32 s18, s30, 24
	ds_read2_b64 v[80:83], v80 offset1:1
	s_sub_i32 s19, s30, 40
	s_lshl_b32 s29, s29, 3
	v_fma_f64 v[59:60], -v[21:22], v[59:60], v[68:69]
	v_mov_b32_e32 v68, s18
	ds_read2_b64 v[84:87], v68 offset1:1
	s_waitcnt lgkmcnt(2)
	v_fma_f64 v[63:64], -v[9:10], v[63:64], v[27:28]
	v_mul_f64 v[27:28], v[70:71], v[88:89]
	v_fma_f64 v[68:69], -v[25:26], v[72:73], v[74:75]
	s_sub_i32 s18, s27, 64
	s_add_i32 s27, s8, -12
	s_waitcnt lgkmcnt(1)
	v_fma_f64 v[59:60], -v[17:18], v[82:83], v[59:60]
	s_add_i32 s29, s17, s29
	v_fma_f64 v[61:62], -v[11:12], v[61:62], v[63:64]
	v_fma_f64 v[82:83], -v[27:28], v[78:79], v[68:69]
	;; [unrolled: 1-line block ×3, first 2 shown]
	v_mov_b32_e32 v59, s18
	s_lshl_b32 s18, s25, 3
	s_waitcnt lgkmcnt(0)
	v_fma_f64 v[72:73], -v[15:16], v[86:87], v[61:62]
	s_add_i32 s18, s16, s18
	v_mov_b32_e32 v68, s18
	s_lshl_b32 s18, s27, 9
	s_add_i32 s25, s18, s13
	ds_read2_b64 v[59:62], v59 offset1:1
	ds_read2_b64 v[68:71], v68 offset1:1
	s_add_i32 s28, s25, -16
	s_lshl_b32 s27, s27, 3
	v_fma_f64 v[84:85], -v[19:20], v[84:85], v[72:73]
	v_mov_b32_e32 v72, s25
	ds_read_b64 v[78:79], v72
	v_mov_b32_e32 v72, s28
	ds_read2_b64 v[72:75], v72 offset1:1
	s_waitcnt lgkmcnt(3)
	v_fma_f64 v[86:87], -v[25:26], v[61:62], v[63:64]
	s_add_i32 s28, s8, -13
	s_waitcnt lgkmcnt(1)
	v_fma_f64 v[29:30], -v[9:10], v[78:79], v[29:30]
	v_mov_b32_e32 v78, s19
	ds_read2_b64 v[78:81], v78 offset1:1
	s_sub_i32 s19, s30, 56
	v_mov_b32_e32 v61, s19
	ds_read2_b64 v[61:64], v61 offset1:1
	s_sub_i32 s19, s25, 32
	s_waitcnt lgkmcnt(1)
	v_fma_f64 v[80:81], -v[21:22], v[80:81], v[84:85]
	v_fma_f64 v[74:75], -v[11:12], v[74:75], v[29:30]
	;; [unrolled: 1-line block ×3, first 2 shown]
	v_mul_f64 v[29:30], v[76:77], v[82:83]
	s_addk_i32 s30, 0xffb8
	s_add_i32 s27, s18, s27
	v_fma_f64 v[84:85], -v[17:18], v[78:79], v[80:81]
	v_fma_f64 v[86:87], -v[15:16], v[72:73], v[74:75]
	v_mov_b32_e32 v72, s19
	s_sub_i32 s19, s25, 48
	v_mov_b32_e32 v76, s19
	s_lshl_b32 s19, s28, 9
	s_add_i32 s31, s19, s13
	s_add_i32 s33, s31, -8
	v_mov_b32_e32 v80, s33
	ds_read2_b64 v[72:75], v72 offset1:1
	ds_read2_b64 v[76:79], v76 offset1:1
	;; [unrolled: 1-line block ×3, first 2 shown]
	s_waitcnt lgkmcnt(3)
	v_fma_f64 v[63:64], -v[23:24], v[63:64], v[84:85]
	s_lshl_b32 s28, s28, 3
	s_waitcnt lgkmcnt(2)
	v_fma_f64 v[74:75], -v[19:20], v[74:75], v[86:87]
	v_fma_f64 v[86:87], -v[29:30], v[70:71], v[59:60]
	s_waitcnt lgkmcnt(0)
	v_fma_f64 v[31:32], -v[9:10], v[82:83], v[31:32]
	s_add_i32 s28, s19, s28
	v_fma_f64 v[82:83], -v[25:26], v[61:62], v[63:64]
	v_mov_b32_e32 v63, s30
	v_fma_f64 v[70:71], -v[21:22], v[72:73], v[74:75]
	s_sub_i32 s30, s31, 24
	v_fma_f64 v[31:32], -v[11:12], v[80:81], v[31:32]
	v_mov_b32_e32 v59, s30
	ds_read2_b64 v[59:62], v59 offset1:1
	s_sub_i32 s30, s31, 40
	v_mov_b32_e32 v64, s30
	v_fma_f64 v[74:75], -v[17:18], v[78:79], v[70:71]
	ds_read2_b64 v[70:73], v64 offset1:1
	s_waitcnt lgkmcnt(1)
	v_fma_f64 v[31:32], -v[15:16], v[61:62], v[31:32]
	v_mov_b32_e32 v78, s29
	ds_read2_b64 v[61:64], v63 offset1:1
	ds_read2_b64 v[78:81], v78 offset1:1
	s_sub_i32 s29, s25, 64
	s_addk_i32 s25, 0xffb0
	v_fma_f64 v[88:89], -v[23:24], v[76:77], v[74:75]
	v_fma_f64 v[31:32], -v[19:20], v[59:60], v[31:32]
	v_mov_b32_e32 v59, s29
	ds_read2_b64 v[74:77], v59 offset1:1
	s_waitcnt lgkmcnt(2)
	v_fma_f64 v[59:60], -v[27:28], v[63:64], v[82:83]
	v_mov_b32_e32 v63, s25
	s_sub_i32 s25, s31, 56
	s_add_i32 s29, s8, -14
	ds_read2_b64 v[82:85], v63 offset1:1
	v_fma_f64 v[72:73], -v[21:22], v[72:73], v[31:32]
	s_waitcnt lgkmcnt(1)
	v_fma_f64 v[63:64], -v[25:26], v[76:77], v[88:89]
	v_mul_f64 v[31:32], v[68:69], v[86:87]
	v_fma_f64 v[76:77], -v[29:30], v[61:62], v[59:60]
	v_mov_b32_e32 v59, s25
	s_lshl_b32 s25, s29, 9
	s_add_i32 s33, s25, s13
	v_mov_b32_e32 v60, s33
	v_fma_f64 v[86:87], -v[17:18], v[70:71], v[72:73]
	ds_read_b64 v[72:73], v60
	ds_read2_b64 v[59:62], v59 offset1:1
	s_add_i32 s30, s33, -16
	v_mov_b32_e32 v68, s30
	ds_read2_b64 v[68:71], v68 offset1:1
	s_waitcnt lgkmcnt(2)
	v_fma_f64 v[33:34], -v[9:10], v[72:73], v[33:34]
	v_fma_f64 v[76:77], -v[31:32], v[80:81], v[76:77]
	;; [unrolled: 1-line block ×3, first 2 shown]
	s_waitcnt lgkmcnt(1)
	v_fma_f64 v[61:62], -v[23:24], v[61:62], v[86:87]
	s_add_i32 s30, s31, 0xffffffb8
	v_mov_b32_e32 v72, s30
	ds_read2_b64 v[72:75], v72 offset1:1
	s_add_i32 s30, s8, -15
	s_waitcnt lgkmcnt(1)
	v_fma_f64 v[70:71], -v[11:12], v[70:71], v[33:34]
	v_mov_b32_e32 v33, s27
	s_sub_i32 s27, s33, 32
	v_fma_f64 v[80:81], -v[25:26], v[59:60], v[61:62]
	ds_read2_b64 v[59:62], v33 offset1:1
	v_mul_f64 v[33:34], v[78:79], v[76:77]
	v_fma_f64 v[63:64], -v[29:30], v[84:85], v[63:64]
	s_lshl_b32 s29, s29, 3
	v_fma_f64 v[78:79], -v[15:16], v[68:69], v[70:71]
	v_mov_b32_e32 v68, s27
	ds_read2_b64 v[68:71], v68 offset1:1
	s_sub_i32 s27, s33, 48
	s_waitcnt lgkmcnt(2)
	v_fma_f64 v[80:81], -v[27:28], v[74:75], v[80:81]
	v_mov_b32_e32 v74, s27
	ds_read2_b64 v[74:77], v74 offset1:1
	v_fma_f64 v[63:64], -v[31:32], v[82:83], v[63:64]
	s_waitcnt lgkmcnt(1)
	v_fma_f64 v[70:71], -v[19:20], v[70:71], v[78:79]
	s_add_i32 s27, s31, 0xffffffa8
	v_mov_b32_e32 v78, s27
	s_lshl_b32 s27, s30, 9
	s_add_i32 s34, s27, s13
	s_add_i32 s31, s34, -8
	v_fma_f64 v[72:73], -v[29:30], v[72:73], v[80:81]
	v_fma_f64 v[84:85], -v[33:34], v[61:62], v[63:64]
	;; [unrolled: 1-line block ×3, first 2 shown]
	v_mov_b32_e32 v61, s31
	ds_read2_b64 v[61:64], v61 offset1:1
	s_sub_i32 s31, s34, 24
	s_add_i32 s29, s25, s29
	s_lshl_b32 s30, s30, 3
	s_add_i32 s30, s27, s30
	s_waitcnt lgkmcnt(1)
	v_fma_f64 v[86:87], -v[17:18], v[76:77], v[68:69]
	v_mov_b32_e32 v68, s31
	ds_read2_b64 v[68:71], v68 offset1:1
	s_waitcnt lgkmcnt(1)
	v_fma_f64 v[35:36], -v[9:10], v[63:64], v[35:36]
	v_mov_b32_e32 v63, s28
	s_sub_i32 s28, s33, 64
	ds_read2_b64 v[76:79], v78 offset1:1
	ds_read2_b64 v[80:83], v63 offset1:1
	s_add_i32 s31, s8, -16
	v_fma_f64 v[86:87], -v[23:24], v[74:75], v[86:87]
	s_lshl_b32 s39, s31, 3
	s_waitcnt lgkmcnt(1)
	v_fma_f64 v[78:79], -v[31:32], v[78:79], v[72:73]
	v_fma_f64 v[35:36], -v[11:12], v[61:62], v[35:36]
	v_mov_b32_e32 v61, s28
	ds_read2_b64 v[61:64], v61 offset1:1
	s_add_i32 s28, s33, 0xffffffb0
	v_mov_b32_e32 v72, s28
	ds_read2_b64 v[72:75], v72 offset1:1
	s_sub_i32 s28, s34, 40
	s_waitcnt lgkmcnt(1)
	v_fma_f64 v[63:64], -v[25:26], v[63:64], v[86:87]
	v_fma_f64 v[70:71], -v[15:16], v[70:71], v[35:36]
	v_mul_f64 v[35:36], v[59:60], v[84:85]
	v_mov_b32_e32 v59, s28
	s_lshl_b32 s28, s31, 9
	s_add_i32 s35, s28, s13
	v_mov_b32_e32 v60, s35
	v_fma_f64 v[84:85], -v[33:34], v[76:77], v[78:79]
	v_fma_f64 v[63:64], -v[27:28], v[61:62], v[63:64]
	ds_read_b64 v[76:77], v60
	ds_read2_b64 v[59:62], v59 offset1:1
	v_fma_f64 v[86:87], -v[19:20], v[68:69], v[70:71]
	s_add_i32 s36, s35, -16
	v_mov_b32_e32 v68, s36
	s_waitcnt lgkmcnt(1)
	v_fma_f64 v[39:40], -v[9:10], v[76:77], v[39:40]
	ds_read2_b64 v[68:71], v68 offset1:1
	s_sub_i32 s36, s34, 56
	v_mov_b32_e32 v76, s36
	ds_read2_b64 v[76:79], v76 offset1:1
	s_waitcnt lgkmcnt(2)
	v_fma_f64 v[61:62], -v[21:22], v[61:62], v[86:87]
	v_fma_f64 v[63:64], -v[29:30], v[74:75], v[63:64]
	s_addk_i32 s33, 0xffa0
	s_waitcnt lgkmcnt(1)
	v_fma_f64 v[39:40], -v[11:12], v[70:71], v[39:40]
	v_fma_f64 v[92:93], -v[35:36], v[82:83], v[84:85]
	s_add_i32 s39, s28, s39
	v_fma_f64 v[70:71], -v[17:18], v[59:60], v[61:62]
	v_fma_f64 v[82:83], -v[31:32], v[72:73], v[63:64]
	v_mov_b32_e32 v63, s33
	v_fma_f64 v[39:40], -v[15:16], v[68:69], v[39:40]
	s_sub_i32 s33, s35, 32
	v_mov_b32_e32 v59, s33
	ds_read2_b64 v[59:62], v59 offset1:1
	s_sub_i32 s33, s35, 48
	v_mov_b32_e32 v64, s33
	s_waitcnt lgkmcnt(1)
	v_fma_f64 v[78:79], -v[23:24], v[78:79], v[70:71]
	ds_read2_b64 v[68:71], v64 offset1:1
	s_waitcnt lgkmcnt(1)
	v_fma_f64 v[39:40], -v[19:20], v[61:62], v[39:40]
	v_mov_b32_e32 v72, s29
	ds_read2_b64 v[61:64], v63 offset1:1
	ds_read2_b64 v[72:75], v72 offset1:1
	s_add_i32 s29, s34, 0xffffffb8
	s_sub_i32 s33, s8, 17
	v_fma_f64 v[86:87], -v[25:26], v[76:77], v[78:79]
	v_fma_f64 v[39:40], -v[21:22], v[59:60], v[39:40]
	v_mov_b32_e32 v59, s29
	ds_read2_b64 v[76:79], v59 offset1:1
	s_add_i32 s29, s34, 0xffffffa8
	s_waitcnt lgkmcnt(2)
	v_fma_f64 v[59:60], -v[33:34], v[63:64], v[82:83]
	v_mov_b32_e32 v63, s29
	s_lshl_b32 s29, s33, 9
	s_add_i32 s37, s29, s13
	s_add_i32 s36, s37, -8
	v_fma_f64 v[70:71], -v[17:18], v[70:71], v[39:40]
	v_mov_b32_e32 v39, s36
	ds_read2_b64 v[82:85], v63 offset1:1
	s_waitcnt lgkmcnt(1)
	v_fma_f64 v[63:64], -v[27:28], v[78:79], v[86:87]
	ds_read2_b64 v[86:89], v39 offset1:1
	s_sub_i32 s36, s35, 64
	v_mul_f64 v[39:40], v[80:81], v[92:93]
	v_fma_f64 v[80:81], -v[35:36], v[61:62], v[59:60]
	v_fma_f64 v[78:79], -v[23:24], v[68:69], v[70:71]
	s_waitcnt lgkmcnt(0)
	v_fma_f64 v[49:50], -v[9:10], v[88:89], v[49:50]
	v_mov_b32_e32 v59, s36
	ds_read2_b64 v[59:62], v59 offset1:1
	v_fma_f64 v[76:77], -v[29:30], v[76:77], v[63:64]
	s_add_i32 s36, s35, 0xffffffb0
	v_mov_b32_e32 v63, s36
	s_sub_i32 s36, s37, 24
	ds_read2_b64 v[68:71], v63 offset1:1
	v_fma_f64 v[49:50], -v[11:12], v[86:87], v[49:50]
	s_waitcnt lgkmcnt(1)
	v_fma_f64 v[88:89], -v[25:26], v[61:62], v[78:79]
	v_mov_b32_e32 v61, s36
	ds_read2_b64 v[61:64], v61 offset1:1
	s_sub_i32 s36, s37, 40
	v_fma_f64 v[84:85], -v[31:32], v[84:85], v[76:77]
	v_mov_b32_e32 v76, s36
	ds_read2_b64 v[76:79], v76 offset1:1
	s_waitcnt lgkmcnt(1)
	v_fma_f64 v[49:50], -v[15:16], v[63:64], v[49:50]
	v_fma_f64 v[59:60], -v[27:28], v[59:60], v[88:89]
	s_addk_i32 s34, 0xff98
	v_fma_f64 v[86:87], -v[39:40], v[74:75], v[80:81]
	v_mov_b32_e32 v74, s30
	v_fma_f64 v[63:64], -v[33:34], v[82:83], v[84:85]
	s_add_i32 s30, s35, 0xffffffa0
	s_add_i32 s31, s37, 0xffffffa8
	v_fma_f64 v[49:50], -v[19:20], v[61:62], v[49:50]
	v_fma_f64 v[70:71], -v[29:30], v[70:71], v[59:60]
	v_mov_b32_e32 v61, s34
	ds_read2_b64 v[59:62], v61 offset1:1
	s_sub_i32 s34, s37, 56
	s_add_i32 s40, s37, 0xffffff98
	s_lshl_b32 s33, s33, 3
	s_add_i32 s33, s29, s33
	s_waitcnt lgkmcnt(1)
	v_fma_f64 v[49:50], -v[21:22], v[78:79], v[49:50]
	v_fma_f64 v[92:93], -v[31:32], v[68:69], v[70:71]
	v_mov_b32_e32 v68, s34
	ds_read2_b64 v[68:71], v68 offset1:1
	s_waitcnt lgkmcnt(1)
	v_fma_f64 v[88:89], -v[35:36], v[61:62], v[63:64]
	v_mov_b32_e32 v61, s30
	ds_read2_b64 v[78:81], v74 offset1:1
	ds_read2_b64 v[61:64], v61 offset1:1
	v_fma_f64 v[49:50], -v[17:18], v[76:77], v[49:50]
	s_add_i32 s30, s35, 0xffffff90
	v_mov_b32_e32 v82, s30
	s_add_i32 s30, s37, 0xffffffb8
	s_sub_i32 s34, s8, 18
	v_mov_b32_e32 v74, s30
	s_lshl_b32 s30, s34, 9
	s_add_i32 s38, s30, s13
	s_waitcnt lgkmcnt(2)
	v_fma_f64 v[49:50], -v[23:24], v[70:71], v[49:50]
	v_mov_b32_e32 v70, s38
	ds_read2_b64 v[82:85], v82 offset1:1
	s_waitcnt lgkmcnt(1)
	v_fma_f64 v[63:64], -v[33:34], v[63:64], v[92:93]
	ds_read_b64 v[92:93], v70
	s_add_i32 s35, s38, -16
	ds_read2_b64 v[74:77], v74 offset1:1
	v_fma_f64 v[59:60], -v[39:40], v[59:60], v[88:89]
	v_fma_f64 v[49:50], -v[25:26], v[68:69], v[49:50]
	s_waitcnt lgkmcnt(1)
	v_fma_f64 v[92:93], -v[9:10], v[92:93], v[43:44]
	v_mov_b32_e32 v68, s35
	ds_read2_b64 v[68:71], v68 offset1:1
	v_fma_f64 v[61:62], -v[35:36], v[61:62], v[63:64]
	v_mul_f64 v[43:44], v[72:73], v[86:87]
	s_sub_i32 s35, s8, 19
	s_addk_i32 s37, 0xff88
	s_waitcnt lgkmcnt(1)
	v_fma_f64 v[49:50], -v[27:28], v[76:77], v[49:50]
	s_waitcnt lgkmcnt(0)
	v_fma_f64 v[63:64], -v[11:12], v[70:71], v[92:93]
	v_mov_b32_e32 v70, s31
	s_sub_i32 s31, s38, 32
	v_fma_f64 v[88:89], -v[39:40], v[84:85], v[61:62]
	v_fma_f64 v[80:81], -v[43:44], v[80:81], v[59:60]
	v_mov_b32_e32 v59, s31
	s_sub_i32 s31, s38, 48
	v_mov_b32_e32 v72, s31
	v_fma_f64 v[63:64], -v[15:16], v[68:69], v[63:64]
	ds_read2_b64 v[59:62], v59 offset1:1
	ds_read2_b64 v[68:71], v70 offset1:1
	s_lshl_b32 s31, s35, 9
	s_add_i32 s36, s31, s13
	s_add_i32 s41, s36, -8
	v_fma_f64 v[49:50], -v[29:30], v[74:75], v[49:50]
	ds_read2_b64 v[72:75], v72 offset1:1
	s_lshl_b32 s34, s34, 3
	s_waitcnt lgkmcnt(2)
	v_fma_f64 v[76:77], -v[19:20], v[61:62], v[63:64]
	v_mov_b32_e32 v61, s41
	ds_read2_b64 v[61:64], v61 offset1:1
	s_sub_i32 s41, s36, 24
	s_add_i32 s34, s30, s34
	s_waitcnt lgkmcnt(2)
	v_fma_f64 v[49:50], -v[31:32], v[70:71], v[49:50]
	s_lshl_b32 s35, s35, 3
	s_waitcnt lgkmcnt(0)
	v_fma_f64 v[47:48], -v[9:10], v[63:64], v[47:48]
	v_fma_f64 v[59:60], -v[21:22], v[59:60], v[76:77]
	v_mov_b32_e32 v76, s41
	v_mov_b32_e32 v63, s40
	ds_read2_b64 v[84:87], v76 offset1:1
	ds_read2_b64 v[92:95], v63 offset1:1
	v_mov_b32_e32 v63, s39
	s_sub_i32 s39, s38, 64
	v_fma_f64 v[49:50], -v[33:34], v[68:69], v[49:50]
	v_fma_f64 v[59:60], -v[17:18], v[74:75], v[59:60]
	ds_read2_b64 v[74:77], v63 offset1:1
	v_fma_f64 v[63:64], -v[11:12], v[61:62], v[47:48]
	v_mul_f64 v[47:48], v[78:79], v[80:81]
	v_fma_f64 v[78:79], -v[43:44], v[82:83], v[88:89]
	s_add_i32 s35, s31, s35
	s_waitcnt lgkmcnt(1)
	v_fma_f64 v[49:50], -v[35:36], v[94:95], v[49:50]
	v_fma_f64 v[72:73], -v[23:24], v[72:73], v[59:60]
	v_mov_b32_e32 v59, s39
	v_fma_f64 v[63:64], -v[15:16], v[86:87], v[63:64]
	ds_read2_b64 v[59:62], v59 offset1:1
	s_add_i32 s39, s38, 0xffffffb0
	v_mov_b32_e32 v68, s39
	ds_read2_b64 v[68:71], v68 offset1:1
	s_sub_i32 s39, s36, 40
	s_waitcnt lgkmcnt(1)
	v_fma_f64 v[72:73], -v[25:26], v[61:62], v[72:73]
	v_mov_b32_e32 v61, s39
	v_fma_f64 v[80:81], -v[19:20], v[84:85], v[63:64]
	ds_read2_b64 v[61:64], v61 offset1:1
	s_sub_i32 s39, s36, 56
	v_fma_f64 v[86:87], -v[47:48], v[76:77], v[78:79]
	v_fma_f64 v[49:50], -v[39:40], v[92:93], v[49:50]
	;; [unrolled: 1-line block ×3, first 2 shown]
	v_mov_b32_e32 v72, s39
	ds_read2_b64 v[76:79], v72 offset1:1
	s_waitcnt lgkmcnt(1)
	v_fma_f64 v[63:64], -v[21:22], v[63:64], v[80:81]
	v_mov_b32_e32 v72, s37
	ds_read2_b64 v[80:83], v72 offset1:1
	s_sub_i32 s37, s8, 20
	s_add_i32 s39, s36, 0xffffffb8
	v_fma_f64 v[70:71], -v[29:30], v[70:71], v[59:60]
	v_mov_b32_e32 v59, s33
	s_waitcnt lgkmcnt(0)
	v_fma_f64 v[72:73], -v[43:44], v[82:83], v[49:50]
	v_fma_f64 v[63:64], -v[17:18], v[61:62], v[63:64]
	s_add_i32 s33, s38, 0xffffffa0
	ds_read2_b64 v[59:62], v59 offset1:1
	v_mul_f64 v[49:50], v[74:75], v[86:87]
	v_fma_f64 v[82:83], -v[31:32], v[68:69], v[70:71]
	v_mov_b32_e32 v68, s33
	s_add_i32 s33, s38, 0xffffff90
	v_fma_f64 v[63:64], -v[23:24], v[78:79], v[63:64]
	v_fma_f64 v[84:85], -v[47:48], v[80:81], v[72:73]
	v_mov_b32_e32 v72, s33
	s_lshl_b32 s33, s37, 9
	s_add_i32 s40, s33, s13
	ds_read2_b64 v[68:71], v68 offset1:1
	s_add_i32 s41, s40, -16
	ds_read2_b64 v[72:75], v72 offset1:1
	v_fma_f64 v[63:64], -v[25:26], v[76:77], v[63:64]
	v_mov_b32_e32 v76, s40
	ds_read_b64 v[80:81], v76
	v_mov_b32_e32 v76, s41
	ds_read2_b64 v[76:79], v76 offset1:1
	s_waitcnt lgkmcnt(3)
	v_fma_f64 v[70:71], -v[33:34], v[70:71], v[82:83]
	v_fma_f64 v[92:93], -v[49:50], v[61:62], v[84:85]
	s_waitcnt lgkmcnt(1)
	v_fma_f64 v[57:58], -v[9:10], v[80:81], v[57:58]
	v_mov_b32_e32 v80, s39
	ds_read2_b64 v[80:83], v80 offset1:1
	s_add_i32 s39, s36, 0xffffffa8
	s_addk_i32 s38, 0xff80
	s_lshl_b32 s37, s37, 3
	v_fma_f64 v[86:87], -v[35:36], v[68:69], v[70:71]
	s_waitcnt lgkmcnt(0)
	v_fma_f64 v[63:64], -v[27:28], v[82:83], v[63:64]
	v_fma_f64 v[57:58], -v[11:12], v[78:79], v[57:58]
	v_mov_b32_e32 v68, s39
	s_sub_i32 s39, s40, 32
	v_mov_b32_e32 v61, s39
	ds_read2_b64 v[68:71], v68 offset1:1
	s_sub_i32 s39, s40, 48
	s_add_i32 s37, s33, s37
	v_fma_f64 v[78:79], -v[29:30], v[80:81], v[63:64]
	v_fma_f64 v[57:58], -v[15:16], v[76:77], v[57:58]
	ds_read2_b64 v[61:64], v61 offset1:1
	s_waitcnt lgkmcnt(1)
	v_fma_f64 v[70:71], -v[31:32], v[70:71], v[78:79]
	s_waitcnt lgkmcnt(0)
	v_fma_f64 v[57:58], -v[19:20], v[63:64], v[57:58]
	v_mov_b32_e32 v63, s38
	ds_read2_b64 v[76:79], v63 offset1:1
	v_fma_f64 v[74:75], -v[39:40], v[74:75], v[86:87]
	v_mov_b32_e32 v63, s34
	s_add_i32 s34, s36, 0xffffff98
	s_sub_i32 s38, s8, 21
	v_fma_f64 v[86:87], -v[33:34], v[68:69], v[70:71]
	v_fma_f64 v[57:58], -v[21:22], v[61:62], v[57:58]
	ds_read2_b64 v[61:64], v63 offset1:1
	v_fma_f64 v[80:81], -v[43:44], v[72:73], v[74:75]
	v_mov_b32_e32 v72, s39
	ds_read2_b64 v[72:75], v72 offset1:1
	s_waitcnt lgkmcnt(0)
	v_fma_f64 v[57:58], -v[17:18], v[74:75], v[57:58]
	v_fma_f64 v[94:95], -v[47:48], v[78:79], v[80:81]
	v_mov_b32_e32 v78, s34
	s_add_i32 s34, s36, 0xffffff88
	v_mov_b32_e32 v82, s34
	s_lshl_b32 s34, s38, 9
	s_add_i32 s41, s34, s13
	s_add_i32 s39, s41, -8
	v_mov_b32_e32 v68, s39
	ds_read2_b64 v[68:71], v68 offset1:1
	ds_read2_b64 v[78:81], v78 offset1:1
	ds_read2_b64 v[82:85], v82 offset1:1
	v_fma_f64 v[74:75], -v[23:24], v[72:73], v[57:58]
	s_sub_i32 s39, s40, 64
	s_waitcnt lgkmcnt(2)
	v_fma_f64 v[88:89], -v[9:10], v[70:71], v[55:56]
	v_mov_b32_e32 v55, s39
	ds_read2_b64 v[55:58], v55 offset1:1
	s_add_i32 s39, s40, 0xffffffb0
	v_mov_b32_e32 v70, s39
	s_sub_i32 s39, s41, 24
	ds_read2_b64 v[70:73], v70 offset1:1
	s_waitcnt lgkmcnt(1)
	v_fma_f64 v[57:58], -v[25:26], v[57:58], v[74:75]
	v_fma_f64 v[68:69], -v[11:12], v[68:69], v[88:89]
	v_mov_b32_e32 v74, s39
	v_fma_f64 v[80:81], -v[35:36], v[80:81], v[86:87]
	ds_read2_b64 v[86:89], v74 offset1:1
	s_sub_i32 s39, s41, 40
	s_addk_i32 s36, 0xff78
	s_add_i32 s43, s41, 0xffffff78
	v_fma_f64 v[57:58], -v[27:28], v[55:56], v[57:58]
	s_waitcnt lgkmcnt(0)
	v_fma_f64 v[68:69], -v[15:16], v[88:89], v[68:69]
	v_mul_f64 v[55:56], v[59:60], v[92:93]
	v_fma_f64 v[74:75], -v[39:40], v[78:79], v[80:81]
	v_mov_b32_e32 v78, s39
	ds_read2_b64 v[78:81], v78 offset1:1
	v_fma_f64 v[59:60], -v[49:50], v[76:77], v[94:95]
	s_add_i32 s39, s40, 0xffffffa0
	v_fma_f64 v[57:58], -v[29:30], v[72:73], v[57:58]
	v_fma_f64 v[68:69], -v[19:20], v[86:87], v[68:69]
	v_mov_b32_e32 v88, s35
	v_fma_f64 v[74:75], -v[43:44], v[84:85], v[74:75]
	v_fma_f64 v[63:64], -v[55:56], v[63:64], v[59:60]
	;; [unrolled: 1-line block ×3, first 2 shown]
	s_waitcnt lgkmcnt(0)
	v_fma_f64 v[72:73], -v[21:22], v[80:81], v[68:69]
	v_mov_b32_e32 v57, s39
	s_add_i32 s39, s40, 0xffffff90
	v_mov_b32_e32 v68, s39
	s_sub_i32 s39, s41, 56
	v_fma_f64 v[84:85], -v[47:48], v[82:83], v[74:75]
	ds_read2_b64 v[57:60], v57 offset1:1
	ds_read2_b64 v[68:71], v68 offset1:1
	v_fma_f64 v[80:81], -v[17:18], v[78:79], v[72:73]
	v_mov_b32_e32 v72, s39
	ds_read2_b64 v[72:75], v72 offset1:1
	s_waitcnt lgkmcnt(2)
	v_fma_f64 v[59:60], -v[33:34], v[59:60], v[76:77]
	s_add_i32 s39, s41, 0xffffffb8
	v_mov_b32_e32 v76, s39
	s_sub_i32 s39, s8, 22
	s_lshl_b32 s35, s39, 9
	s_waitcnt lgkmcnt(0)
	v_fma_f64 v[74:75], -v[23:24], v[74:75], v[80:81]
	s_add_i32 s45, s35, s13
	v_mov_b32_e32 v80, s36
	v_fma_f64 v[57:58], -v[35:36], v[57:58], v[59:60]
	v_mov_b32_e32 v59, s45
	ds_read2_b64 v[80:83], v80 offset1:1
	s_add_i32 s36, s45, -16
	ds_read2_b64 v[76:79], v76 offset1:1
	v_fma_f64 v[72:73], -v[25:26], v[72:73], v[74:75]
	ds_read_b64 v[74:75], v59
	s_waitcnt lgkmcnt(2)
	v_fma_f64 v[96:97], -v[49:50], v[82:83], v[84:85]
	v_fma_f64 v[86:87], -v[39:40], v[70:71], v[57:58]
	v_mov_b32_e32 v57, s36
	ds_read2_b64 v[57:60], v57 offset1:1
	s_waitcnt lgkmcnt(1)
	v_fma_f64 v[53:54], -v[9:10], v[74:75], v[53:54]
	s_add_i32 s36, s40, 0xffffff80
	v_fma_f64 v[74:75], -v[27:28], v[78:79], v[72:73]
	v_mov_b32_e32 v78, s36
	ds_read2_b64 v[70:73], v88 offset1:1
	ds_read2_b64 v[82:85], v78 offset1:1
	s_add_i32 s36, s41, 0xffffffa8
	v_fma_f64 v[68:69], -v[43:44], v[68:69], v[86:87]
	s_waitcnt lgkmcnt(2)
	v_fma_f64 v[53:54], -v[11:12], v[59:60], v[53:54]
	v_mov_b32_e32 v59, s36
	v_fma_f64 v[78:79], -v[29:30], v[76:77], v[74:75]
	s_add_i32 s36, s41, 0xffffff98
	v_mov_b32_e32 v60, s36
	s_sub_i32 s36, s45, 32
	ds_read2_b64 v[74:77], v59 offset1:1
	ds_read2_b64 v[86:89], v60 offset1:1
	s_lshl_b32 s39, s39, 3
	v_fma_f64 v[53:54], -v[15:16], v[57:58], v[53:54]
	v_mov_b32_e32 v57, s36
	ds_read2_b64 v[57:60], v57 offset1:1
	s_sub_i32 s36, s45, 48
	s_waitcnt lgkmcnt(2)
	v_fma_f64 v[98:99], -v[31:32], v[76:77], v[78:79]
	v_mov_b32_e32 v76, s36
	ds_read2_b64 v[76:79], v76 offset1:1
	s_add_i32 s36, s40, 0xffffff70
	s_waitcnt lgkmcnt(1)
	v_fma_f64 v[53:54], -v[19:20], v[59:60], v[53:54]
	v_mov_b32_e32 v59, s36
	ds_read2_b64 v[92:95], v59 offset1:1
	v_fma_f64 v[59:60], -v[47:48], v[84:85], v[68:69]
	v_fma_f64 v[68:69], -v[33:34], v[74:75], v[98:99]
	s_add_i32 s36, s41, 0xffffff88
	s_sub_i32 s40, s8, 23
	s_add_i32 s39, s35, s39
	v_fma_f64 v[57:58], -v[21:22], v[57:58], v[53:54]
	v_mul_f64 v[53:54], v[61:62], v[63:64]
	v_fma_f64 v[61:62], -v[55:56], v[80:81], v[96:97]
	v_fma_f64 v[59:60], -v[49:50], v[82:83], v[59:60]
	;; [unrolled: 1-line block ×3, first 2 shown]
	v_mov_b32_e32 v90, s39
	s_waitcnt lgkmcnt(1)
	v_fma_f64 v[57:58], -v[17:18], v[78:79], v[57:58]
	v_fma_f64 v[68:69], -v[53:54], v[72:73], v[61:62]
	v_mov_b32_e32 v61, s36
	s_sub_i32 s36, s45, 64
	s_waitcnt lgkmcnt(0)
	v_fma_f64 v[82:83], -v[55:56], v[94:95], v[59:60]
	v_fma_f64 v[84:85], -v[39:40], v[86:87], v[63:64]
	;; [unrolled: 1-line block ×3, first 2 shown]
	v_mov_b32_e32 v57, s36
	ds_read2_b64 v[57:60], v57 offset1:1
	ds_read2_b64 v[61:64], v61 offset1:1
	s_add_i32 s36, s45, 0xffffffb0
	v_mov_b32_e32 v72, s36
	s_lshl_b32 s36, s40, 9
	s_add_i32 s42, s36, s13
	s_add_i32 s44, s42, -8
	s_waitcnt lgkmcnt(1)
	v_fma_f64 v[59:60], -v[25:26], v[59:60], v[76:77]
	v_mov_b32_e32 v76, s44
	ds_read2_b64 v[72:75], v72 offset1:1
	ds_read2_b64 v[76:79], v76 offset1:1
	s_sub_i32 s44, s42, 24
	s_waitcnt lgkmcnt(2)
	v_fma_f64 v[63:64], -v[43:44], v[63:64], v[84:85]
	s_add_i32 s39, s42, 0xffffff78
	s_lshl_b32 s40, s40, 3
	v_fma_f64 v[86:87], -v[27:28], v[57:58], v[59:60]
	s_waitcnt lgkmcnt(0)
	v_fma_f64 v[88:89], -v[9:10], v[78:79], v[51:52]
	v_mov_b32_e32 v57, s44
	v_mov_b32_e32 v51, s43
	ds_read2_b64 v[57:60], v57 offset1:1
	ds_read2_b64 v[78:81], v51 offset1:1
	v_mul_f64 v[51:52], v[70:71], v[68:69]
	v_fma_f64 v[63:64], -v[47:48], v[61:62], v[63:64]
	v_fma_f64 v[74:75], -v[29:30], v[74:75], v[86:87]
	;; [unrolled: 1-line block ×4, first 2 shown]
	v_mov_b32_e32 v82, s37
	s_add_i32 s37, s45, 0xffffffa0
	s_add_i32 s40, s36, s40
	s_waitcnt lgkmcnt(0)
	v_fma_f64 v[84:85], -v[49:50], v[80:81], v[63:64]
	v_fma_f64 v[72:73], -v[31:32], v[72:73], v[74:75]
	;; [unrolled: 1-line block ×3, first 2 shown]
	v_mov_b32_e32 v59, s37
	ds_read2_b64 v[59:62], v59 offset1:1
	s_add_i32 s37, s45, 0xffffff90
	v_mov_b32_e32 v63, s37
	ds_read2_b64 v[68:71], v63 offset1:1
	s_sub_i32 s37, s42, 40
	s_waitcnt lgkmcnt(1)
	v_fma_f64 v[86:87], -v[33:34], v[61:62], v[72:73]
	v_fma_f64 v[57:58], -v[19:20], v[57:58], v[74:75]
	v_mov_b32_e32 v61, s37
	ds_read2_b64 v[61:64], v61 offset1:1
	ds_read2_b64 v[72:75], v82 offset1:1
	s_sub_i32 s37, s42, 56
	v_mov_b32_e32 v80, s37
	s_add_i32 s37, s41, 0xffffff68
	s_sub_i32 s41, s8, 24
	s_waitcnt lgkmcnt(0)
	v_fma_f64 v[92:93], -v[51:52], v[74:75], v[76:77]
	v_fma_f64 v[63:64], -v[21:22], v[63:64], v[57:58]
	;; [unrolled: 1-line block ×3, first 2 shown]
	v_mov_b32_e32 v57, s37
	s_lshl_b32 s37, s38, 3
	s_add_i32 s38, s34, s37
	s_lshl_b32 s37, s41, 9
	ds_read2_b64 v[80:83], v80 offset1:1
	s_add_i32 s46, s37, s13
	v_fma_f64 v[61:62], -v[17:18], v[61:62], v[63:64]
	v_fma_f64 v[70:71], -v[39:40], v[70:71], v[74:75]
	v_mov_b32_e32 v63, s46
	ds_read_b64 v[74:75], v63
	s_add_i32 s43, s46, -16
	ds_read2_b64 v[57:60], v57 offset1:1
	v_fma_f64 v[94:95], -v[55:56], v[78:79], v[84:85]
	v_mov_b32_e32 v88, s38
	s_waitcnt lgkmcnt(2)
	v_fma_f64 v[76:77], -v[23:24], v[82:83], v[61:62]
	v_mov_b32_e32 v61, s43
	s_add_i32 s43, s42, 0xffffffb8
	v_fma_f64 v[86:87], -v[43:44], v[68:69], v[70:71]
	v_mov_b32_e32 v68, s43
	ds_read2_b64 v[68:71], v68 offset1:1
	s_waitcnt lgkmcnt(2)
	v_fma_f64 v[45:46], -v[9:10], v[74:75], v[45:46]
	ds_read2_b64 v[61:64], v61 offset1:1
	v_fma_f64 v[78:79], -v[25:26], v[80:81], v[76:77]
	s_add_i32 s43, s42, 0xffffffa8
	s_add_i32 s38, s45, 0xffffff80
	s_waitcnt lgkmcnt(2)
	v_fma_f64 v[59:60], -v[53:54], v[59:60], v[94:95]
	s_lshl_b32 s41, s41, 3
	s_add_i32 s41, s37, s41
	s_waitcnt lgkmcnt(0)
	v_fma_f64 v[45:46], -v[11:12], v[63:64], v[45:46]
	v_mov_b32_e32 v63, s43
	v_fma_f64 v[70:71], -v[27:28], v[70:71], v[78:79]
	s_sub_i32 s43, s46, 32
	ds_read2_b64 v[74:77], v63 offset1:1
	v_mov_b32_e32 v63, s38
	ds_read2_b64 v[78:81], v63 offset1:1
	s_add_i32 s38, s45, 0xffffff70
	v_fma_f64 v[45:46], -v[15:16], v[61:62], v[45:46]
	v_mov_b32_e32 v61, s43
	ds_read2_b64 v[61:64], v61 offset1:1
	s_sub_i32 s43, s46, 48
	v_fma_f64 v[96:97], -v[29:30], v[68:69], v[70:71]
	v_mov_b32_e32 v68, s43
	ds_read2_b64 v[68:71], v68 offset1:1
	s_sub_i32 s43, s8, 25
	s_waitcnt lgkmcnt(1)
	v_fma_f64 v[45:46], -v[19:20], v[63:64], v[45:46]
	v_mov_b32_e32 v63, s38
	ds_read2_b64 v[82:85], v63 offset1:1
	v_fma_f64 v[63:64], -v[47:48], v[80:81], v[86:87]
	v_fma_f64 v[76:77], -v[31:32], v[76:77], v[96:97]
	s_add_i32 s38, s42, 0xffffff98
	v_fma_f64 v[80:81], -v[51:52], v[57:58], v[59:60]
	v_mov_b32_e32 v57, s38
	v_fma_f64 v[61:62], -v[21:22], v[61:62], v[45:46]
	v_mul_f64 v[45:46], v[72:73], v[92:93]
	ds_read2_b64 v[57:60], v57 offset1:1
	v_fma_f64 v[63:64], -v[49:50], v[78:79], v[63:64]
	v_fma_f64 v[72:73], -v[33:34], v[74:75], v[76:77]
	s_add_i32 s38, s42, 0xffffff88
	ds_read2_b64 v[86:89], v88 offset1:1
	s_addk_i32 s45, 0xff60
	s_waitcnt lgkmcnt(3)
	v_fma_f64 v[70:71], -v[17:18], v[70:71], v[61:62]
	v_mov_b32_e32 v61, s38
	s_sub_i32 s38, s46, 64
	s_waitcnt lgkmcnt(2)
	v_fma_f64 v[84:85], -v[55:56], v[84:85], v[63:64]
	ds_read2_b64 v[61:64], v61 offset1:1
	s_waitcnt lgkmcnt(2)
	v_fma_f64 v[59:60], -v[35:36], v[59:60], v[72:73]
	s_waitcnt lgkmcnt(1)
	v_fma_f64 v[88:89], -v[45:46], v[88:89], v[80:81]
	v_fma_f64 v[92:93], -v[23:24], v[68:69], v[70:71]
	v_mov_b32_e32 v68, s38
	s_add_i32 s38, s46, 0xffffffb0
	v_mov_b32_e32 v72, s38
	s_lshl_b32 s38, s43, 9
	s_add_i32 s44, s38, s13
	s_add_i32 s47, s44, -8
	v_mov_b32_e32 v76, s47
	ds_read2_b64 v[68:71], v68 offset1:1
	ds_read2_b64 v[72:75], v72 offset1:1
	;; [unrolled: 1-line block ×3, first 2 shown]
	v_fma_f64 v[80:81], -v[39:40], v[57:58], v[59:60]
	v_mov_b32_e32 v57, s45
	s_waitcnt lgkmcnt(2)
	v_fma_f64 v[70:71], -v[25:26], v[70:71], v[92:93]
	s_sub_i32 s45, s44, 24
	s_waitcnt lgkmcnt(0)
	v_fma_f64 v[41:42], -v[9:10], v[78:79], v[41:42]
	ds_read2_b64 v[57:60], v57 offset1:1
	v_fma_f64 v[92:93], -v[53:54], v[82:83], v[84:85]
	s_add_i32 s47, s46, 0xffffff80
	v_fma_f64 v[63:64], -v[43:44], v[63:64], v[80:81]
	s_lshl_b32 s43, s43, 3
	v_fma_f64 v[78:79], -v[27:28], v[68:69], v[70:71]
	v_mov_b32_e32 v68, s45
	v_fma_f64 v[41:42], -v[11:12], v[76:77], v[41:42]
	ds_read2_b64 v[68:71], v68 offset1:1
	s_sub_i32 s45, s44, 40
	s_waitcnt lgkmcnt(1)
	v_fma_f64 v[92:93], -v[51:52], v[59:60], v[92:93]
	v_fma_f64 v[94:95], -v[47:48], v[61:62], v[63:64]
	s_add_i32 s43, s38, s43
	v_fma_f64 v[78:79], -v[29:30], v[74:75], v[78:79]
	v_mov_b32_e32 v74, s45
	s_waitcnt lgkmcnt(0)
	v_fma_f64 v[41:42], -v[15:16], v[70:71], v[41:42]
	ds_read2_b64 v[74:77], v74 offset1:1
	v_mov_b32_e32 v70, s39
	s_add_i32 s39, s46, 0xffffffa0
	v_mov_b32_e32 v61, s39
	s_add_i32 s39, s46, 0xffffff90
	v_fma_f64 v[72:73], -v[31:32], v[72:73], v[78:79]
	v_mov_b32_e32 v78, s39
	v_fma_f64 v[41:42], -v[19:20], v[68:69], v[41:42]
	ds_read2_b64 v[61:64], v61 offset1:1
	ds_read2_b64 v[68:71], v70 offset1:1
	s_add_i32 s39, s42, 0xffffff68
	ds_read2_b64 v[78:81], v78 offset1:1
	s_sub_i32 s45, s8, 26
	s_addk_i32 s42, 0xff58
	s_waitcnt lgkmcnt(2)
	v_fma_f64 v[63:64], -v[33:34], v[63:64], v[72:73]
	v_mov_b32_e32 v72, s39
	v_fma_f64 v[41:42], -v[21:22], v[76:77], v[41:42]
	s_sub_i32 s39, s44, 56
	v_mov_b32_e32 v59, s39
	ds_read2_b64 v[82:85], v72 offset1:1
	s_waitcnt lgkmcnt(2)
	v_fma_f64 v[76:77], -v[49:50], v[70:71], v[94:95]
	s_add_i32 s39, s44, 0xffffffb8
	v_fma_f64 v[63:64], -v[35:36], v[61:62], v[63:64]
	ds_read2_b64 v[59:62], v59 offset1:1
	v_fma_f64 v[41:42], -v[17:18], v[74:75], v[41:42]
	v_mov_b32_e32 v74, s39
	s_lshl_b32 s39, s45, 9
	s_add_i32 s49, s39, s13
	v_fma_f64 v[68:69], -v[55:56], v[68:69], v[76:77]
	ds_read2_b64 v[74:77], v74 offset1:1
	s_waitcnt lgkmcnt(3)
	v_fma_f64 v[63:64], -v[39:40], v[80:81], v[63:64]
	v_fma_f64 v[80:81], -v[45:46], v[57:58], v[92:93]
	s_waitcnt lgkmcnt(1)
	v_fma_f64 v[61:62], -v[23:24], v[61:62], v[41:42]
	s_add_i32 s48, s49, -16
	ds_read2_b64 v[70:73], v90 offset1:1
	v_mul_f64 v[41:42], v[86:87], v[88:89]
	v_fma_f64 v[68:69], -v[53:54], v[84:85], v[68:69]
	s_lshl_b32 s45, s45, 3
	v_fma_f64 v[88:89], -v[43:44], v[78:79], v[63:64]
	s_add_i32 s45, s39, s45
	v_fma_f64 v[57:58], -v[25:26], v[59:60], v[61:62]
	v_mov_b32_e32 v59, s49
	ds_read_b64 v[61:62], v59
	v_fma_f64 v[68:69], -v[51:52], v[82:83], v[68:69]
	s_waitcnt lgkmcnt(0)
	v_fma_f64 v[37:38], -v[9:10], v[61:62], v[37:38]
	v_fma_f64 v[84:85], -v[27:28], v[76:77], v[57:58]
	v_mov_b32_e32 v57, s48
	ds_read2_b64 v[57:60], v57 offset1:1
	v_mov_b32_e32 v61, s47
	s_add_i32 s47, s46, 0xffffff70
	v_mov_b32_e32 v76, s47
	ds_read2_b64 v[61:64], v61 offset1:1
	ds_read2_b64 v[76:79], v76 offset1:1
	s_waitcnt lgkmcnt(2)
	v_fma_f64 v[37:38], -v[11:12], v[59:60], v[37:38]
	v_fma_f64 v[74:75], -v[29:30], v[74:75], v[84:85]
	s_add_i32 s47, s44, 0xffffffa8
	s_waitcnt lgkmcnt(1)
	v_fma_f64 v[63:64], -v[47:48], v[63:64], v[88:89]
	v_mov_b32_e32 v59, s47
	s_add_i32 s47, s44, 0xffffff98
	ds_read2_b64 v[84:87], v59 offset1:1
	v_mov_b32_e32 v59, s47
	v_fma_f64 v[37:38], -v[15:16], v[57:58], v[37:38]
	s_sub_i32 s47, s49, 32
	v_mov_b32_e32 v57, s47
	ds_read2_b64 v[92:95], v59 offset1:1
	ds_read2_b64 v[57:60], v57 offset1:1
	s_sub_i32 s47, s49, 48
	s_waitcnt lgkmcnt(2)
	v_fma_f64 v[74:75], -v[31:32], v[86:87], v[74:75]
	v_fma_f64 v[86:87], -v[49:50], v[61:62], v[63:64]
	v_mov_b32_e32 v61, s47
	ds_read2_b64 v[61:64], v61 offset1:1
	s_waitcnt lgkmcnt(1)
	v_fma_f64 v[37:38], -v[19:20], v[59:60], v[37:38]
	v_fma_f64 v[88:89], -v[41:42], v[72:73], v[80:81]
	v_mov_b32_e32 v73, s40
	s_add_i32 s40, s46, 0xffffff60
	v_fma_f64 v[59:60], -v[33:34], v[84:85], v[74:75]
	v_fma_f64 v[78:79], -v[55:56], v[78:79], v[86:87]
	v_mov_b32_e32 v72, s42
	s_sub_i32 s47, s8, 27
	v_fma_f64 v[37:38], -v[21:22], v[57:58], v[37:38]
	v_fma_f64 v[80:81], -v[35:36], v[94:95], v[59:60]
	ds_read2_b64 v[57:60], v72 offset1:1
	ds_read2_b64 v[72:75], v73 offset1:1
	v_fma_f64 v[104:105], -v[53:54], v[76:77], v[78:79]
	s_waitcnt lgkmcnt(2)
	v_fma_f64 v[37:38], -v[17:18], v[63:64], v[37:38]
	v_mov_b32_e32 v63, s40
	s_add_i32 s40, s44, 0xffffff88
	ds_read2_b64 v[76:79], v63 offset1:1
	v_fma_f64 v[100:101], -v[39:40], v[92:93], v[80:81]
	v_mov_b32_e32 v80, s40
	s_add_i32 s40, s44, 0xffffff78
	v_mov_b32_e32 v84, s40
	v_fma_f64 v[37:38], -v[23:24], v[61:62], v[37:38]
	s_sub_i32 s40, s49, 64
	v_mov_b32_e32 v61, s40
	s_add_i32 s40, s49, 0xffffffb0
	ds_read2_b64 v[61:64], v61 offset1:1
	ds_read2_b64 v[80:83], v80 offset1:1
	;; [unrolled: 1-line block ×3, first 2 shown]
	v_mov_b32_e32 v90, s40
	s_lshl_b32 s40, s47, 9
	s_add_i32 s48, s40, s13
	s_add_i32 s42, s48, -8
	s_waitcnt lgkmcnt(2)
	v_fma_f64 v[37:38], -v[25:26], v[63:64], v[37:38]
	v_mov_b32_e32 v63, s42
	ds_read2_b64 v[92:95], v90 offset1:1
	ds_read2_b64 v[96:99], v63 offset1:1
	s_sub_i32 s42, s48, 24
	s_waitcnt lgkmcnt(3)
	v_fma_f64 v[63:64], -v[43:44], v[82:83], v[100:101]
	v_mov_b32_e32 v82, s42
	ds_read2_b64 v[100:103], v82 offset1:1
	s_waitcnt lgkmcnt(1)
	v_fma_f64 v[3:4], -v[9:10], v[98:99], v[3:4]
	v_fma_f64 v[37:38], -v[27:28], v[61:62], v[37:38]
	s_add_i32 s42, s46, 0xffffff50
	v_fma_f64 v[68:69], -v[45:46], v[59:60], v[68:69]
	v_mov_b32_e32 v59, s42
	ds_read2_b64 v[59:62], v59 offset1:1
	v_fma_f64 v[78:79], -v[51:52], v[78:79], v[104:105]
	v_fma_f64 v[63:64], -v[47:48], v[80:81], v[63:64]
	;; [unrolled: 1-line block ×4, first 2 shown]
	s_add_i32 s42, s49, 0xffffffa0
	v_fma_f64 v[57:58], -v[41:42], v[57:58], v[68:69]
	v_mov_b32_e32 v68, s42
	s_add_i32 s42, s49, 0xffffff90
	v_fma_f64 v[94:95], -v[45:46], v[76:77], v[78:79]
	v_mov_b32_e32 v76, s42
	s_waitcnt lgkmcnt(1)
	v_fma_f64 v[3:4], -v[15:16], v[102:103], v[3:4]
	s_sub_i32 s42, s48, 40
	v_fma_f64 v[63:64], -v[49:50], v[86:87], v[63:64]
	v_fma_f64 v[86:87], -v[31:32], v[92:93], v[80:81]
	v_mov_b32_e32 v80, s42
	v_mul_f64 v[37:38], v[70:71], v[88:89]
	ds_read2_b64 v[68:71], v68 offset1:1
	ds_read2_b64 v[76:79], v76 offset1:1
	ds_read2_b64 v[80:83], v80 offset1:1
	v_fma_f64 v[3:4], -v[19:20], v[100:101], v[3:4]
	s_sub_i32 s42, s48, 56
	s_sub_i32 s46, s8, 28
	s_waitcnt lgkmcnt(2)
	v_fma_f64 v[70:71], -v[33:34], v[70:71], v[86:87]
	v_mov_b32_e32 v86, s42
	ds_read2_b64 v[86:89], v86 offset1:1
	s_add_i32 s42, s44, 0xffffff68
	v_fma_f64 v[57:58], -v[37:38], v[74:75], v[57:58]
	s_waitcnt lgkmcnt(1)
	v_fma_f64 v[3:4], -v[21:22], v[82:83], v[3:4]
	v_fma_f64 v[82:83], -v[55:56], v[84:85], v[63:64]
	;; [unrolled: 1-line block ×3, first 2 shown]
	v_mov_b32_e32 v61, s42
	ds_read2_b64 v[61:64], v61 offset1:1
	v_fma_f64 v[84:85], -v[35:36], v[68:69], v[70:71]
	s_add_i32 s42, s44, 0xffffff58
	v_mov_b32_e32 v68, s42
	v_fma_f64 v[3:4], -v[17:18], v[80:81], v[3:4]
	s_waitcnt lgkmcnt(0)
	v_fma_f64 v[63:64], -v[53:54], v[63:64], v[82:83]
	s_add_i32 s42, s48, 0xffffffb8
	v_mul_f64 v[57:58], v[72:73], v[57:58]
	ds_read2_b64 v[68:71], v68 offset1:1
	v_fma_f64 v[82:83], -v[39:40], v[78:79], v[84:85]
	v_fma_f64 v[84:85], -v[37:38], v[59:60], v[74:75]
	v_mov_b32_e32 v59, s42
	v_fma_f64 v[3:4], -v[23:24], v[88:89], v[3:4]
	v_fma_f64 v[88:89], -v[51:52], v[61:62], v[63:64]
	ds_read2_b64 v[59:62], v59 offset1:1
	v_mov_b32_e32 v78, s41
	s_add_i32 s41, s49, 0xffffff80
	v_mov_b32_e32 v63, s41
	s_add_i32 s41, s48, 0xffffffa8
	v_mov_b32_e32 v64, s41
	v_fma_f64 v[3:4], -v[25:26], v[86:87], v[3:4]
	ds_read2_b64 v[72:75], v64 offset1:1
	ds_read2_b64 v[78:81], v78 offset1:1
	v_fma_f64 v[76:77], -v[43:44], v[76:77], v[82:83]
	s_add_i32 s41, s49, 0xffffff70
	s_addk_i32 s44, 0xff48
	v_add_u32_e32 v90, s26, v91
	s_lshl_b32 s26, s46, 3
	s_waitcnt lgkmcnt(2)
	v_fma_f64 v[3:4], -v[27:28], v[61:62], v[3:4]
	ds_read2_b64 v[61:64], v63 offset1:1
	s_waitcnt lgkmcnt(1)
	v_fma_f64 v[92:93], -v[57:58], v[80:81], v[84:85]
	v_mov_b32_e32 v80, s41
	s_lshl_b32 s41, s46, 9
	s_add_i32 s42, s41, s13
	s_waitcnt lgkmcnt(0)
	v_fma_f64 v[63:64], -v[47:48], v[63:64], v[76:77]
	s_add_i32 s50, s42, -16
	v_fma_f64 v[3:4], -v[29:30], v[59:60], v[3:4]
	v_mov_b32_e32 v59, s42
	ds_read_b64 v[76:77], v59
	v_fma_f64 v[70:71], -v[45:46], v[70:71], v[88:89]
	v_mov_b32_e32 v59, s50
	ds_read2_b64 v[80:83], v80 offset1:1
	v_fma_f64 v[63:64], -v[49:50], v[61:62], v[63:64]
	s_waitcnt lgkmcnt(1)
	v_fma_f64 v[1:2], -v[9:10], v[76:77], v[1:2]
	ds_read2_b64 v[59:62], v59 offset1:1
	v_fma_f64 v[3:4], -v[31:32], v[74:75], v[3:4]
	v_mov_b32_e32 v84, s44
	v_fma_f64 v[76:77], -v[41:42], v[68:69], v[70:71]
	s_add_i32 s44, s48, 0xffffff98
	s_add_i32 s26, s41, s26
	s_waitcnt lgkmcnt(1)
	v_fma_f64 v[94:95], -v[55:56], v[82:83], v[63:64]
	s_waitcnt lgkmcnt(0)
	v_fma_f64 v[68:69], -v[11:12], v[61:62], v[1:2]
	v_mov_b32_e32 v1, s44
	v_fma_f64 v[72:73], -v[33:34], v[72:73], v[3:4]
	s_add_i32 s44, s48, 0xffffff88
	v_mov_b32_e32 v61, s44
	s_sub_i32 s44, s42, 32
	ds_read2_b64 v[1:4], v1 offset1:1
	ds_read2_b64 v[61:64], v61 offset1:1
	v_fma_f64 v[80:81], -v[53:54], v[80:81], v[94:95]
	v_fma_f64 v[59:60], -v[15:16], v[59:60], v[68:69]
	v_mov_b32_e32 v68, s44
	ds_read2_b64 v[68:71], v68 offset1:1
	s_sub_i32 s44, s42, 48
	s_waitcnt lgkmcnt(2)
	v_fma_f64 v[3:4], -v[35:36], v[3:4], v[72:73]
	v_mov_b32_e32 v72, s44
	ds_read2_b64 v[72:75], v72 offset1:1
	s_add_i32 s44, s42, 0xffffffb0
	s_waitcnt lgkmcnt(1)
	v_fma_f64 v[59:60], -v[19:20], v[70:71], v[59:60]
	v_mov_b32_e32 v70, s43
	s_add_i32 s43, s49, 0xffffff60
	ds_read2_b64 v[82:85], v84 offset1:1
	ds_read2_b64 v[86:89], v70 offset1:1
	v_mov_b32_e32 v70, s43
	v_fma_f64 v[94:95], -v[39:40], v[1:2], v[3:4]
	ds_read2_b64 v[1:4], v70 offset1:1
	s_waitcnt lgkmcnt(2)
	v_fma_f64 v[76:77], -v[37:38], v[84:85], v[76:77]
	v_fma_f64 v[59:60], -v[21:22], v[68:69], v[59:60]
	s_add_i32 s43, s49, 0xffffff50
	v_mov_b32_e32 v68, s43
	s_waitcnt lgkmcnt(0)
	v_fma_f64 v[3:4], -v[51:52], v[3:4], v[80:81]
	s_sub_i32 s43, s42, 64
	v_fma_f64 v[63:64], -v[43:44], v[63:64], v[94:95]
	ds_read2_b64 v[68:71], v68 offset1:1
	v_fma_f64 v[80:81], -v[57:58], v[82:83], v[76:77]
	v_fma_f64 v[74:75], -v[17:18], v[74:75], v[59:60]
	ds_write_b64 v67, v[9:10]
	v_mul_f64 v[59:60], v[78:79], v[92:93]
	v_fma_f64 v[76:77], -v[45:46], v[1:2], v[3:4]
	v_mov_b32_e32 v1, s43
	ds_read2_b64 v[1:4], v1 offset1:1
	v_fma_f64 v[82:83], -v[47:48], v[61:62], v[63:64]
	v_mov_b32_e32 v61, s44
	v_fma_f64 v[72:73], -v[23:24], v[72:73], v[74:75]
	ds_read2_b64 v[61:64], v61 offset1:1
	s_add_i32 s43, s48, 0xffffff78
	v_fma_f64 v[88:89], -v[59:60], v[88:89], v[80:81]
	s_addk_i32 s49, 0xff40
	s_waitcnt lgkmcnt(1)
	v_fma_f64 v[3:4], -v[25:26], v[3:4], v[72:73]
	v_mov_b32_e32 v72, s43
	ds_read2_b64 v[72:75], v72 offset1:1
	v_fma_f64 v[70:71], -v[41:42], v[70:71], v[76:77]
	s_add_i32 s43, s48, 0xffffff68
	v_mov_b32_e32 v76, s43
	s_sub_i32 s43, s8, 29
	ds_read2_b64 v[76:79], v76 offset1:1
	v_fma_f64 v[1:2], -v[27:28], v[1:2], v[3:4]
	s_waitcnt lgkmcnt(1)
	v_fma_f64 v[74:75], -v[49:50], v[74:75], v[82:83]
	v_fma_f64 v[100:101], -v[37:38], v[68:69], v[70:71]
	;; [unrolled: 1-line block ×3, first 2 shown]
	v_mov_b32_e32 v1, s26
	s_lshl_b32 s26, s43, 9
	s_add_i32 s44, s26, s13
	s_add_i32 s46, s44, -8
	v_mov_b32_e32 v67, s46
	ds_read2_b64 v[1:4], v1 offset1:1
	ds_read2_b64 v[67:70], v67 offset1:1
	v_fma_f64 v[71:72], -v[55:56], v[72:73], v[74:75]
	s_add_i32 s46, s42, 0xffffffa0
	v_fma_f64 v[82:83], -v[31:32], v[61:62], v[63:64]
	v_mov_b32_e32 v61, s46
	s_waitcnt lgkmcnt(0)
	v_fma_f64 v[13:14], -v[9:10], v[69:70], v[13:14]
	s_add_i32 s46, s42, 0xffffff90
	v_mov_b32_e32 v69, s46
	s_sub_i32 s46, s44, 24
	v_fma_f64 v[73:74], -v[53:54], v[78:79], v[71:72]
	ds_read2_b64 v[61:64], v61 offset1:1
	ds_read2_b64 v[69:72], v69 offset1:1
	v_mov_b32_e32 v75, s49
	v_fma_f64 v[13:14], -v[11:12], v[67:68], v[13:14]
	v_mov_b32_e32 v67, s46
	ds_read2_b64 v[78:81], v67 offset1:1
	s_waitcnt lgkmcnt(2)
	v_fma_f64 v[63:64], -v[33:34], v[63:64], v[82:83]
	s_sub_i32 s46, s44, 40
	v_mov_b32_e32 v67, s46
	ds_read2_b64 v[82:85], v67 offset1:1
	v_mov_b32_e32 v67, s45
	s_waitcnt lgkmcnt(1)
	v_fma_f64 v[13:14], -v[15:16], v[80:81], v[13:14]
	ds_read2_b64 v[92:95], v75 offset1:1
	ds_read2_b64 v[96:99], v67 offset1:1
	v_fma_f64 v[67:68], -v[51:52], v[76:77], v[73:74]
	v_fma_f64 v[80:81], -v[35:36], v[61:62], v[63:64]
	s_add_i32 s45, s48, 0xffffff58
	v_mov_b32_e32 v73, s45
	ds_read2_b64 v[61:64], v73 offset1:1
	s_add_i32 s45, s48, 0xffffff48
	v_fma_f64 v[13:14], -v[19:20], v[78:79], v[13:14]
	s_waitcnt lgkmcnt(2)
	v_fma_f64 v[77:78], -v[57:58], v[94:95], v[100:101]
	v_mov_b32_e32 v73, s45
	s_waitcnt lgkmcnt(0)
	v_fma_f64 v[63:64], -v[45:46], v[63:64], v[67:68]
	v_fma_f64 v[67:68], -v[39:40], v[71:72], v[80:81]
	s_add_i32 s45, s44, 0xffffffb8
	ds_write_b64 v90, v[11:12]
	ds_read2_b64 v[73:76], v73 offset1:1
	v_fma_f64 v[71:72], -v[21:22], v[84:85], v[13:14]
	v_add_u32_e32 v13, s21, v91
	s_sub_i32 s21, s44, 56
	ds_write_b64 v13, v[15:16]
	v_mul_f64 v[13:14], v[86:87], v[88:89]
	v_fma_f64 v[87:88], -v[41:42], v[61:62], v[63:64]
	v_mov_b32_e32 v61, s21
	ds_read2_b64 v[61:64], v61 offset1:1
	v_fma_f64 v[71:72], -v[17:18], v[82:83], v[71:72]
	v_fma_f64 v[89:90], -v[43:44], v[69:70], v[67:68]
	v_mov_b32_e32 v67, s45
	ds_read2_b64 v[67:70], v67 offset1:1
	s_add_i32 s21, s42, 0xffffff80
	v_fma_f64 v[85:86], -v[59:60], v[92:93], v[77:78]
	v_add_u32_e32 v92, s20, v91
	s_add_i32 s20, s42, 0xffffff70
	s_waitcnt lgkmcnt(1)
	v_fma_f64 v[63:64], -v[23:24], v[63:64], v[71:72]
	v_mov_b32_e32 v71, s21
	ds_read2_b64 v[77:80], v71 offset1:1
	v_mov_b32_e32 v71, s20
	ds_read2_b64 v[81:84], v71 offset1:1
	s_add_i32 s20, s48, 0xffffff38
	s_sub_i32 s21, s8, 30
	s_waitcnt lgkmcnt(1)
	v_fma_f64 v[71:72], -v[47:48], v[79:80], v[89:90]
	v_fma_f64 v[61:62], -v[25:26], v[61:62], v[63:64]
	v_add_u32_e32 v79, s23, v91
	ds_write_b64 v79, v[21:22]
	v_fma_f64 v[63:64], -v[13:14], v[98:99], v[85:86]
	v_add_u32_e32 v98, s24, v91
	s_add_i32 s24, s44, 0xffffffa8
	ds_write_b64 v92, v[19:20]
	v_fma_f64 v[77:78], -v[49:50], v[77:78], v[71:72]
	v_fma_f64 v[79:80], -v[27:28], v[69:70], v[61:62]
	v_mov_b32_e32 v69, s20
	ds_read2_b64 v[69:72], v69 offset1:1
	v_fma_f64 v[75:76], -v[37:38], v[75:76], v[87:88]
	s_lshl_b32 s20, s21, 9
	s_add_i32 s23, s20, s13
	v_mul_f64 v[61:62], v[96:97], v[63:64]
	s_waitcnt lgkmcnt(3)
	v_fma_f64 v[83:84], -v[55:56], v[83:84], v[77:78]
	s_add_i32 s45, s23, -16
	v_fma_f64 v[67:68], -v[29:30], v[67:68], v[79:80]
	s_lshl_b32 s46, s47, 3
	v_fma_f64 v[63:64], -v[57:58], v[73:74], v[75:76]
	v_mov_b32_e32 v73, s23
	ds_read_b64 v[77:78], v73
	v_mov_b32_e32 v73, s45
	ds_read2_b64 v[73:76], v73 offset1:1
	v_fma_f64 v[89:90], -v[53:54], v[81:82], v[83:84]
	s_sub_i32 s45, s8, 31
	s_waitcnt lgkmcnt(1)
	v_fma_f64 v[7:8], -v[9:10], v[77:78], v[7:8]
	v_mov_b32_e32 v77, s24
	ds_read2_b64 v[77:80], v77 offset1:1
	s_add_i32 s24, s44, 0xffffff98
	v_mov_b32_e32 v81, s24
	s_add_i32 s24, s42, 0xffffff60
	ds_read2_b64 v[81:84], v81 offset1:1
	s_waitcnt lgkmcnt(1)
	v_fma_f64 v[67:68], -v[31:32], v[79:80], v[67:68]
	v_fma_f64 v[7:8], -v[11:12], v[75:76], v[7:8]
	v_mov_b32_e32 v75, s24
	s_add_i32 s24, s42, 0xffffff50
	v_mov_b32_e32 v76, s24
	s_sub_i32 s24, s23, 32
	ds_read2_b64 v[85:88], v75 offset1:1
	ds_read2_b64 v[92:95], v76 offset1:1
	s_add_i32 s46, s40, s46
	v_fma_f64 v[67:68], -v[33:34], v[77:78], v[67:68]
	v_fma_f64 v[7:8], -v[15:16], v[73:74], v[7:8]
	v_mov_b32_e32 v73, s24
	ds_read2_b64 v[73:76], v73 offset1:1
	s_sub_i32 s24, s23, 48
	v_mov_b32_e32 v77, s24
	ds_read2_b64 v[77:80], v77 offset1:1
	s_lshl_b32 s24, s45, 9
	s_add_i32 s13, s24, s13
	s_waitcnt lgkmcnt(1)
	v_fma_f64 v[7:8], -v[19:20], v[75:76], v[7:8]
	v_fma_f64 v[67:68], -v[35:36], v[83:84], v[67:68]
	s_add_i32 s47, s13, -8
	v_mov_b32_e32 v75, s47
	v_fma_f64 v[96:97], -v[51:52], v[87:88], v[89:90]
	ds_read2_b64 v[87:90], v75 offset1:1
	s_sub_i32 s47, s13, 24
	v_fma_f64 v[63:64], -v[59:60], v[71:72], v[63:64]
	v_fma_f64 v[7:8], -v[21:22], v[73:74], v[7:8]
	;; [unrolled: 1-line block ×3, first 2 shown]
	s_waitcnt lgkmcnt(0)
	v_fma_f64 v[9:10], -v[9:10], v[89:90], v[5:6]
	v_mov_b32_e32 v73, s47
	s_add_i32 s47, s44, 0xffffff88
	v_mov_b32_e32 v5, s47
	s_add_i32 s47, s44, 0xffffff78
	ds_read2_b64 v[73:76], v73 offset1:1
	v_fma_f64 v[79:80], -v[17:18], v[79:80], v[7:8]
	ds_read2_b64 v[5:8], v5 offset1:1
	v_fma_f64 v[81:82], -v[11:12], v[87:88], v[9:10]
	v_mov_b32_e32 v9, s47
	ds_read2_b64 v[9:12], v9 offset1:1
	s_sub_i32 s47, s23, 64
	s_waitcnt lgkmcnt(1)
	v_fma_f64 v[7:8], -v[43:44], v[7:8], v[67:68]
	v_fma_f64 v[85:86], -v[45:46], v[85:86], v[96:97]
	;; [unrolled: 1-line block ×3, first 2 shown]
	v_mov_b32_e32 v77, s47
	ds_read2_b64 v[77:80], v77 offset1:1
	v_fma_f64 v[15:16], -v[15:16], v[75:76], v[81:82]
	s_add_i32 s47, s23, 0xffffffb0
	v_mov_b32_e32 v75, s47
	s_sub_i32 s47, s13, 40
	ds_read2_b64 v[81:84], v75 offset1:1
	s_waitcnt lgkmcnt(1)
	v_fma_f64 v[67:68], -v[25:26], v[79:80], v[67:68]
	v_fma_f64 v[79:80], -v[41:42], v[94:95], v[85:86]
	;; [unrolled: 1-line block ×4, first 2 shown]
	v_mov_b32_e32 v5, s47
	ds_read2_b64 v[5:8], v5 offset1:1
	s_sub_i32 s47, s13, 56
	v_mov_b32_e32 v19, s47
	v_fma_f64 v[67:68], -v[27:28], v[77:78], v[67:68]
	ds_read2_b64 v[73:76], v19 offset1:1
	v_fma_f64 v[11:12], -v[49:50], v[11:12], v[85:86]
	s_waitcnt lgkmcnt(1)
	v_fma_f64 v[7:8], -v[21:22], v[7:8], v[15:16]
	v_mov_b32_e32 v15, s46
	ds_read2_b64 v[19:22], v15 offset1:1
	s_add_i32 s47, s23, 0xffffffa0
	s_add_i32 s46, s42, 0xffffff40
	v_fma_f64 v[15:16], -v[29:30], v[83:84], v[67:68]
	v_mov_b32_e32 v87, s46
	v_fma_f64 v[83:84], -v[55:56], v[9:10], v[11:12]
	v_fma_f64 v[71:72], -v[17:18], v[5:6], v[7:8]
	v_mov_b32_e32 v5, s47
	ds_read2_b64 v[5:8], v5 offset1:1
	s_add_i32 s47, s23, 0xffffff90
	v_mov_b32_e32 v9, s47
	v_fma_f64 v[15:16], -v[31:32], v[81:82], v[15:16]
	ds_read2_b64 v[9:12], v9 offset1:1
	s_add_i32 s46, s44, 0xffffff68
	s_waitcnt lgkmcnt(3)
	v_fma_f64 v[71:72], -v[23:24], v[75:76], v[71:72]
	s_add_i32 s47, s13, 0xffffffb8
	s_addk_i32 s42, 0xff30
	v_fma_f64 v[67:68], -v[37:38], v[92:93], v[79:80]
	ds_write_b64 v98, v[17:18]
	s_waitcnt lgkmcnt(2)
	v_fma_f64 v[7:8], -v[33:34], v[7:8], v[15:16]
	v_mov_b32_e32 v15, s46
	ds_read2_b64 v[75:78], v15 offset1:1
	v_fma_f64 v[15:16], -v[25:26], v[73:74], v[71:72]
	v_mov_b32_e32 v71, s47
	ds_read2_b64 v[71:74], v71 offset1:1
	s_add_i32 s47, s13, 0xffffffa8
	s_waitcnt lgkmcnt(1)
	v_fma_f64 v[77:78], -v[53:54], v[77:78], v[83:84]
	v_fma_f64 v[85:86], -v[35:36], v[5:6], v[7:8]
	v_mov_b32_e32 v5, s47
	ds_read2_b64 v[5:8], v5 offset1:1
	s_add_i32 s46, s44, 0xffffff58
	v_fma_f64 v[11:12], -v[39:40], v[11:12], v[85:86]
	ds_read2_b64 v[83:86], v87 offset1:1
	s_waitcnt lgkmcnt(2)
	v_fma_f64 v[15:16], -v[27:28], v[73:74], v[15:16]
	v_mov_b32_e32 v73, s46
	ds_read2_b64 v[79:82], v73 offset1:1
	v_mov_b32_e32 v73, s42
	s_add_i32 s42, s23, 0xffffff80
	s_waitcnt lgkmcnt(1)
	v_fma_f64 v[67:68], -v[57:58], v[85:86], v[67:68]
	v_fma_f64 v[87:88], -v[43:44], v[9:10], v[11:12]
	v_mov_b32_e32 v9, s42
	v_fma_f64 v[15:16], -v[29:30], v[71:72], v[15:16]
	ds_read2_b64 v[9:12], v9 offset1:1
	s_add_i32 s42, s23, 0xffffff70
	v_fma_f64 v[85:86], -v[51:52], v[75:76], v[77:78]
	ds_read2_b64 v[71:74], v73 offset1:1
	s_waitcnt lgkmcnt(1)
	v_fma_f64 v[11:12], -v[47:48], v[11:12], v[87:88]
	v_fma_f64 v[7:8], -v[31:32], v[7:8], v[15:16]
	v_mov_b32_e32 v15, s42
	ds_read2_b64 v[75:78], v15 offset1:1
	v_fma_f64 v[15:16], -v[13:14], v[69:70], v[63:64]
	s_add_i32 s42, s13, 0xffffff98
	v_fma_f64 v[63:64], -v[59:60], v[83:84], v[67:68]
	v_fma_f64 v[67:68], -v[45:46], v[81:82], v[85:86]
	;; [unrolled: 1-line block ×4, first 2 shown]
	v_mov_b32_e32 v5, s42
	ds_read2_b64 v[5:8], v5 offset1:1
	s_add_i32 s42, s13, 0xffffff88
	v_mov_b32_e32 v9, s42
	ds_read2_b64 v[9:12], v9 offset1:1
	s_waitcnt lgkmcnt(3)
	v_fma_f64 v[63:64], -v[13:14], v[73:74], v[63:64]
	v_fma_f64 v[73:74], -v[41:42], v[79:80], v[67:68]
	s_waitcnt lgkmcnt(1)
	v_fma_f64 v[7:8], -v[35:36], v[7:8], v[69:70]
	v_fma_f64 v[67:68], -v[55:56], v[77:78], v[81:82]
	v_add_u32_e32 v83, s12, v91
	s_add_i32 s12, s44, 0xffffff48
	v_fma_f64 v[21:22], -v[61:62], v[21:22], v[15:16]
	v_fma_f64 v[69:70], -v[39:40], v[5:6], v[7:8]
	v_mov_b32_e32 v5, s12
	s_add_i32 s12, s44, 0xffffff38
	v_mov_b32_e32 v15, s12
	ds_read2_b64 v[5:8], v5 offset1:1
	ds_read2_b64 v[15:18], v15 offset1:1
	v_fma_f64 v[77:78], -v[53:54], v[75:76], v[67:68]
	s_add_i32 s12, s23, 0xffffff60
	v_mov_b32_e32 v67, s12
	s_waitcnt lgkmcnt(2)
	v_fma_f64 v[11:12], -v[43:44], v[11:12], v[69:70]
	s_waitcnt lgkmcnt(1)
	v_fma_f64 v[79:80], -v[37:38], v[7:8], v[73:74]
	s_add_i32 s12, s23, 0xffffff50
	v_mov_b32_e32 v7, s12
	s_add_i32 s12, s13, 0xffffff78
	ds_read2_b64 v[67:70], v67 offset1:1
	ds_read2_b64 v[73:76], v7 offset1:1
	v_mov_b32_e32 v7, s12
	v_fma_f64 v[11:12], -v[47:48], v[9:10], v[11:12]
	ds_read2_b64 v[7:10], v7 offset1:1
	s_add_i32 s12, s13, 0xffffff68
	s_waitcnt lgkmcnt(2)
	v_fma_f64 v[69:70], -v[51:52], v[69:70], v[77:78]
	v_mov_b32_e32 v77, s12
	v_fma_f64 v[5:6], -v[57:58], v[5:6], v[79:80]
	ds_read2_b64 v[77:80], v77 offset1:1
	v_mul_f64 v[81:82], v[19:20], v[21:22]
	s_waitcnt lgkmcnt(1)
	v_fma_f64 v[9:10], -v[49:50], v[9:10], v[11:12]
	v_fma_f64 v[19:20], -v[61:62], v[71:72], v[63:64]
	ds_write_b64 v83, v[23:24]
	v_fma_f64 v[11:12], -v[45:46], v[67:68], v[69:70]
	s_add_i32 s12, s13, 0xffffff28
	v_fma_f64 v[5:6], -v[59:60], v[17:18], v[5:6]
	v_add_u32_e32 v17, s11, v91
	s_add_i32 s11, s44, 0xffffff28
	v_fma_f64 v[7:8], -v[55:56], v[7:8], v[9:10]
	ds_write_b64 v17, v[25:26]
	v_mov_b32_e32 v25, s11
	v_fma_f64 v[9:10], -v[41:42], v[75:76], v[11:12]
	v_add_u32_e32 v11, s14, v91
	ds_write_b64 v11, v[27:28]
	v_fma_f64 v[27:28], -v[13:14], v[15:16], v[5:6]
	v_fma_f64 v[11:12], -v[81:82], v[3:4], v[19:20]
	s_waitcnt lgkmcnt(3)
	v_fma_f64 v[15:16], -v[53:54], v[79:80], v[7:8]
	s_add_i32 s11, s23, 0xffffff40
	v_mov_b32_e32 v3, s11
	v_fma_f64 v[19:20], -v[37:38], v[73:74], v[9:10]
	s_add_i32 s11, s23, 0xffffff30
	v_mov_b32_e32 v7, s11
	s_add_i32 s11, s13, 0xffffff58
	ds_read2_b64 v[3:6], v3 offset1:1
	ds_read2_b64 v[7:10], v7 offset1:1
	v_fma_f64 v[23:24], -v[51:52], v[77:78], v[15:16]
	v_mov_b32_e32 v15, s11
	ds_read2_b64 v[15:18], v15 offset1:1
	s_add_i32 s11, s13, 0xffffff48
	s_waitcnt lgkmcnt(2)
	v_fma_f64 v[5:6], -v[57:58], v[5:6], v[19:20]
	v_mov_b32_e32 v19, s11
	ds_read2_b64 v[19:22], v19 offset1:1
	s_lshl_b32 s11, s43, 3
	s_waitcnt lgkmcnt(1)
	v_fma_f64 v[17:18], -v[45:46], v[17:18], v[23:24]
	ds_read2_b64 v[23:26], v25 offset1:1
	s_add_i32 s11, s26, s11
	v_mov_b32_e32 v63, s11
	v_fma_f64 v[3:4], -v[59:60], v[3:4], v[5:6]
	ds_read2_b64 v[67:70], v63 offset1:1
	s_waitcnt lgkmcnt(1)
	v_fma_f64 v[25:26], -v[61:62], v[25:26], v[27:28]
	v_mul_f64 v[27:28], v[1:2], v[11:12]
	v_fma_f64 v[5:6], -v[41:42], v[15:16], v[17:18]
	s_add_i32 s11, s13, 0xffffff38
	v_add_u32_e32 v15, s15, v91
	ds_write_b64 v15, v[29:30]
	v_fma_f64 v[3:4], -v[13:14], v[9:10], v[3:4]
	v_add_u32_e32 v9, s17, v91
	v_fma_f64 v[1:2], -v[81:82], v[23:24], v[25:26]
	ds_write_b64 v9, v[33:34]
	v_fma_f64 v[5:6], -v[37:38], v[21:22], v[5:6]
	v_add_u32_e32 v9, s18, v91
	ds_write_b64 v9, v[35:36]
	v_add_u32_e32 v15, s16, v91
	v_fma_f64 v[23:24], -v[61:62], v[7:8], v[3:4]
	ds_write_b64 v15, v[31:32]
	s_waitcnt lgkmcnt(4)
	v_fma_f64 v[21:22], -v[27:28], v[69:70], v[1:2]
	v_mov_b32_e32 v1, s11
	v_fma_f64 v[9:10], -v[57:58], v[19:20], v[5:6]
	ds_read2_b64 v[1:4], v1 offset1:1
	v_mov_b32_e32 v5, s12
	ds_read2_b64 v[5:8], v5 offset1:1
	s_add_i32 s11, s23, 0xffffff20
	v_add_u32_e32 v25, s19, v91
	v_mul_f64 v[19:20], v[67:68], v[21:22]
	ds_write_b64 v25, v[39:40]
	s_waitcnt lgkmcnt(2)
	v_fma_f64 v[3:4], -v[59:60], v[3:4], v[9:10]
	v_mov_b32_e32 v9, s11
	ds_read2_b64 v[9:12], v9 offset1:1
	s_lshl_b32 s11, s21, 3
	s_add_i32 s11, s20, s11
	v_mov_b32_e32 v15, s11
	ds_read2_b64 v[15:18], v15 offset1:1
	s_waitcnt lgkmcnt(1)
	v_fma_f64 v[11:12], -v[81:82], v[11:12], v[23:24]
	v_fma_f64 v[1:2], -v[13:14], v[1:2], v[3:4]
	v_add_u32_e32 v3, s25, v91
	ds_write_b64 v3, v[43:44]
	v_add_u32_e32 v3, s27, v91
	ds_write_b64 v3, v[47:48]
	s_add_i32 s11, s13, 0xffffff18
	v_fma_f64 v[3:4], -v[27:28], v[9:10], v[11:12]
	v_fma_f64 v[1:2], -v[61:62], v[7:8], v[1:2]
	v_add_u32_e32 v7, s28, v91
	ds_write_b64 v7, v[49:50]
	v_add_u32_e32 v7, s29, v91
	ds_write_b64 v7, v[55:56]
	v_add_u32_e32 v7, s30, v91
	ds_write_b64 v7, v[53:54]
	s_waitcnt lgkmcnt(5)
	v_fma_f64 v[9:10], -v[19:20], v[17:18], v[3:4]
	v_fma_f64 v[11:12], -v[81:82], v[5:6], v[1:2]
	v_mov_b32_e32 v1, s11
	ds_read2_b64 v[1:4], v1 offset1:1
	s_lshl_b32 s11, s45, 3
	s_add_i32 s11, s24, s11
	v_mov_b32_e32 v5, s11
	ds_read2_b64 v[5:8], v5 offset1:1
	v_mul_f64 v[9:10], v[15:16], v[9:10]
	s_waitcnt lgkmcnt(1)
	v_fma_f64 v[3:4], -v[27:28], v[3:4], v[11:12]
	v_add_u32_e32 v11, s31, v91
	ds_write_b64 v11, v[51:52]
	v_add_u32_e32 v11, s33, v91
	ds_write_b64 v11, v[45:46]
	v_add_u32_e32 v11, s34, v91
	s_mov_b32 s11, 31
	s_cmp_gt_i32 s8, 62
	v_fma_f64 v[1:2], -v[19:20], v[1:2], v[3:4]
	v_add_u32_e32 v3, s35, v91
	ds_write_b64 v3, v[37:38]
	v_add_u32_e32 v3, s36, v91
	ds_write_b64 v3, v[57:58]
	;; [unrolled: 2-line block ×3, first 2 shown]
	v_add_u32_e32 v3, s38, v91
	s_waitcnt lgkmcnt(5)
	v_fma_f64 v[1:2], -v[9:10], v[7:8], v[1:2]
	ds_write_b64 v3, v[13:14]
	v_add_u32_e32 v3, s39, v91
	ds_write_b64 v3, v[61:62]
	v_add_u32_e32 v3, s40, v91
	;; [unrolled: 2-line block ×3, first 2 shown]
	ds_write_b64 v3, v[27:28]
	v_mul_f64 v[1:2], v[5:6], v[1:2]
	v_add_u32_e32 v3, s26, v91
	ds_write_b64 v3, v[19:20]
	v_add_u32_e32 v3, s20, v91
	ds_write_b64 v3, v[9:10]
	;; [unrolled: 2-line block ×3, first 2 shown]
	ds_write_b64 v3, v[1:2]
	s_cbranch_scc0 .LBB109_16
.LBB109_13:                             ; =>This Loop Header: Depth=1
                                        ;     Child Loop BB109_15 Depth 2
	s_mov_b32 s8, s11
	s_lshl_b32 s11, s11, 9
	v_add_u32_e32 v67, s11, v91
	v_add_u32_e32 v1, 0xfffffe00, v67
	v_add_u32_e32 v3, 0xfffffa00, v67
	v_add_u32_e32 v2, 0xfffffc00, v67
	ds_read_b64 v[9:10], v67
	ds_read_b64 v[63:64], v1
	ds_read_b64 v[11:12], v2
	ds_read_b64 v[19:20], v3
	v_add_u32_e32 v1, 0xfffff800, v67
	v_add_u32_e32 v3, 0xfffff400, v67
	v_add_u32_e32 v4, 0xfffff200, v67
	v_add_u32_e32 v2, 0xfffff600, v67
	ds_read_b64 v[15:16], v1
	ds_read_b64 v[61:62], v2
	ds_read_b64 v[21:22], v3
	ds_read_b64 v[17:18], v4
	;; [unrolled: 8-line block ×8, first 2 shown]
	s_cmp_le_i32 s4, s8
	s_cbranch_scc1 .LBB109_12
; %bb.14:                               ;   in Loop: Header=BB109_13 Depth=1
	s_add_i32 s11, s5, s11
	v_mov_b32_e32 v68, v66
	s_mov_b32 s12, s4
.LBB109_15:                             ;   Parent Loop BB109_13 Depth=1
                                        ; =>  This Inner Loop Header: Depth=2
	v_mov_b32_e32 v132, s11
	ds_read_b64 v[89:90], v68
	ds_read2st64_b64 v[69:72], v132 offset0:30 offset1:31
	ds_read2st64_b64 v[73:76], v132 offset0:28 offset1:29
	;; [unrolled: 1-line block ×15, first 2 shown]
	ds_read2st64_b64 v[132:135], v132 offset1:1
	s_add_i32 s12, s12, -1
	s_add_i32 s11, s11, -8
	s_cmp_gt_i32 s12, s8
	s_waitcnt lgkmcnt(14)
	v_fma_f64 v[9:10], -v[89:90], v[71:72], v[9:10]
	v_fma_f64 v[63:64], -v[89:90], v[69:70], v[63:64]
	;; [unrolled: 1-line block ×4, first 2 shown]
	s_waitcnt lgkmcnt(13)
	v_fma_f64 v[15:16], -v[89:90], v[79:80], v[15:16]
	v_fma_f64 v[61:62], -v[89:90], v[77:78], v[61:62]
	s_waitcnt lgkmcnt(12)
	v_fma_f64 v[21:22], -v[89:90], v[83:84], v[21:22]
	v_fma_f64 v[17:18], -v[89:90], v[81:82], v[17:18]
	;; [unrolled: 3-line block ×14, first 2 shown]
	v_add_u32_e32 v68, 0xfffffe00, v68
	s_cbranch_scc1 .LBB109_15
	s_branch .LBB109_12
.LBB109_16:
	s_sub_i32 s5, s8, 32
.LBB109_17:
	s_cmp_gt_i32 s5, -1
	s_cbranch_scc0 .LBB109_42
; %bb.18:
	s_cmp_lt_u32 s5, 3
	s_cbranch_scc1 .LBB109_24
; %bb.19:
	s_lshl_b32 s8, s5, 9
	s_lshl_b32 s11, s22, 3
	v_lshl_or_b32 v1, s22, 9, v65
	s_add_i32 s8, s8, s11
	v_add_u32_e32 v9, 0x7e00, v1
	s_addk_i32 s8, 0xf9f8
.LBB109_20:                             ; =>This Loop Header: Depth=1
                                        ;     Child Loop BB109_21 Depth 2
	v_lshl_add_u32 v10, s5, 9, v91
	v_add_u32_e32 v1, 0xfffffe00, v10
	v_add_u32_e32 v2, 0xfffffc00, v10
	;; [unrolled: 1-line block ×3, first 2 shown]
	ds_read_b64 v[7:8], v10
	ds_read_b64 v[5:6], v1
	;; [unrolled: 1-line block ×4, first 2 shown]
	s_cmp_le_i32 s4, s5
	s_mov_b32 s11, s8
	v_mov_b32_e32 v11, v9
	s_mov_b32 s12, s4
	s_cbranch_scc1 .LBB109_22
.LBB109_21:                             ;   Parent Loop BB109_20 Depth=1
                                        ; =>  This Inner Loop Header: Depth=2
	v_mov_b32_e32 v16, s11
	ds_read_b64 v[20:21], v11
	ds_read2st64_b64 v[12:15], v16 offset0:2 offset1:3
	ds_read2st64_b64 v[16:19], v16 offset1:1
	s_add_i32 s12, s12, -1
	s_add_i32 s11, s11, -8
	s_cmp_gt_i32 s12, s5
	s_waitcnt lgkmcnt(1)
	v_fma_f64 v[7:8], -v[20:21], v[14:15], v[7:8]
	v_fma_f64 v[5:6], -v[20:21], v[12:13], v[5:6]
	s_waitcnt lgkmcnt(0)
	v_fma_f64 v[3:4], -v[20:21], v[18:19], v[3:4]
	v_fma_f64 v[1:2], -v[20:21], v[16:17], v[1:2]
	v_add_u32_e32 v11, 0xfffffe00, v11
	s_cbranch_scc1 .LBB109_21
.LBB109_22:                             ;   in Loop: Header=BB109_20 Depth=1
	s_mul_i32 s11, s5, 0x208
	v_mov_b32_e32 v11, s11
	ds_read_b64 v[15:16], v11
	s_add_i32 s11, s5, -1
	s_lshl_b32 s12, s11, 9
	s_lshl_b32 s11, s11, 3
	s_add_i32 s11, s12, s11
	s_waitcnt lgkmcnt(0)
	v_mul_f64 v[19:20], v[15:16], v[7:8]
	v_mov_b32_e32 v11, s11
	ds_read2_b64 v[11:14], v11 offset1:1
	s_add_i32 s11, s5, -2
	s_lshl_b32 s13, s5, 3
	s_lshl_b32 s15, s11, 9
	s_add_i32 s16, s15, s13
	s_lshl_b32 s11, s11, 3
	s_waitcnt lgkmcnt(0)
	v_fma_f64 v[13:14], -v[19:20], v[13:14], v[5:6]
	v_mov_b32_e32 v5, s16
	ds_read_b64 v[15:16], v5
	s_add_i32 s14, s5, -3
	s_add_i32 s11, s15, s11
	v_mov_b32_e32 v5, s11
	s_lshl_b32 s11, s14, 9
	s_waitcnt lgkmcnt(0)
	v_fma_f64 v[3:4], -v[19:20], v[15:16], v[3:4]
	v_mul_f64 v[21:22], v[11:12], v[13:14]
	s_add_i32 s13, s11, s13
	s_add_i32 s13, s13, -8
	v_mov_b32_e32 v11, s13
	ds_read2_b64 v[5:8], v5 offset1:1
	ds_read2_b64 v[11:14], v11 offset1:1
	s_lshl_b32 s14, s14, 3
	s_add_i32 s13, s11, s14
	s_addk_i32 s8, 0xf800
	s_waitcnt lgkmcnt(1)
	v_fma_f64 v[3:4], -v[21:22], v[7:8], v[3:4]
	s_waitcnt lgkmcnt(0)
	v_fma_f64 v[1:2], -v[19:20], v[13:14], v[1:2]
	v_mov_b32_e32 v7, s13
	ds_read2_b64 v[15:18], v7 offset1:1
	ds_write_b64 v10, v[19:20]
	v_mul_f64 v[3:4], v[5:6], v[3:4]
	v_fma_f64 v[1:2], -v[21:22], v[11:12], v[1:2]
	v_add_u32_e32 v5, s12, v91
	ds_write_b64 v5, v[21:22]
	v_add_u32_e32 v5, s15, v91
	ds_write_b64 v5, v[3:4]
	s_waitcnt lgkmcnt(3)
	v_fma_f64 v[1:2], -v[3:4], v[17:18], v[1:2]
	v_add_u32_e32 v3, s11, v91
	s_add_i32 s11, s5, -4
	s_cmp_gt_i32 s5, 6
	v_mul_f64 v[1:2], v[15:16], v[1:2]
	ds_write_b64 v3, v[1:2]
	s_cbranch_scc0 .LBB109_25
; %bb.23:                               ;   in Loop: Header=BB109_20 Depth=1
	s_mov_b32 s5, s11
	s_branch .LBB109_20
.LBB109_24:
	s_mov_b32 s11, s5
.LBB109_25:
	s_cmp_lt_i32 s11, 0
	s_cbranch_scc1 .LBB109_42
; %bb.26:
	s_and_b32 s5, s11, 3
	s_cmp_eq_u32 s5, 3
	s_mov_b32 s5, s11
	s_cbranch_scc1 .LBB109_31
; %bb.27:
	s_add_i32 s5, s11, 1
	s_and_b32 s8, s5, 3
	s_lshl_b32 s5, s11, 9
	s_lshl_b32 s12, s22, 3
	s_add_i32 s5, s5, s12
	v_lshl_or_b32 v1, s22, 9, v65
	s_add_i32 s12, s5, -8
	v_add_u32_e32 v3, 0x7e00, v1
	s_mov_b32 s13, 0
	s_mov_b32 s5, s11
	s_branch .LBB109_29
.LBB109_28:                             ;   in Loop: Header=BB109_29 Depth=1
	s_mul_i32 s14, s5, 0x208
	v_mov_b32_e32 v5, s14
	ds_read_b64 v[5:6], v5
	s_add_i32 s5, s5, -1
	s_add_i32 s13, s13, 1
	s_addk_i32 s12, 0xfe00
	s_cmp_lg_u32 s13, s8
	s_waitcnt lgkmcnt(0)
	v_mul_f64 v[1:2], v[5:6], v[1:2]
	ds_write_b64 v4, v[1:2]
	s_cbranch_scc0 .LBB109_31
.LBB109_29:                             ; =>This Loop Header: Depth=1
                                        ;     Child Loop BB109_30 Depth 2
	s_lshl_b32 s14, s5, 9
	v_add_u32_e32 v4, s14, v91
	ds_read_b64 v[1:2], v4
	s_cmp_le_i32 s4, s5
	v_mov_b32_e32 v5, v3
	s_mov_b32 s14, s12
	s_mov_b32 s15, s4
	s_cbranch_scc1 .LBB109_28
.LBB109_30:                             ;   Parent Loop BB109_29 Depth=1
                                        ; =>  This Inner Loop Header: Depth=2
	v_mov_b32_e32 v8, s14
	ds_read_b64 v[6:7], v5
	ds_read_b64 v[8:9], v8
	s_add_i32 s15, s15, -1
	s_add_i32 s14, s14, -8
	s_cmp_gt_i32 s15, s5
	v_add_u32_e32 v5, 0xfffffe00, v5
	s_waitcnt lgkmcnt(0)
	v_fma_f64 v[1:2], -v[6:7], v[8:9], v[1:2]
	s_cbranch_scc1 .LBB109_30
	s_branch .LBB109_28
.LBB109_31:
	s_cmp_lt_u32 s11, 3
	s_cbranch_scc1 .LBB109_42
; %bb.32:
	s_lshl_b32 s8, s5, 9
	s_lshl_b32 s11, s22, 3
	s_add_i32 s13, s8, s11
	v_lshl_or_b32 v1, s22, 9, v65
	s_add_i32 s8, s13, -8
	v_add_u32_e32 v5, 0x7e00, v1
	s_add_i32 s11, s13, 0xfffffdf8
	s_add_i32 s12, s13, 0xfffffbf8
	s_addk_i32 s13, 0xf9f8
	s_branch .LBB109_34
.LBB109_33:                             ;   in Loop: Header=BB109_34 Depth=1
	s_addk_i32 s14, 0xfdf8
	v_mov_b32_e32 v3, s14
	ds_read_b64 v[3:4], v3
	s_add_i32 s14, s5, -4
	s_addk_i32 s8, 0xf800
	s_addk_i32 s11, 0xf800
	;; [unrolled: 1-line block ×3, first 2 shown]
	s_waitcnt lgkmcnt(0)
	v_mul_f64 v[1:2], v[3:4], v[1:2]
	s_addk_i32 s13, 0xf800
	s_cmp_lt_i32 s5, 4
	s_mov_b32 s5, s14
	ds_write_b64 v6, v[1:2]
	s_cbranch_scc1 .LBB109_42
.LBB109_34:                             ; =>This Loop Header: Depth=1
                                        ;     Child Loop BB109_35 Depth 2
                                        ;     Child Loop BB109_37 Depth 2
	;; [unrolled: 1-line block ×4, first 2 shown]
	s_lshl_b32 s15, s5, 9
	v_add_u32_e32 v7, s15, v91
	ds_read_b64 v[3:4], v7
	s_cmp_le_i32 s4, s5
	v_mov_b32_e32 v1, v5
	s_mov_b32 s14, s8
	s_mov_b32 s16, s4
	s_cbranch_scc1 .LBB109_36
.LBB109_35:                             ;   Parent Loop BB109_34 Depth=1
                                        ; =>  This Inner Loop Header: Depth=2
	v_mov_b32_e32 v2, s14
	ds_read_b64 v[8:9], v1
	ds_read_b64 v[10:11], v2
	s_add_i32 s16, s16, -1
	s_add_i32 s14, s14, -8
	s_cmp_gt_i32 s16, s5
	v_add_u32_e32 v1, 0xfffffe00, v1
	s_waitcnt lgkmcnt(0)
	v_fma_f64 v[3:4], -v[8:9], v[10:11], v[3:4]
	s_cbranch_scc1 .LBB109_35
.LBB109_36:                             ;   in Loop: Header=BB109_34 Depth=1
	s_mul_i32 s14, s5, 0x208
	v_mov_b32_e32 v1, s14
	ds_read_b64 v[8:9], v1
	s_addk_i32 s15, 0xfe00
	v_add_u32_e32 v6, s15, v91
	ds_read_b64 v[1:2], v6
	s_mov_b32 s15, s11
	s_waitcnt lgkmcnt(1)
	v_mul_f64 v[8:9], v[8:9], v[3:4]
	v_mov_b32_e32 v3, v5
	s_cmp_le_i32 s22, s5
	s_mov_b32 s16, s22
	ds_write_b64 v7, v[8:9]
	s_cbranch_scc1 .LBB109_38
.LBB109_37:                             ;   Parent Loop BB109_34 Depth=1
                                        ; =>  This Inner Loop Header: Depth=2
	v_mov_b32_e32 v4, s15
	ds_read_b64 v[7:8], v3
	ds_read_b64 v[9:10], v4
	s_add_i32 s16, s16, -1
	s_add_i32 s15, s15, -8
	s_cmp_gt_i32 s16, s5
	v_add_u32_e32 v3, 0xfffffe00, v3
	s_waitcnt lgkmcnt(0)
	v_fma_f64 v[1:2], -v[7:8], v[9:10], v[1:2]
	s_cbranch_scc1 .LBB109_37
.LBB109_38:                             ;   in Loop: Header=BB109_34 Depth=1
	s_addk_i32 s14, 0xfdf8
	v_mov_b32_e32 v3, s14
	ds_read_b64 v[8:9], v3
	s_add_i32 s15, s5, -2
	s_lshl_b32 s16, s15, 9
	v_add_u32_e32 v7, s16, v91
	ds_read_b64 v[3:4], v7
	s_waitcnt lgkmcnt(1)
	v_mul_f64 v[8:9], v[8:9], v[1:2]
	v_mov_b32_e32 v1, v5
	s_mov_b32 s16, s12
	s_cmp_le_i32 s4, s15
	s_mov_b32 s17, s4
	ds_write_b64 v6, v[8:9]
	s_cbranch_scc1 .LBB109_40
.LBB109_39:                             ;   Parent Loop BB109_34 Depth=1
                                        ; =>  This Inner Loop Header: Depth=2
	v_mov_b32_e32 v2, s16
	ds_read_b64 v[8:9], v1
	ds_read_b64 v[10:11], v2
	s_add_i32 s17, s17, -1
	s_add_i32 s16, s16, -8
	s_cmp_gt_i32 s17, s15
	v_add_u32_e32 v1, 0xfffffe00, v1
	s_waitcnt lgkmcnt(0)
	v_fma_f64 v[3:4], -v[8:9], v[10:11], v[3:4]
	s_cbranch_scc1 .LBB109_39
.LBB109_40:                             ;   in Loop: Header=BB109_34 Depth=1
	s_addk_i32 s14, 0xfdf8
	v_mov_b32_e32 v1, s14
	ds_read_b64 v[8:9], v1
	s_add_i32 s15, s5, -3
	s_lshl_b32 s16, s15, 9
	v_add_u32_e32 v6, s16, v91
	ds_read_b64 v[1:2], v6
	s_waitcnt lgkmcnt(1)
	v_mul_f64 v[8:9], v[8:9], v[3:4]
	v_mov_b32_e32 v3, v5
	s_mov_b32 s16, s13
	s_cmp_le_i32 s4, s15
	s_mov_b32 s17, s4
	ds_write_b64 v7, v[8:9]
	s_cbranch_scc1 .LBB109_33
.LBB109_41:                             ;   Parent Loop BB109_34 Depth=1
                                        ; =>  This Inner Loop Header: Depth=2
	v_mov_b32_e32 v4, s16
	ds_read_b64 v[7:8], v3
	ds_read_b64 v[9:10], v4
	s_add_i32 s17, s17, -1
	s_add_i32 s16, s16, -8
	s_cmp_gt_i32 s17, s15
	v_add_u32_e32 v3, 0xfffffe00, v3
	s_waitcnt lgkmcnt(0)
	v_fma_f64 v[1:2], -v[7:8], v[9:10], v[1:2]
	s_cbranch_scc1 .LBB109_41
	s_branch .LBB109_33
.LBB109_42:
	s_mov_b64 s[4:5], 0
.LBB109_43:
	s_and_b64 vcc, exec, s[4:5]
	s_cbranch_vccz .LBB109_63
; %bb.44:
	s_cmp_lt_i32 s10, 32
	s_mov_b32 s8, 0
	s_cbranch_scc1 .LBB109_50
; %bb.45:
	v_mov_b32_e32 v1, 0x8000
	v_lshl_or_b32 v92, v0, 3, v1
	s_mov_b32 s4, 0
	s_mov_b32 s5, 0
.LBB109_46:                             ; =>This Loop Header: Depth=1
                                        ;     Child Loop BB109_47 Depth 2
	s_lshl_b32 s8, s5, 9
	v_add_u32_e32 v94, s8, v91
	ds_read2st64_b64 v[61:64], v94 offset1:1
	ds_read2st64_b64 v[57:60], v94 offset0:2 offset1:3
	ds_read2st64_b64 v[53:56], v94 offset0:4 offset1:5
	;; [unrolled: 1-line block ×15, first 2 shown]
	s_cmp_eq_u32 s5, 0
	v_mov_b32_e32 v65, v92
	s_mov_b32 s10, s4
	s_mov_b32 s11, s5
	s_cbranch_scc1 .LBB109_48
.LBB109_47:                             ;   Parent Loop BB109_46 Depth=1
                                        ; =>  This Inner Loop Header: Depth=2
	v_mov_b32_e32 v90, s10
	ds_read_b64 v[135:136], v65
	ds_read_b128 v[66:69], v90
	ds_read_b128 v[70:73], v90 offset:16
	ds_read_b128 v[74:77], v90 offset:32
	;; [unrolled: 1-line block ×15, first 2 shown]
	s_add_i32 s11, s11, -1
	s_addk_i32 s10, 0x200
	s_cmp_lg_u32 s11, 0
	s_waitcnt lgkmcnt(14)
	v_fma_f64 v[61:62], -v[135:136], v[66:67], v[61:62]
	v_fma_f64 v[63:64], -v[135:136], v[68:69], v[63:64]
	;; [unrolled: 1-line block ×4, first 2 shown]
	s_waitcnt lgkmcnt(13)
	v_fma_f64 v[53:54], -v[135:136], v[74:75], v[53:54]
	v_fma_f64 v[55:56], -v[135:136], v[76:77], v[55:56]
	s_waitcnt lgkmcnt(12)
	v_fma_f64 v[49:50], -v[135:136], v[78:79], v[49:50]
	v_fma_f64 v[51:52], -v[135:136], v[80:81], v[51:52]
	;; [unrolled: 3-line block ×14, first 2 shown]
	v_add_u32_e32 v65, 0x200, v65
	s_cbranch_scc1 .LBB109_47
.LBB109_48:                             ;   in Loop: Header=BB109_46 Depth=1
	s_lshl_b32 s10, s5, 3
	s_add_i32 s11, s10, s8
	v_mov_b32_e32 v93, s11
	ds_read_b128 v[65:68], v93
	ds_read_b128 v[69:72], v93 offset:16
	s_or_b32 s13, s8, 0x200
	v_add_u32_e32 v100, s13, v91
	s_add_i32 s13, s10, s13
	s_waitcnt lgkmcnt(1)
	v_mul_f64 v[77:78], v[65:66], v[61:62]
	v_mov_b32_e32 v96, s13
	s_or_b32 s14, s8, 0x400
	s_add_i32 s19, s10, s14
	v_mov_b32_e32 v98, s19
	s_or_b32 s15, s8, 0x600
	v_add_u32_e32 v101, s15, v91
	s_add_i32 s15, s10, s15
	v_fma_f64 v[65:66], -v[77:78], v[67:68], v[63:64]
	ds_read2_b64 v[61:64], v93 offset0:65 offset1:66
	ds_read_b128 v[73:76], v93 offset:1040
	s_waitcnt lgkmcnt(2)
	v_fma_f64 v[57:58], -v[77:78], v[69:70], v[57:58]
	v_fma_f64 v[69:70], -v[77:78], v[71:72], v[59:60]
	v_mov_b32_e32 v95, s15
	s_or_b32 s16, s8, 0x800
	v_add_u32_e32 v102, s16, v91
	s_waitcnt lgkmcnt(1)
	v_mul_f64 v[79:80], v[61:62], v[65:66]
	s_add_i32 s16, s10, s16
	s_add_i32 s15, s11, 0xa28
	v_mov_b32_e32 v97, s16
	s_or_b32 s17, s8, 0xa00
	v_add_u32_e32 v99, s14, v91
	s_add_i32 s14, s10, s17
	s_or_b32 s18, s8, 0xc00
	v_fma_f64 v[71:72], -v[79:80], v[63:64], v[57:58]
	ds_read_b128 v[57:60], v93 offset:32
	ds_read2_b64 v[81:84], v96 offset0:3 offset1:4
	ds_read2_b64 v[61:64], v96 offset0:5 offset1:6
	ds_read_b128 v[65:68], v93 offset:48
	s_add_i32 s13, s10, s18
	v_add_u32_e32 v103, s17, v91
	s_waitcnt lgkmcnt(3)
	v_fma_f64 v[53:54], -v[77:78], v[57:58], v[53:54]
	s_waitcnt lgkmcnt(2)
	v_fma_f64 v[57:58], -v[79:80], v[81:82], v[69:70]
	v_fma_f64 v[87:88], -v[77:78], v[59:60], v[55:56]
	v_mul_f64 v[81:82], v[73:74], v[71:72]
	ds_read_b128 v[69:72], v98 offset:32
	s_waitcnt lgkmcnt(1)
	v_fma_f64 v[49:50], -v[77:78], v[65:66], v[49:50]
	v_add_u32_e32 v104, s18, v91
	s_or_b32 s12, s8, 0xe00
	v_fma_f64 v[85:86], -v[79:80], v[83:84], v[53:54]
	s_or_b32 s16, s8, 0x2000
	v_fma_f64 v[65:66], -v[79:80], v[61:62], v[87:88]
	v_fma_f64 v[83:84], -v[81:82], v[75:76], v[57:58]
	ds_read2_b64 v[73:76], v93 offset0:195 offset1:196
	ds_read_b128 v[57:60], v93 offset:2080
	ds_read_b128 v[53:56], v93 offset:64
	ds_read_b64 v[89:90], v96 offset:248
	v_fma_f64 v[87:88], -v[79:80], v[63:64], v[49:50]
	s_add_i32 s17, s11, 0x2698
	s_addk_i32 s4, 0x100
	s_waitcnt lgkmcnt(4)
	v_fma_f64 v[69:70], -v[81:82], v[69:70], v[85:86]
	s_waitcnt lgkmcnt(1)
	v_fma_f64 v[45:46], -v[77:78], v[53:54], v[45:46]
	v_fma_f64 v[71:72], -v[81:82], v[71:72], v[65:66]
	v_mul_f64 v[61:62], v[73:74], v[83:84]
	v_fma_f64 v[73:74], -v[77:78], v[67:68], v[51:52]
	ds_read_b128 v[83:86], v98 offset:48
	ds_read_b128 v[105:108], v98 offset:64
	ds_read2_b64 v[109:112], v96 offset0:7 offset1:8
	ds_read2_b64 v[113:116], v96 offset0:9 offset1:10
	v_fma_f64 v[47:48], -v[77:78], v[55:56], v[47:48]
	s_waitcnt lgkmcnt(3)
	v_fma_f64 v[83:84], -v[81:82], v[83:84], v[87:88]
	s_waitcnt lgkmcnt(1)
	v_fma_f64 v[45:46], -v[79:80], v[111:112], v[45:46]
	v_fma_f64 v[75:76], -v[61:62], v[75:76], v[69:70]
	ds_read_b128 v[63:66], v93 offset:80
	ds_read2_b64 v[67:70], v95 offset0:5 offset1:6
	ds_read_b128 v[49:52], v98 offset:240
	v_fma_f64 v[109:110], -v[79:80], v[109:110], v[73:74]
	ds_read_b128 v[117:120], v97 offset:48
	ds_read_b128 v[121:124], v97 offset:64
	v_mov_b32_e32 v73, s14
	s_waitcnt lgkmcnt(3)
	v_fma_f64 v[67:68], -v[61:62], v[67:68], v[71:72]
	v_fma_f64 v[71:72], -v[61:62], v[69:70], v[83:84]
	;; [unrolled: 1-line block ×3, first 2 shown]
	v_mul_f64 v[53:54], v[57:58], v[75:76]
	v_mov_b32_e32 v76, s15
	v_fma_f64 v[57:58], -v[81:82], v[85:86], v[109:110]
	v_fma_f64 v[41:42], -v[77:78], v[63:64], v[41:42]
	s_add_i32 s14, s11, 0xe38
	v_mov_b32_e32 v105, s14
	v_fma_f64 v[43:44], -v[77:78], v[65:66], v[43:44]
	s_add_i32 s14, s11, 0x1a68
	v_fma_f64 v[74:75], -v[53:54], v[59:60], v[67:68]
	ds_read2_b64 v[67:70], v95 offset0:7 offset1:8
	ds_read2_b64 v[83:86], v95 offset0:9 offset1:10
	ds_read2_b64 v[109:112], v76 offset1:1
	ds_read_b64 v[59:60], v95 offset:248
	ds_read2_b64 v[125:128], v73 offset0:7 offset1:8
	s_waitcnt lgkmcnt(4)
	v_fma_f64 v[57:58], -v[61:62], v[67:68], v[57:58]
	v_fma_f64 v[67:68], -v[53:54], v[117:118], v[71:72]
	;; [unrolled: 1-line block ×3, first 2 shown]
	v_mov_b32_e32 v76, s13
	v_fma_f64 v[41:42], -v[79:80], v[115:116], v[41:42]
	s_waitcnt lgkmcnt(2)
	v_mul_f64 v[55:56], v[109:110], v[74:75]
	v_fma_f64 v[74:75], -v[61:62], v[69:70], v[45:46]
	s_add_i32 s13, s10, s12
	v_fma_f64 v[57:58], -v[53:54], v[119:120], v[57:58]
	s_or_b32 s15, s8, 0x1e00
	v_fma_f64 v[71:72], -v[81:82], v[107:108], v[71:72]
	v_fma_f64 v[87:88], -v[55:56], v[111:112], v[67:68]
	ds_read_b128 v[67:70], v93 offset:3120
	ds_read_b128 v[109:112], v93 offset:4160
	ds_read2_b64 v[117:120], v73 offset0:9 offset1:10
	ds_read_b128 v[45:48], v97 offset:240
	ds_read2_b64 v[105:108], v105 offset1:1
	ds_read_b128 v[129:132], v76 offset:64
	s_waitcnt lgkmcnt(6)
	v_fma_f64 v[63:64], -v[55:56], v[125:126], v[57:58]
	ds_write_b64 v94, v[77:78]
	v_fma_f64 v[71:72], -v[61:62], v[83:84], v[71:72]
	ds_write_b64 v100, v[79:80]
	ds_write_b64 v99, v[81:82]
	;; [unrolled: 1-line block ×4, first 2 shown]
	s_waitcnt lgkmcnt(10)
	v_mul_f64 v[57:58], v[67:68], v[87:88]
	v_fma_f64 v[67:68], -v[53:54], v[121:122], v[74:75]
	ds_write_b64 v103, v[55:56]
	ds_write_b64 v104, v[57:58]
	v_fma_f64 v[63:64], -v[57:58], v[69:70], v[63:64]
	v_fma_f64 v[67:68], -v[55:56], v[127:128], v[67:68]
	;; [unrolled: 1-line block ×3, first 2 shown]
	ds_read2_b64 v[99:102], v73 offset0:11 offset1:12
	s_waitcnt lgkmcnt(9)
	v_mul_f64 v[63:64], v[105:106], v[63:64]
	s_waitcnt lgkmcnt(8)
	v_fma_f64 v[74:75], -v[57:58], v[129:130], v[67:68]
	ds_read_b128 v[67:70], v98 offset:80
	ds_read2_b64 v[103:106], v96 offset0:11 offset1:12
	ds_read_b128 v[113:116], v98 offset:96
	v_fma_f64 v[65:66], -v[55:56], v[117:118], v[71:72]
	ds_read2_b64 v[121:124], v96 offset0:13 offset1:14
	s_waitcnt lgkmcnt(3)
	v_fma_f64 v[41:42], -v[81:82], v[67:68], v[41:42]
	s_waitcnt lgkmcnt(2)
	v_fma_f64 v[43:44], -v[79:80], v[103:104], v[43:44]
	v_fma_f64 v[67:68], -v[63:64], v[107:108], v[74:75]
	v_mov_b32_e32 v74, s13
	ds_read2_b64 v[125:128], v74 offset0:9 offset1:10
	v_fma_f64 v[71:72], -v[57:58], v[131:132], v[65:66]
	v_add_u32_e32 v75, s12, v91
	s_add_i32 s13, s11, 0x1248
	v_fma_f64 v[87:88], -v[61:62], v[85:86], v[41:42]
	v_fma_f64 v[103:104], -v[81:82], v[69:70], v[43:44]
	ds_read_b128 v[83:86], v97 offset:80
	v_mul_f64 v[65:66], v[109:110], v[67:68]
	ds_read_b128 v[41:44], v76 offset:240
	ds_read2_b64 v[67:70], v95 offset0:11 offset1:12
	ds_read_b128 v[107:110], v97 offset:96
	ds_read_b128 v[129:132], v93 offset:96
	ds_read2_b64 v[133:136], v95 offset0:13 offset1:14
	s_waitcnt lgkmcnt(6)
	v_fma_f64 v[71:72], -v[63:64], v[125:126], v[71:72]
	s_waitcnt lgkmcnt(5)
	v_fma_f64 v[83:84], -v[53:54], v[83:84], v[87:88]
	;; [unrolled: 2-line block ×4, first 2 shown]
	ds_write_b64 v75, v[63:64]
	v_mov_b32_e32 v75, s13
	s_or_b32 s12, s8, 0x1000
	v_fma_f64 v[39:40], -v[77:78], v[131:132], v[39:40]
	v_fma_f64 v[71:72], -v[65:66], v[111:112], v[71:72]
	;; [unrolled: 1-line block ×5, first 2 shown]
	ds_read_b128 v[83:86], v76 offset:80
	ds_read_b128 v[103:106], v76 offset:96
	ds_read2_b64 v[117:120], v75 offset1:1
	ds_read_b128 v[137:140], v93 offset:112
	v_fma_f64 v[39:40], -v[79:80], v[121:122], v[39:40]
	s_waitcnt lgkmcnt(3)
	v_fma_f64 v[83:84], -v[57:58], v[83:84], v[87:88]
	v_fma_f64 v[87:88], -v[55:56], v[99:100], v[67:68]
	;; [unrolled: 1-line block ×3, first 2 shown]
	v_add_u32_e32 v67, s12, v91
	ds_write_b64 v67, v[65:66]
	s_waitcnt lgkmcnt(2)
	v_mul_f64 v[67:68], v[117:118], v[71:72]
	s_add_i32 s12, s10, s12
	v_mov_b32_e32 v94, s12
	v_fma_f64 v[71:72], -v[63:64], v[127:128], v[83:84]
	v_fma_f64 v[87:88], -v[57:58], v[85:86], v[87:88]
	;; [unrolled: 1-line block ×3, first 2 shown]
	ds_read_b128 v[83:86], v94 offset:80
	ds_read2_b64 v[111:114], v74 offset0:11 offset1:12
	s_or_b32 s12, s8, 0x1200
	v_fma_f64 v[115:116], -v[81:82], v[115:116], v[39:40]
	v_add_u32_e32 v117, s12, v91
	s_add_i32 s12, s10, s12
	s_waitcnt lgkmcnt(1)
	v_fma_f64 v[69:70], -v[65:66], v[83:84], v[71:72]
	s_waitcnt lgkmcnt(0)
	v_fma_f64 v[83:84], -v[63:64], v[111:112], v[87:88]
	v_fma_f64 v[37:38], -v[53:54], v[107:108], v[37:38]
	v_mov_b32_e32 v75, s12
	ds_read2_b64 v[129:132], v74 offset0:13 offset1:14
	v_fma_f64 v[33:34], -v[77:78], v[137:138], v[33:34]
	ds_write_b64 v117, v[67:68]
	s_or_b32 s12, s8, 0x1400
	v_fma_f64 v[87:88], -v[67:68], v[119:120], v[69:70]
	v_fma_f64 v[107:108], -v[65:66], v[85:86], v[83:84]
	;; [unrolled: 1-line block ×3, first 2 shown]
	ds_read_b128 v[69:72], v93 offset:5200
	ds_read_b128 v[99:102], v93 offset:6240
	ds_read2_b64 v[83:86], v75 offset0:11 offset1:12
	v_fma_f64 v[33:34], -v[79:80], v[123:124], v[33:34]
	ds_read_b128 v[125:128], v94 offset:96
	ds_read_b128 v[37:40], v94 offset:240
	s_waitcnt lgkmcnt(4)
	v_mul_f64 v[69:70], v[69:70], v[87:88]
	s_waitcnt lgkmcnt(2)
	v_fma_f64 v[83:84], -v[67:68], v[83:84], v[107:108]
	v_fma_f64 v[87:88], -v[57:58], v[103:104], v[111:112]
	;; [unrolled: 1-line block ×3, first 2 shown]
	ds_read_b128 v[115:118], v98 offset:112
	v_add_u32_e32 v107, s12, v91
	s_add_i32 s13, s11, 0x1658
	s_add_i32 s12, s10, s12
	ds_write_b64 v107, v[69:70]
	v_fma_f64 v[71:72], -v[69:70], v[71:72], v[83:84]
	v_fma_f64 v[83:84], -v[63:64], v[113:114], v[87:88]
	;; [unrolled: 1-line block ×3, first 2 shown]
	ds_read2_b64 v[107:110], v73 offset0:13 offset1:14
	ds_read_b128 v[111:114], v98 offset:128
	s_waitcnt lgkmcnt(3)
	v_fma_f64 v[103:104], -v[81:82], v[115:116], v[33:34]
	v_fma_f64 v[115:116], -v[77:78], v[139:140], v[35:36]
	v_mov_b32_e32 v33, s13
	ds_read2_b64 v[119:122], v33 offset1:1
	ds_read2_b64 v[137:140], v73 offset0:15 offset1:16
	ds_read2_b64 v[33:36], v96 offset0:15 offset1:16
	s_waitcnt lgkmcnt(4)
	v_fma_f64 v[87:88], -v[55:56], v[107:108], v[87:88]
	v_fma_f64 v[83:84], -v[65:66], v[125:126], v[83:84]
	;; [unrolled: 1-line block ×3, first 2 shown]
	ds_read_b128 v[123:126], v97 offset:112
	ds_read2_b64 v[133:136], v96 offset0:17 offset1:18
	s_waitcnt lgkmcnt(2)
	v_fma_f64 v[115:116], -v[79:80], v[33:34], v[115:116]
	v_mul_f64 v[33:34], v[119:120], v[71:72]
	s_or_b32 s13, s8, 0x1600
	v_fma_f64 v[87:88], -v[57:58], v[105:106], v[87:88]
	ds_read_b128 v[103:106], v97 offset:128
	s_waitcnt lgkmcnt(2)
	v_fma_f64 v[71:72], -v[53:54], v[123:124], v[107:108]
	v_fma_f64 v[119:120], -v[67:68], v[85:86], v[83:84]
	;; [unrolled: 1-line block ×3, first 2 shown]
	v_mov_b32_e32 v84, s12
	s_add_i32 s12, s10, s13
	v_mov_b32_e32 v83, s12
	v_fma_f64 v[129:130], -v[63:64], v[129:130], v[87:88]
	ds_read2_b64 v[85:88], v95 offset0:15 offset1:16
	ds_read_b128 v[115:118], v84 offset:96
	v_fma_f64 v[71:72], -v[55:56], v[109:110], v[71:72]
	ds_read_b128 v[107:110], v84 offset:112
	ds_read2_b64 v[141:144], v95 offset0:17 offset1:18
	ds_read_b128 v[145:148], v76 offset:112
	s_waitcnt lgkmcnt(4)
	v_fma_f64 v[85:86], -v[61:62], v[85:86], v[123:124]
	s_waitcnt lgkmcnt(3)
	v_fma_f64 v[115:116], -v[69:70], v[115:116], v[119:120]
	s_or_b32 s12, s8, 0x1800
	v_fma_f64 v[119:120], -v[65:66], v[127:128], v[129:130]
	ds_read2_b64 v[127:130], v75 offset0:13 offset1:14
	ds_read_b128 v[149:152], v93 offset:128
	ds_read_b128 v[153:156], v76 offset:128
	s_waitcnt lgkmcnt(3)
	v_fma_f64 v[71:72], -v[57:58], v[145:146], v[71:72]
	v_fma_f64 v[85:86], -v[53:54], v[125:126], v[85:86]
	s_waitcnt lgkmcnt(1)
	v_fma_f64 v[29:30], -v[77:78], v[149:150], v[29:30]
	ds_read2_b64 v[123:126], v75 offset0:15 offset1:16
	ds_read_b128 v[157:160], v93 offset:144
	v_fma_f64 v[127:128], -v[67:68], v[127:128], v[119:120]
	ds_read2_b64 v[161:164], v83 offset0:13 offset1:14
	v_fma_f64 v[71:72], -v[63:64], v[131:132], v[71:72]
	v_fma_f64 v[131:132], -v[33:34], v[121:122], v[115:116]
	ds_read_b128 v[119:122], v94 offset:112
	v_fma_f64 v[85:86], -v[55:56], v[137:138], v[85:86]
	v_fma_f64 v[29:30], -v[79:80], v[35:36], v[29:30]
	;; [unrolled: 1-line block ×4, first 2 shown]
	ds_read_b128 v[115:118], v94 offset:128
	s_waitcnt lgkmcnt(1)
	v_fma_f64 v[71:72], -v[65:66], v[119:120], v[71:72]
	v_mul_f64 v[35:36], v[99:100], v[131:132]
	v_add_u32_e32 v149, s13, v91
	v_fma_f64 v[85:86], -v[57:58], v[147:148], v[85:86]
	v_fma_f64 v[29:30], -v[81:82], v[111:112], v[29:30]
	ds_read2_b64 v[145:148], v74 offset0:15 offset1:16
	ds_read2_b64 v[165:168], v83 offset0:15 offset1:16
	v_fma_f64 v[99:100], -v[33:34], v[161:162], v[127:128]
	s_add_i32 s13, s10, s12
	v_fma_f64 v[71:72], -v[67:68], v[129:130], v[71:72]
	v_fma_f64 v[25:26], -v[77:78], v[157:158], v[25:26]
	v_mov_b32_e32 v207, s13
	s_waitcnt lgkmcnt(1)
	v_fma_f64 v[85:86], -v[63:64], v[145:146], v[85:86]
	v_fma_f64 v[29:30], -v[61:62], v[87:88], v[29:30]
	ds_read2_b64 v[127:130], v74 offset0:17 offset1:18
	v_fma_f64 v[99:100], -v[35:36], v[101:102], v[99:100]
	ds_write_b64 v149, v[33:34]
	v_fma_f64 v[71:72], -v[69:70], v[107:108], v[71:72]
	v_fma_f64 v[25:26], -v[79:80], v[135:136], v[25:26]
	;; [unrolled: 1-line block ×6, first 2 shown]
	v_mov_b32_e32 v29, s14
	ds_read2_b64 v[29:32], v29 offset1:1
	v_fma_f64 v[107:108], -v[33:34], v[163:164], v[71:72]
	s_or_b32 s14, s8, 0x1c00
	v_fma_f64 v[111:112], -v[67:68], v[123:124], v[85:86]
	v_fma_f64 v[119:120], -v[55:56], v[139:140], v[101:102]
	;; [unrolled: 1-line block ×3, first 2 shown]
	ds_read_b128 v[85:88], v207 offset:112
	s_waitcnt lgkmcnt(1)
	v_mul_f64 v[71:72], v[29:30], v[99:100]
	v_add_u32_e32 v113, s12, v91
	ds_write_b64 v113, v[35:36]
	ds_read_b128 v[99:102], v207 offset:128
	s_waitcnt lgkmcnt(2)
	v_fma_f64 v[29:30], -v[35:36], v[85:86], v[107:108]
	v_fma_f64 v[85:86], -v[69:70], v[109:110], v[111:112]
	;; [unrolled: 1-line block ×4, first 2 shown]
	s_or_b32 s12, s8, 0x1a00
	s_add_i32 s13, s10, s12
	v_mov_b32_e32 v227, s13
	s_add_i32 s13, s11, 0x1e78
	v_fma_f64 v[29:30], -v[71:72], v[31:32], v[29:30]
	v_fma_f64 v[31:32], -v[33:34], v[165:166], v[85:86]
	;; [unrolled: 1-line block ×4, first 2 shown]
	ds_read_b128 v[103:106], v98 offset:144
	ds_read2_b64 v[107:110], v73 offset0:17 offset1:18
	ds_read_b128 v[111:114], v93 offset:7280
	ds_read_b128 v[119:122], v93 offset:8320
	;; [unrolled: 1-line block ×3, first 2 shown]
	s_waitcnt lgkmcnt(4)
	v_fma_f64 v[103:104], -v[81:82], v[103:104], v[25:26]
	ds_read2_b64 v[135:138], v73 offset0:19 offset1:20
	s_waitcnt lgkmcnt(3)
	v_mul_f64 v[25:26], v[111:112], v[29:30]
	v_fma_f64 v[111:112], -v[35:36], v[87:88], v[31:32]
	v_fma_f64 v[115:116], -v[65:66], v[115:116], v[123:124]
	;; [unrolled: 1-line block ×3, first 2 shown]
	ds_read2_b64 v[85:88], v227 offset0:15 offset1:16
	v_fma_f64 v[103:104], -v[61:62], v[143:144], v[103:104]
	ds_read_b128 v[139:142], v97 offset:144
	ds_read_b128 v[29:32], v207 offset:240
	ds_read2_b64 v[147:150], v96 offset0:19 offset1:20
	ds_read2_b64 v[151:154], v96 offset0:21 offset1:22
	s_waitcnt lgkmcnt(4)
	v_fma_f64 v[85:86], -v[71:72], v[85:86], v[111:112]
	v_fma_f64 v[111:112], -v[67:68], v[125:126], v[115:116]
	v_fma_f64 v[107:108], -v[57:58], v[155:156], v[107:108]
	ds_read_b128 v[123:126], v84 offset:128
	s_waitcnt lgkmcnt(4)
	v_fma_f64 v[103:104], -v[53:54], v[139:140], v[103:104]
	s_waitcnt lgkmcnt(2)
	v_fma_f64 v[27:28], -v[79:80], v[147:148], v[27:28]
	ds_read2_b64 v[155:158], v95 offset0:19 offset1:20
	ds_read2_b64 v[163:166], v95 offset0:21 offset1:22
	v_fma_f64 v[85:86], -v[25:26], v[113:114], v[85:86]
	ds_read2_b64 v[159:162], v75 offset0:19 offset1:20
	v_fma_f64 v[115:116], -v[63:64], v[127:128], v[107:108]
	ds_read_b128 v[143:146], v97 offset:160
	v_fma_f64 v[127:128], -v[55:56], v[109:110], v[103:104]
	ds_read_b128 v[107:110], v84 offset:144
	s_waitcnt lgkmcnt(5)
	v_fma_f64 v[123:124], -v[69:70], v[123:124], v[111:112]
	ds_read_b128 v[111:114], v76 offset:144
	v_fma_f64 v[27:28], -v[81:82], v[105:106], v[27:28]
	ds_read_b128 v[103:106], v76 offset:160
	v_fma_f64 v[139:140], -v[65:66], v[117:118], v[115:116]
	ds_read2_b64 v[115:118], v75 offset0:17 offset1:18
	s_waitcnt lgkmcnt(2)
	v_fma_f64 v[111:112], -v[57:58], v[111:112], v[127:128]
	v_mov_b32_e32 v127, s13
	v_fma_f64 v[147:148], -v[33:34], v[167:168], v[123:124]
	s_add_i32 s13, s10, s14
	v_fma_f64 v[27:28], -v[61:62], v[155:156], v[27:28]
	v_mov_b32_e32 v228, s13
	s_waitcnt lgkmcnt(0)
	v_fma_f64 v[115:116], -v[67:68], v[115:116], v[139:140]
	s_add_i32 s13, s10, s15
	v_fma_f64 v[111:112], -v[63:64], v[129:130], v[111:112]
	ds_read2_b64 v[127:130], v127 offset1:1
	ds_read_b128 v[167:170], v94 offset:144
	v_fma_f64 v[99:100], -v[35:36], v[99:100], v[147:148]
	ds_read_b128 v[175:178], v93 offset:160
	v_fma_f64 v[155:156], -v[53:54], v[141:142], v[27:28]
	s_waitcnt lgkmcnt(2)
	v_mul_f64 v[27:28], v[127:128], v[85:86]
	v_fma_f64 v[115:116], -v[69:70], v[125:126], v[115:116]
	ds_read2_b64 v[123:126], v83 offset0:17 offset1:18
	ds_read2_b64 v[171:174], v83 offset0:19 offset1:20
	s_waitcnt lgkmcnt(3)
	v_fma_f64 v[111:112], -v[65:66], v[167:168], v[111:112]
	ds_read_b128 v[139:142], v94 offset:160
	v_mov_b32_e32 v229, s13
	v_fma_f64 v[127:128], -v[55:56], v[135:136], v[155:156]
	v_fma_f64 v[135:136], -v[71:72], v[87:88], v[99:100]
	s_waitcnt lgkmcnt(2)
	v_fma_f64 v[123:124], -v[33:34], v[123:124], v[115:116]
	ds_read_b128 v[85:88], v93 offset:176
	v_fma_f64 v[21:22], -v[77:78], v[175:176], v[21:22]
	v_fma_f64 v[111:112], -v[67:68], v[117:118], v[111:112]
	ds_read_b128 v[115:118], v228 offset:128
	v_fma_f64 v[23:24], -v[77:78], v[177:178], v[23:24]
	s_add_i32 s13, s11, 0x2288
	s_waitcnt lgkmcnt(1)
	v_fma_f64 v[85:86], -v[77:78], v[85:86], v[17:18]
	v_fma_f64 v[155:156], -v[35:36], v[101:102], v[123:124]
	;; [unrolled: 1-line block ×5, first 2 shown]
	ds_read_b128 v[99:102], v228 offset:144
	ds_read2_b64 v[111:114], v74 offset0:19 offset1:20
	ds_read2_b64 v[147:150], v227 offset0:17 offset1:18
	ds_read2_b64 v[179:182], v74 offset0:21 offset1:22
	s_waitcnt lgkmcnt(4)
	v_fma_f64 v[115:116], -v[25:26], v[115:116], v[135:136]
	ds_read_b128 v[183:186], v207 offset:144
	v_fma_f64 v[85:86], -v[79:80], v[153:154], v[85:86]
	s_waitcnt lgkmcnt(3)
	v_fma_f64 v[111:112], -v[63:64], v[111:112], v[123:124]
	v_fma_f64 v[21:22], -v[81:82], v[131:132], v[21:22]
	;; [unrolled: 1-line block ×3, first 2 shown]
	s_waitcnt lgkmcnt(2)
	v_fma_f64 v[135:136], -v[71:72], v[147:148], v[155:156]
	ds_read2_b64 v[123:126], v227 offset0:19 offset1:20
	v_fma_f64 v[131:132], -v[27:28], v[129:130], v[115:116]
	ds_read_b128 v[127:130], v207 offset:160
	s_addk_i32 s11, 0x2aa8
	v_fma_f64 v[111:112], -v[65:66], v[169:170], v[111:112]
	v_fma_f64 v[21:22], -v[61:62], v[157:158], v[21:22]
	s_waitcnt lgkmcnt(2)
	v_fma_f64 v[107:108], -v[35:36], v[183:184], v[107:108]
	v_fma_f64 v[135:136], -v[25:26], v[117:118], v[135:136]
	ds_read2_b64 v[115:118], v229 offset0:17 offset1:18
	v_mul_f64 v[215:216], v[119:120], v[131:132]
	v_add_u32_e32 v131, s12, v91
	s_add_i32 s12, s10, s16
	v_fma_f64 v[111:112], -v[67:68], v[159:160], v[111:112]
	v_fma_f64 v[21:22], -v[53:54], v[143:144], v[21:22]
	;; [unrolled: 1-line block ×3, first 2 shown]
	s_waitcnt lgkmcnt(0)
	v_fma_f64 v[115:116], -v[27:28], v[115:116], v[135:136]
	v_mov_b32_e32 v230, s12
	ds_read2_b64 v[147:150], v229 offset0:19 offset1:20
	ds_write_b64 v131, v[71:72]
	s_or_b32 s12, s8, 0x2400
	v_fma_f64 v[109:110], -v[69:70], v[109:110], v[111:112]
	v_fma_f64 v[99:100], -v[25:26], v[99:100], v[107:108]
	;; [unrolled: 1-line block ×5, first 2 shown]
	v_mov_b32_e32 v21, s13
	ds_read2_b64 v[21:24], v21 offset1:1
	v_fma_f64 v[119:120], -v[33:34], v[171:172], v[109:110]
	s_or_b32 s13, s8, 0x2200
	v_fma_f64 v[99:100], -v[27:28], v[117:118], v[99:100]
	v_fma_f64 v[103:104], -v[57:58], v[103:104], v[107:108]
	ds_read_b128 v[107:110], v230 offset:144
	v_fma_f64 v[121:122], -v[81:82], v[133:134], v[115:116]
	s_waitcnt lgkmcnt(1)
	v_mul_f64 v[217:218], v[21:22], v[111:112]
	v_add_u32_e32 v111, s14, v91
	v_fma_f64 v[119:120], -v[35:36], v[185:186], v[119:120]
	ds_write_b64 v111, v[25:26]
	s_waitcnt lgkmcnt(1)
	v_fma_f64 v[21:22], -v[215:216], v[107:108], v[99:100]
	v_fma_f64 v[99:100], -v[63:64], v[113:114], v[103:104]
	ds_read_b128 v[115:118], v230 offset:160
	v_fma_f64 v[103:104], -v[61:62], v[163:164], v[121:122]
	s_add_i32 s14, s10, s13
	v_mov_b32_e32 v231, s14
	v_fma_f64 v[107:108], -v[71:72], v[123:124], v[119:120]
	s_add_i32 s14, s10, s12
	v_fma_f64 v[119:120], -v[217:218], v[23:24], v[21:22]
	v_fma_f64 v[121:122], -v[65:66], v[139:140], v[99:100]
	ds_read_b128 v[21:24], v93 offset:9360
	v_fma_f64 v[103:104], -v[53:54], v[145:146], v[103:104]
	v_fma_f64 v[139:140], -v[77:78], v[87:88], v[19:20]
	v_mov_b32_e32 v232, s14
	v_fma_f64 v[107:108], -v[25:26], v[101:102], v[107:108]
	ds_read2_b64 v[99:102], v73 offset0:21 offset1:22
	ds_read_b128 v[111:114], v93 offset:10400
	s_waitcnt lgkmcnt(2)
	v_mul_f64 v[17:18], v[21:22], v[119:120]
	v_fma_f64 v[21:22], -v[67:68], v[161:162], v[121:122]
	ds_read2_b64 v[119:122], v73 offset0:23 offset1:24
	ds_read_b128 v[131:134], v84 offset:160
	s_waitcnt lgkmcnt(3)
	v_fma_f64 v[99:100], -v[55:56], v[99:100], v[103:104]
	ds_read_b128 v[135:138], v98 offset:176
	ds_read_b128 v[143:146], v84 offset:176
	v_fma_f64 v[107:108], -v[27:28], v[147:148], v[107:108]
	s_or_b32 s14, s8, 0x2600
	s_waitcnt lgkmcnt(2)
	v_fma_f64 v[123:124], -v[69:70], v[131:132], v[21:22]
	s_waitcnt lgkmcnt(1)
	v_fma_f64 v[131:132], -v[81:82], v[135:136], v[85:86]
	v_fma_f64 v[99:100], -v[57:58], v[105:106], v[99:100]
	ds_read_b128 v[103:106], v98 offset:192
	ds_read2_b64 v[19:22], v231 offset0:19 offset1:20
	ds_read2_b64 v[85:88], v96 offset0:23 offset1:24
	v_fma_f64 v[135:136], -v[215:216], v[109:110], v[107:108]
	ds_read2_b64 v[107:110], v96 offset0:25 offset1:26
	v_fma_f64 v[123:124], -v[33:34], v[173:174], v[123:124]
	v_fma_f64 v[131:132], -v[61:62], v[165:166], v[131:132]
	s_waitcnt lgkmcnt(1)
	v_fma_f64 v[85:86], -v[79:80], v[85:86], v[139:140]
	v_fma_f64 v[99:100], -v[63:64], v[179:180], v[99:100]
	ds_read_b128 v[151:154], v97 offset:176
	ds_read_b128 v[155:158], v230 offset:240
	ds_read2_b64 v[159:162], v75 offset0:21 offset1:22
	v_fma_f64 v[19:20], -v[217:218], v[19:20], v[135:136]
	v_fma_f64 v[123:124], -v[35:36], v[127:128], v[123:124]
	s_waitcnt lgkmcnt(2)
	v_fma_f64 v[131:132], -v[53:54], v[151:152], v[131:132]
	v_fma_f64 v[85:86], -v[81:82], v[137:138], v[85:86]
	;; [unrolled: 1-line block ×3, first 2 shown]
	ds_read_b128 v[139:142], v97 offset:192
	ds_read2_b64 v[135:138], v95 offset0:23 offset1:24
	ds_read2_b64 v[163:166], v75 offset0:23 offset1:24
	ds_read_b128 v[167:170], v76 offset:176
	v_fma_f64 v[23:24], -v[17:18], v[23:24], v[19:20]
	v_fma_f64 v[131:132], -v[55:56], v[101:102], v[131:132]
	s_waitcnt lgkmcnt(2)
	v_fma_f64 v[85:86], -v[61:62], v[135:136], v[85:86]
	v_fma_f64 v[127:128], -v[67:68], v[159:160], v[99:100]
	ds_read2_b64 v[99:102], v95 offset0:25 offset1:26
	v_fma_f64 v[135:136], -v[71:72], v[125:126], v[123:124]
	ds_read_b128 v[123:126], v228 offset:160
	ds_read_b128 v[171:174], v93 offset:192
	ds_read_b128 v[175:178], v76 offset:192
	ds_read2_b64 v[183:186], v83 offset0:21 offset1:22
	ds_read2_b64 v[187:190], v83 offset0:23 offset1:24
	s_waitcnt lgkmcnt(6)
	v_fma_f64 v[147:148], -v[57:58], v[167:168], v[131:132]
	s_waitcnt lgkmcnt(3)
	v_fma_f64 v[13:14], -v[77:78], v[171:172], v[13:14]
	v_fma_f64 v[85:86], -v[53:54], v[153:154], v[85:86]
	;; [unrolled: 1-line block ×4, first 2 shown]
	ds_read_b128 v[131:134], v93 offset:208
	ds_read_b128 v[151:154], v228 offset:176
	v_fma_f64 v[135:136], -v[63:64], v[181:182], v[147:148]
	v_fma_f64 v[13:14], -v[79:80], v[87:88], v[13:14]
	ds_read_b128 v[179:182], v94 offset:176
	v_fma_f64 v[119:120], -v[55:56], v[119:120], v[85:86]
	s_waitcnt lgkmcnt(4)
	v_fma_f64 v[127:128], -v[33:34], v[183:184], v[127:128]
	ds_read_b128 v[85:88], v94 offset:192
	v_fma_f64 v[123:124], -v[27:28], v[149:150], v[123:124]
	s_waitcnt lgkmcnt(3)
	v_fma_f64 v[9:10], -v[77:78], v[131:132], v[9:10]
	s_waitcnt lgkmcnt(1)
	v_fma_f64 v[135:136], -v[65:66], v[179:180], v[135:136]
	v_fma_f64 v[13:14], -v[81:82], v[103:104], v[13:14]
	;; [unrolled: 1-line block ×4, first 2 shown]
	ds_read2_b64 v[127:130], v74 offset0:23 offset1:24
	v_fma_f64 v[115:116], -v[215:216], v[115:116], v[123:124]
	v_mov_b32_e32 v123, s17
	v_fma_f64 v[119:120], -v[67:68], v[161:162], v[135:136]
	v_fma_f64 v[13:14], -v[61:62], v[137:138], v[13:14]
	ds_read2_b64 v[147:150], v227 offset0:21 offset1:22
	ds_read2_b64 v[159:162], v74 offset0:25 offset1:26
	s_waitcnt lgkmcnt(2)
	v_fma_f64 v[19:20], -v[63:64], v[127:128], v[19:20]
	ds_read2_b64 v[135:138], v227 offset0:23 offset1:24
	ds_read2_b64 v[167:170], v123 offset1:1
	s_waitcnt lgkmcnt(3)
	v_fma_f64 v[103:104], -v[71:72], v[147:148], v[103:104]
	v_fma_f64 v[115:116], -v[217:218], v[21:22], v[115:116]
	;; [unrolled: 1-line block ×4, first 2 shown]
	s_waitcnt lgkmcnt(0)
	v_mul_f64 v[219:220], v[167:168], v[23:24]
	v_fma_f64 v[127:128], -v[65:66], v[181:182], v[19:20]
	ds_read_b128 v[19:22], v232 offset:160
	v_fma_f64 v[9:10], -v[79:80], v[109:110], v[9:10]
	v_fma_f64 v[103:104], -v[25:26], v[125:126], v[103:104]
	ds_read2_b64 v[123:126], v229 offset0:21 offset1:22
	ds_read_b128 v[179:182], v207 offset:176
	v_fma_f64 v[139:140], -v[33:34], v[185:186], v[119:120]
	v_fma_f64 v[13:14], -v[55:56], v[121:122], v[13:14]
	ds_read_b128 v[191:194], v232 offset:176
	v_fma_f64 v[127:128], -v[67:68], v[163:164], v[127:128]
	s_waitcnt lgkmcnt(3)
	v_fma_f64 v[19:20], -v[17:18], v[19:20], v[115:116]
	ds_read2_b64 v[119:122], v229 offset0:23 offset1:24
	ds_read_b128 v[183:186], v207 offset:192
	s_waitcnt lgkmcnt(4)
	v_fma_f64 v[103:104], -v[27:28], v[123:124], v[103:104]
	s_waitcnt lgkmcnt(3)
	v_fma_f64 v[123:124], -v[35:36], v[179:180], v[139:140]
	v_fma_f64 v[13:14], -v[57:58], v[175:176], v[13:14]
	v_add_u32_e32 v163, s15, v91
	v_fma_f64 v[23:24], -v[69:70], v[145:146], v[127:128]
	v_fma_f64 v[127:128], -v[77:78], v[173:174], v[15:16]
	;; [unrolled: 1-line block ×3, first 2 shown]
	s_add_i32 s15, s10, s14
	v_fma_f64 v[103:104], -v[215:216], v[117:118], v[103:104]
	v_fma_f64 v[123:124], -v[71:72], v[149:150], v[123:124]
	;; [unrolled: 1-line block ×3, first 2 shown]
	ds_read2_b64 v[115:118], v231 offset0:21 offset1:22
	v_fma_f64 v[23:24], -v[33:34], v[187:188], v[23:24]
	v_fma_f64 v[107:108], -v[79:80], v[107:108], v[127:128]
	ds_read2_b64 v[13:16], v231 offset0:23 offset1:24
	v_mul_f64 v[221:222], v[111:112], v[19:20]
	s_waitcnt lgkmcnt(1)
	v_fma_f64 v[103:104], -v[217:218], v[115:116], v[103:104]
	v_fma_f64 v[115:116], -v[25:26], v[151:152], v[123:124]
	;; [unrolled: 1-line block ×3, first 2 shown]
	v_mov_b32_e32 v233, s15
	v_fma_f64 v[23:24], -v[35:36], v[181:182], v[23:24]
	v_fma_f64 v[107:108], -v[81:82], v[105:106], v[107:108]
	s_or_b32 s15, s8, 0x2800
	s_add_i32 s17, s10, s15
	v_fma_f64 v[111:112], -v[17:18], v[21:22], v[103:104]
	v_fma_f64 v[115:116], -v[27:28], v[125:126], v[115:116]
	;; [unrolled: 1-line block ×3, first 2 shown]
	ds_read_b128 v[19:22], v230 offset:176
	ds_read_b128 v[103:106], v84 offset:192
	;; [unrolled: 1-line block ×3, first 2 shown]
	v_fma_f64 v[23:24], -v[71:72], v[135:136], v[23:24]
	v_fma_f64 v[99:100], -v[61:62], v[99:100], v[107:108]
	ds_read2_b64 v[127:130], v233 offset0:21 offset1:22
	ds_read_b128 v[143:146], v84 offset:208
	s_waitcnt lgkmcnt(4)
	v_fma_f64 v[19:20], -v[215:216], v[19:20], v[115:116]
	s_waitcnt lgkmcnt(3)
	v_fma_f64 v[85:86], -v[69:70], v[103:104], v[85:86]
	v_mov_b32_e32 v234, s17
	s_waitcnt lgkmcnt(1)
	v_fma_f64 v[103:104], -v[219:220], v[127:128], v[111:112]
	v_fma_f64 v[23:24], -v[25:26], v[153:154], v[23:24]
	;; [unrolled: 1-line block ×3, first 2 shown]
	ds_read2_b64 v[147:150], v233 offset0:23 offset1:24
	v_fma_f64 v[19:20], -v[217:218], v[117:118], v[19:20]
	v_fma_f64 v[85:86], -v[33:34], v[189:190], v[85:86]
	ds_read2_b64 v[115:118], v73 offset0:25 offset1:26
	v_fma_f64 v[103:104], -v[221:222], v[113:114], v[103:104]
	v_fma_f64 v[23:24], -v[27:28], v[119:120], v[23:24]
	ds_read2_b64 v[111:114], v73 offset0:27 offset1:28
	s_waitcnt lgkmcnt(1)
	v_fma_f64 v[99:100], -v[55:56], v[115:116], v[99:100]
	v_fma_f64 v[107:108], -v[17:18], v[191:192], v[19:20]
	;; [unrolled: 1-line block ×3, first 2 shown]
	v_mov_b32_e32 v19, s11
	s_or_b32 s11, s8, 0x2a00
	v_fma_f64 v[23:24], -v[215:216], v[21:22], v[23:24]
	ds_read2_b64 v[19:22], v19 offset1:1
	s_add_i32 s17, s10, s11
	v_fma_f64 v[99:100], -v[57:58], v[177:178], v[99:100]
	v_fma_f64 v[107:108], -v[219:220], v[129:130], v[107:108]
	;; [unrolled: 1-line block ×3, first 2 shown]
	ds_read_b128 v[127:130], v234 offset:176
	ds_read_b128 v[135:138], v228 offset:192
	;; [unrolled: 1-line block ×3, first 2 shown]
	v_fma_f64 v[13:14], -v[217:218], v[13:14], v[23:24]
	s_waitcnt lgkmcnt(3)
	v_mul_f64 v[223:224], v[19:20], v[103:104]
	ds_write_b64 v163, v[27:28]
	v_fma_f64 v[23:24], -v[63:64], v[159:160], v[99:100]
	s_waitcnt lgkmcnt(3)
	v_fma_f64 v[19:20], -v[221:222], v[127:128], v[107:108]
	s_waitcnt lgkmcnt(2)
	v_fma_f64 v[85:86], -v[25:26], v[135:136], v[85:86]
	ds_read_b128 v[151:154], v228 offset:208
	v_mov_b32_e32 v235, s17
	v_fma_f64 v[13:14], -v[17:18], v[193:194], v[13:14]
	s_or_b32 s17, s5, 23
	s_mul_i32 s18, s17, 0x208
	v_fma_f64 v[23:24], -v[65:66], v[87:88], v[23:24]
	v_fma_f64 v[99:100], -v[223:224], v[21:22], v[19:20]
	;; [unrolled: 1-line block ×3, first 2 shown]
	ds_read2_b64 v[85:88], v75 offset0:25 offset1:26
	ds_read_b128 v[19:22], v93 offset:11440
	ds_read_b128 v[107:110], v98 offset:208
	ds_read2_b64 v[119:122], v75 offset0:27 offset1:28
	v_fma_f64 v[13:14], -v[219:220], v[147:148], v[13:14]
	ds_read_b128 v[163:166], v98 offset:224
	s_waitcnt lgkmcnt(4)
	v_fma_f64 v[23:24], -v[67:68], v[85:86], v[23:24]
	s_waitcnt lgkmcnt(2)
	v_fma_f64 v[9:10], -v[81:82], v[107:108], v[9:10]
	v_fma_f64 v[85:86], -v[215:216], v[123:124], v[103:104]
	v_mul_f64 v[225:226], v[19:20], v[99:100]
	s_or_b32 s8, s8, 0x2c00
	v_fma_f64 v[19:20], -v[221:222], v[129:130], v[13:14]
	v_fma_f64 v[23:24], -v[69:70], v[105:106], v[23:24]
	;; [unrolled: 1-line block ×4, first 2 shown]
	ds_read2_b64 v[13:16], v83 offset0:25 offset1:26
	ds_read2_b64 v[103:106], v235 offset0:23 offset1:24
	ds_read_b128 v[98:101], v232 offset:192
	ds_read_b128 v[127:130], v97 offset:208
	ds_read2_b64 v[167:170], v83 offset0:27 offset1:28
	ds_read_b128 v[175:178], v97 offset:224
	ds_read_b128 v[171:174], v234 offset:240
	ds_read_b128 v[179:182], v232 offset:208
	s_waitcnt lgkmcnt(7)
	v_fma_f64 v[13:14], -v[33:34], v[13:14], v[23:24]
	s_waitcnt lgkmcnt(4)
	v_fma_f64 v[9:10], -v[53:54], v[127:128], v[9:10]
	v_fma_f64 v[19:20], -v[223:224], v[103:104], v[19:20]
	v_fma_f64 v[23:24], -v[17:18], v[98:99], v[85:86]
	v_fma_f64 v[102:103], -v[77:78], v[133:134], v[11:12]
	v_add_u32_e32 v127, s16, v91
	s_add_i32 s16, s10, s8
	v_fma_f64 v[13:14], -v[35:36], v[185:186], v[13:14]
	v_fma_f64 v[9:10], -v[55:56], v[117:118], v[9:10]
	ds_read2_b64 v[183:186], v227 offset0:25 offset1:26
	v_fma_f64 v[85:86], -v[225:226], v[21:22], v[19:20]
	ds_read_b128 v[19:22], v76 offset:208
	ds_read2_b64 v[115:118], v227 offset0:27 offset1:28
	v_fma_f64 v[23:24], -v[219:220], v[149:150], v[23:24]
	ds_read_b128 v[147:150], v76 offset:224
	v_mov_b32_e32 v76, s18
	s_waitcnt lgkmcnt(3)
	v_fma_f64 v[13:14], -v[71:72], v[183:184], v[13:14]
	s_waitcnt lgkmcnt(2)
	v_fma_f64 v[19:20], -v[57:58], v[19:20], v[9:10]
	ds_read2_b64 v[9:12], v96 offset0:27 offset1:28
	ds_read2_b64 v[131:134], v229 offset0:25 offset1:26
	v_fma_f64 v[23:24], -v[221:222], v[139:140], v[23:24]
	s_waitcnt lgkmcnt(1)
	v_fma_f64 v[9:10], -v[79:80], v[9:10], v[102:103]
	v_fma_f64 v[13:14], -v[25:26], v[137:138], v[13:14]
	;; [unrolled: 1-line block ×3, first 2 shown]
	ds_read_b128 v[135:138], v94 offset:208
	ds_read2_b64 v[96:99], v96 offset0:29 offset1:30
	ds_read2_b64 v[187:190], v76 offset1:1
	ds_read2_b64 v[191:194], v231 offset0:25 offset1:26
	ds_read2_b64 v[195:198], v231 offset0:27 offset1:28
	v_fma_f64 v[9:10], -v[81:82], v[109:110], v[9:10]
	v_fma_f64 v[23:24], -v[223:224], v[105:106], v[23:24]
	s_waitcnt lgkmcnt(5)
	v_fma_f64 v[13:14], -v[27:28], v[131:132], v[13:14]
	s_waitcnt lgkmcnt(4)
	v_fma_f64 v[19:20], -v[65:66], v[135:136], v[19:20]
	v_mov_b32_e32 v135, s16
	ds_read2_b64 v[159:162], v229 offset0:27 offset1:28
	ds_read_b128 v[106:109], v135 offset:192
	ds_read_b128 v[102:105], v94 offset:224
	s_waitcnt lgkmcnt(5)
	v_mul_f64 v[131:132], v[187:188], v[85:86]
	ds_write_b64 v127, v[215:216]
	v_fma_f64 v[13:14], -v[215:216], v[125:126], v[13:14]
	v_fma_f64 v[19:20], -v[67:68], v[87:88], v[19:20]
	ds_read2_b64 v[123:126], v95 offset0:27 offset1:28
	ds_read2_b64 v[85:88], v95 offset0:29 offset1:30
	s_waitcnt lgkmcnt(4)
	v_fma_f64 v[23:24], -v[225:226], v[106:107], v[23:24]
	s_lshl_b32 s16, s17, 9
	s_or_b32 s17, s5, 24
	s_waitcnt lgkmcnt(1)
	v_fma_f64 v[9:10], -v[61:62], v[123:124], v[9:10]
	v_fma_f64 v[13:14], -v[217:218], v[191:192], v[13:14]
	;; [unrolled: 1-line block ×3, first 2 shown]
	s_mul_i32 s19, s17, 0x208
	s_add_i32 s18, s10, s16
	v_fma_f64 v[23:24], -v[131:132], v[189:190], v[23:24]
	s_lshl_b32 s17, s17, 9
	v_fma_f64 v[9:10], -v[53:54], v[129:130], v[9:10]
	v_fma_f64 v[94:95], -v[17:18], v[100:101], v[13:14]
	;; [unrolled: 1-line block ×3, first 2 shown]
	ds_read2_b64 v[127:130], v233 offset0:25 offset1:26
	ds_read_b128 v[187:190], v93 offset:224
	ds_read_b128 v[13:16], v207 offset:208
	;; [unrolled: 1-line block ×3, first 2 shown]
	ds_read2_b64 v[203:206], v233 offset0:27 offset1:28
	ds_read_b128 v[207:210], v207 offset:224
	v_fma_f64 v[9:10], -v[55:56], v[111:112], v[9:10]
	s_waitcnt lgkmcnt(4)
	v_fma_f64 v[5:6], -v[77:78], v[187:188], v[5:6]
	v_fma_f64 v[93:94], -v[219:220], v[127:128], v[94:95]
	s_waitcnt lgkmcnt(3)
	v_fma_f64 v[13:14], -v[35:36], v[13:14], v[19:20]
	v_fma_f64 v[106:107], -v[77:78], v[189:190], v[7:8]
	v_mov_b32_e32 v19, s19
	s_waitcnt lgkmcnt(2)
	v_fma_f64 v[1:2], -v[77:78], v[199:200], v[1:2]
	v_mov_b32_e32 v112, s18
	v_fma_f64 v[100:101], -v[57:58], v[21:22], v[9:10]
	v_fma_f64 v[5:6], -v[79:80], v[11:12], v[5:6]
	;; [unrolled: 1-line block ×4, first 2 shown]
	ds_read_b128 v[9:12], v19
	ds_read2_b64 v[19:22], v74 offset0:27 offset1:28
	ds_read2_b64 v[139:142], v235 offset0:25 offset1:26
	;; [unrolled: 1-line block ×3, first 2 shown]
	v_fma_f64 v[1:2], -v[79:80], v[98:99], v[1:2]
	s_waitcnt lgkmcnt(3)
	v_mul_f64 v[110:111], v[9:10], v[23:24]
	s_waitcnt lgkmcnt(2)
	v_fma_f64 v[19:20], -v[63:64], v[19:20], v[100:101]
	v_fma_f64 v[100:101], -v[81:82], v[163:164], v[5:6]
	s_waitcnt lgkmcnt(1)
	v_fma_f64 v[93:94], -v[223:224], v[139:140], v[93:94]
	v_fma_f64 v[13:14], -v[25:26], v[151:152], v[13:14]
	;; [unrolled: 1-line block ×5, first 2 shown]
	ds_read2_b64 v[183:186], v74 offset0:29 offset1:30
	v_fma_f64 v[9:10], -v[65:66], v[137:138], v[19:20]
	v_fma_f64 v[19:20], -v[61:62], v[125:126], v[100:101]
	;; [unrolled: 1-line block ×5, first 2 shown]
	ds_read2_b64 v[93:96], v112 offset0:25 offset1:26
	ds_read2_b64 v[106:109], v112 offset0:27 offset1:28
	ds_read_b128 v[123:126], v230 offset:208
	v_fma_f64 v[9:10], -v[67:68], v[119:120], v[9:10]
	v_fma_f64 v[19:20], -v[53:54], v[175:176], v[19:20]
	s_waitcnt lgkmcnt(2)
	v_fma_f64 v[93:94], -v[131:132], v[93:94], v[100:101]
	ds_read_b128 v[97:100], v230 offset:224
	v_fma_f64 v[23:24], -v[61:62], v[85:86], v[23:24]
	s_waitcnt lgkmcnt(1)
	v_fma_f64 v[13:14], -v[215:216], v[123:124], v[13:14]
	v_fma_f64 v[49:50], -v[61:62], v[87:88], v[49:50]
	ds_read_b128 v[5:8], v135 offset:240
	v_fma_f64 v[9:10], -v[69:70], v[145:146], v[9:10]
	v_fma_f64 v[19:20], -v[55:56], v[113:114], v[19:20]
	v_fma_f64 v[76:77], -v[110:111], v[11:12], v[93:94]
	s_or_b32 s19, s5, 25
	v_fma_f64 v[11:12], -v[53:54], v[177:178], v[23:24]
	v_fma_f64 v[13:14], -v[217:218], v[193:194], v[13:14]
	;; [unrolled: 1-line block ×3, first 2 shown]
	ds_read2_b64 v[1:4], v73 offset0:29 offset1:30
	ds_read_b64 v[78:79], v73 offset:248
	v_fma_f64 v[9:10], -v[33:34], v[167:168], v[9:10]
	v_fma_f64 v[19:20], -v[57:58], v[147:148], v[19:20]
	s_mul_i32 s20, s19, 0x208
	s_waitcnt lgkmcnt(1)
	v_fma_f64 v[1:2], -v[55:56], v[1:2], v[11:12]
	v_fma_f64 v[11:12], -v[17:18], v[179:180], v[13:14]
	;; [unrolled: 1-line block ×3, first 2 shown]
	s_add_i32 s18, s10, s17
	v_fma_f64 v[9:10], -v[35:36], v[15:16], v[9:10]
	v_fma_f64 v[15:16], -v[63:64], v[21:22], v[19:20]
	;; [unrolled: 1-line block ×6, first 2 shown]
	v_mov_b32_e32 v61, s20
	s_or_b32 s20, s5, 26
	v_fma_f64 v[21:22], -v[71:72], v[115:116], v[9:10]
	v_fma_f64 v[15:16], -v[65:66], v[102:103], v[15:16]
	ds_read_b128 v[9:12], v234 offset:208
	v_fma_f64 v[19:20], -v[55:56], v[3:4], v[19:20]
	ds_read_b128 v[1:4], v84 offset:224
	v_fma_f64 v[47:48], -v[53:54], v[47:48], v[49:50]
	s_mul_i32 s21, s20, 0x208
	v_fma_f64 v[51:52], -v[25:26], v[153:154], v[21:22]
	v_fma_f64 v[59:60], -v[67:68], v[121:122], v[15:16]
	ds_read_b128 v[13:16], v234 offset:224
	s_waitcnt lgkmcnt(2)
	v_fma_f64 v[9:10], -v[221:222], v[9:10], v[45:46]
	v_fma_f64 v[41:42], -v[57:58], v[41:42], v[19:20]
	;; [unrolled: 1-line block ×3, first 2 shown]
	ds_read2_b64 v[45:48], v75 offset0:29 offset1:30
	v_fma_f64 v[23:24], -v[63:64], v[183:184], v[23:24]
	ds_read_b128 v[19:22], v84 offset:240
	s_waitcnt lgkmcnt(3)
	v_fma_f64 v[1:2], -v[69:70], v[1:2], v[59:60]
	v_fma_f64 v[53:54], -v[27:28], v[159:160], v[51:52]
	;; [unrolled: 1-line block ×4, first 2 shown]
	ds_read_b64 v[59:60], v75 offset:248
	ds_read_b128 v[49:52], v135 offset:208
	v_fma_f64 v[23:24], -v[65:66], v[104:105], v[23:24]
	v_fma_f64 v[1:2], -v[33:34], v[169:170], v[1:2]
	;; [unrolled: 1-line block ×4, first 2 shown]
	s_waitcnt lgkmcnt(3)
	v_fma_f64 v[23:24], -v[67:68], v[45:46], v[23:24]
	v_fma_f64 v[45:46], -v[57:58], v[43:44], v[55:56]
	ds_read_b64 v[55:56], v74 offset:248
	ds_read_b128 v[41:44], v135 offset:224
	s_waitcnt lgkmcnt(2)
	v_fma_f64 v[9:10], -v[225:226], v[49:50], v[9:10]
	v_fma_f64 v[57:58], -v[35:36], v[207:208], v[1:2]
	;; [unrolled: 1-line block ×5, first 2 shown]
	s_waitcnt lgkmcnt(1)
	v_fma_f64 v[49:50], -v[63:64], v[55:56], v[45:46]
	ds_read2_b64 v[1:4], v83 offset0:29 offset1:30
	ds_read_b64 v[73:74], v83 offset:248
	ds_read_b128 v[45:48], v228 offset:224
	v_fma_f64 v[55:56], -v[71:72], v[117:118], v[57:58]
	v_fma_f64 v[9:10], -v[131:132], v[95:96], v[9:10]
	;; [unrolled: 1-line block ×3, first 2 shown]
	s_waitcnt lgkmcnt(2)
	v_fma_f64 v[1:2], -v[33:34], v[1:2], v[23:24]
	v_fma_f64 v[23:24], -v[65:66], v[39:40], v[49:50]
	;; [unrolled: 1-line block ×3, first 2 shown]
	ds_read_b128 v[37:40], v228 offset:240
	v_mov_b32_e32 v65, s18
	s_waitcnt lgkmcnt(1)
	v_fma_f64 v[45:46], -v[25:26], v[45:46], v[55:56]
	ds_read2_b64 v[53:56], v227 offset0:29 offset1:30
	v_fma_f64 v[3:4], -v[33:34], v[3:4], v[19:20]
	v_fma_f64 v[1:2], -v[35:36], v[209:210], v[1:2]
	;; [unrolled: 1-line block ×4, first 2 shown]
	ds_read2_b64 v[57:60], v61 offset1:1
	ds_read_b128 v[61:64], v65 offset:208
	ds_read_b64 v[49:50], v227 offset:248
	v_fma_f64 v[45:46], -v[27:28], v[161:162], v[45:46]
	s_lshl_b32 s18, s19, 9
	s_add_i32 s19, s10, s18
	s_waitcnt lgkmcnt(3)
	v_fma_f64 v[1:2], -v[71:72], v[53:54], v[1:2]
	v_fma_f64 v[21:22], -v[69:70], v[21:22], v[23:24]
	;; [unrolled: 1-line block ×4, first 2 shown]
	s_waitcnt lgkmcnt(2)
	v_mul_f64 v[53:54], v[57:58], v[76:77]
	v_fma_f64 v[29:30], -v[215:216], v[97:98], v[45:46]
	v_fma_f64 v[19:20], -v[25:26], v[47:48], v[1:2]
	;; [unrolled: 1-line block ×3, first 2 shown]
	ds_read2_b64 v[1:4], v229 offset0:29 offset1:30
	v_fma_f64 v[23:24], -v[71:72], v[55:56], v[23:24]
	v_fma_f64 v[45:46], -v[223:224], v[211:212], v[11:12]
	;; [unrolled: 1-line block ×3, first 2 shown]
	s_waitcnt lgkmcnt(2)
	v_fma_f64 v[33:34], -v[110:111], v[61:62], v[9:10]
	ds_read_b128 v[9:12], v232 offset:224
	s_waitcnt lgkmcnt(1)
	v_fma_f64 v[1:2], -v[27:28], v[1:2], v[19:20]
	v_fma_f64 v[31:32], -v[35:36], v[31:32], v[21:22]
	ds_read_b64 v[47:48], v229 offset:248
	v_fma_f64 v[23:24], -v[25:26], v[37:38], v[23:24]
	v_fma_f64 v[35:36], -v[225:226], v[51:52], v[45:46]
	ds_read_b128 v[19:22], v232 offset:240
	v_fma_f64 v[33:34], -v[53:54], v[59:60], v[33:34]
	v_mov_b32_e32 v45, s21
	v_fma_f64 v[1:2], -v[215:216], v[99:100], v[1:2]
	v_fma_f64 v[37:38], -v[71:72], v[49:50], v[31:32]
	v_mov_b32_e32 v46, s19
	v_fma_f64 v[3:4], -v[27:28], v[3:4], v[23:24]
	v_fma_f64 v[23:24], -v[131:132], v[106:107], v[35:36]
	ds_read_b64 v[35:36], v231 offset:248
	s_waitcnt lgkmcnt(3)
	v_fma_f64 v[9:10], -v[17:18], v[9:10], v[29:30]
	ds_read2_b64 v[29:32], v231 offset0:29 offset1:30
	v_fma_f64 v[25:26], -v[25:26], v[39:40], v[37:38]
	s_waitcnt lgkmcnt(0)
	v_fma_f64 v[1:2], -v[217:218], v[29:30], v[1:2]
	v_fma_f64 v[29:30], -v[215:216], v[155:156], v[3:4]
	;; [unrolled: 1-line block ×6, first 2 shown]
	ds_read2_b64 v[1:4], v233 offset0:29 offset1:30
	v_fma_f64 v[13:14], -v[221:222], v[13:14], v[9:10]
	v_fma_f64 v[29:30], -v[217:218], v[31:32], v[29:30]
	ds_read_b128 v[9:12], v45
	ds_read2_b64 v[23:26], v46 offset0:27 offset1:28
	ds_read_b64 v[31:32], v233 offset:248
	v_fma_f64 v[27:28], -v[215:216], v[157:158], v[27:28]
	s_waitcnt lgkmcnt(3)
	v_fma_f64 v[1:2], -v[219:220], v[1:2], v[39:40]
	v_add_u32_e32 v39, s13, v91
	v_fma_f64 v[13:14], -v[223:224], v[213:214], v[13:14]
	v_fma_f64 v[19:20], -v[17:18], v[19:20], v[29:30]
	s_waitcnt lgkmcnt(2)
	v_mul_f64 v[29:30], v[9:10], v[33:34]
	v_fma_f64 v[27:28], -v[217:218], v[35:36], v[27:28]
	s_waitcnt lgkmcnt(1)
	v_fma_f64 v[9:10], -v[53:54], v[23:24], v[37:38]
	ds_read_b64 v[33:34], v235 offset:248
	v_fma_f64 v[1:2], -v[221:222], v[15:16], v[1:2]
	s_lshl_b32 s13, s20, 9
	v_fma_f64 v[23:24], -v[225:226], v[41:42], v[13:14]
	ds_read2_b64 v[13:16], v235 offset0:29 offset1:30
	v_fma_f64 v[3:4], -v[219:220], v[3:4], v[19:20]
	v_fma_f64 v[19:20], -v[17:18], v[21:22], v[27:28]
	;; [unrolled: 1-line block ×3, first 2 shown]
	ds_read_b128 v[9:12], v65 offset:240
	s_waitcnt lgkmcnt(1)
	v_fma_f64 v[13:14], -v[223:224], v[13:14], v[1:2]
	s_or_b32 s20, s5, 27
	v_fma_f64 v[21:22], -v[131:132], v[108:109], v[23:24]
	s_mul_i32 s21, s20, 0x208
	v_fma_f64 v[23:24], -v[221:222], v[171:172], v[3:4]
	ds_read_b128 v[1:4], v65 offset:224
	v_fma_f64 v[31:32], -v[219:220], v[31:32], v[19:20]
	ds_write_b64 v39, v[217:218]
	v_fma_f64 v[27:28], -v[225:226], v[43:44], v[13:14]
	v_mov_b32_e32 v13, s21
	s_waitcnt lgkmcnt(1)
	v_fma_f64 v[1:2], -v[110:111], v[1:2], v[21:22]
	ds_read2_b64 v[19:22], v112 offset0:29 offset1:30
	v_fma_f64 v[23:24], -v[223:224], v[15:16], v[23:24]
	s_add_i32 s19, s10, s13
	ds_read2_b64 v[13:16], v13 offset1:1
	ds_read_b64 v[37:38], v112 offset:248
	v_mov_b32_e32 v39, s19
	s_waitcnt lgkmcnt(2)
	v_fma_f64 v[19:20], -v[131:132], v[19:20], v[27:28]
	v_fma_f64 v[27:28], -v[221:222], v[173:174], v[31:32]
	;; [unrolled: 1-line block ×3, first 2 shown]
	s_waitcnt lgkmcnt(1)
	v_mul_f64 v[31:32], v[13:14], v[35:36]
	v_fma_f64 v[5:6], -v[225:226], v[5:6], v[23:24]
	ds_read_b128 v[23:26], v39 offset:224
	v_add_u32_e32 v40, s12, v91
	s_lshl_b32 s12, s20, 9
	v_fma_f64 v[13:14], -v[110:111], v[3:4], v[19:20]
	v_fma_f64 v[19:20], -v[223:224], v[33:34], v[27:28]
	s_or_b32 s20, s5, 28
	s_add_i32 s19, s10, s12
	v_fma_f64 v[5:6], -v[131:132], v[21:22], v[5:6]
	ds_read_b64 v[21:22], v46 offset:248
	s_waitcnt lgkmcnt(1)
	v_fma_f64 v[23:24], -v[29:30], v[23:24], v[1:2]
	ds_read2_b64 v[1:4], v46 offset0:29 offset1:30
	s_mul_i32 s21, s20, 0x208
	v_mov_b32_e32 v27, s19
	ds_write_b64 v40, v[17:18]
	s_waitcnt lgkmcnt(1)
	v_fma_f64 v[1:2], -v[53:54], v[1:2], v[13:14]
	v_fma_f64 v[13:14], -v[225:226], v[7:8], v[19:20]
	;; [unrolled: 1-line block ×4, first 2 shown]
	v_mov_b32_e32 v5, s21
	ds_read_b128 v[5:8], v5
	v_fma_f64 v[23:24], -v[29:30], v[25:26], v[1:2]
	v_fma_f64 v[25:26], -v[131:132], v[37:38], v[13:14]
	ds_read2_b64 v[13:16], v27 offset0:29 offset1:30
	v_fma_f64 v[9:10], -v[53:54], v[3:4], v[9:10]
	ds_read_b128 v[1:4], v39 offset:240
	ds_read_b64 v[27:28], v27 offset:248
	s_waitcnt lgkmcnt(3)
	v_mul_f64 v[19:20], v[5:6], v[19:20]
	s_waitcnt lgkmcnt(2)
	v_fma_f64 v[5:6], -v[31:32], v[13:14], v[23:24]
	v_fma_f64 v[11:12], -v[110:111], v[11:12], v[25:26]
	v_add_u32_e32 v13, s14, v91
	s_waitcnt lgkmcnt(1)
	v_fma_f64 v[1:2], -v[29:30], v[1:2], v[9:10]
	ds_write_b64 v13, v[219:220]
	s_lshl_b32 s14, s20, 9
	s_or_b32 s20, s5, 29
	s_add_i32 s19, s10, s14
	v_fma_f64 v[13:14], -v[19:20], v[7:8], v[5:6]
	v_fma_f64 v[17:18], -v[53:54], v[21:22], v[11:12]
	s_mul_i32 s21, s20, 0x208
	v_fma_f64 v[1:2], -v[31:32], v[15:16], v[1:2]
	v_mov_b32_e32 v5, s21
	v_mov_b32_e32 v9, s19
	ds_read2_b64 v[5:8], v5 offset1:1
	ds_read_b128 v[9:12], v9 offset:240
	v_add_u32_e32 v15, s15, v91
	ds_write_b64 v15, v[221:222]
	v_fma_f64 v[3:4], -v[29:30], v[3:4], v[17:18]
	s_waitcnt lgkmcnt(2)
	v_mul_f64 v[5:6], v[5:6], v[13:14]
	s_waitcnt lgkmcnt(1)
	v_fma_f64 v[1:2], -v[19:20], v[9:10], v[1:2]
	v_add_u32_e32 v9, s11, v91
	ds_write_b64 v9, v[223:224]
	v_add_u32_e32 v9, s8, v91
	ds_write_b64 v9, v[225:226]
	s_lshl_b32 s8, s20, 9
	v_fma_f64 v[3:4], -v[31:32], v[27:28], v[3:4]
	s_or_b32 s11, s5, 30
	v_fma_f64 v[7:8], -v[5:6], v[7:8], v[1:2]
	s_add_i32 s10, s10, s8
	s_mul_i32 s15, s11, 0x208
	v_mov_b32_e32 v1, s15
	v_add_u32_e32 v13, s16, v91
	v_fma_f64 v[9:10], -v[19:20], v[11:12], v[3:4]
	v_mov_b32_e32 v11, s10
	ds_read_b128 v[1:4], v1
	ds_read_b64 v[11:12], v11 offset:248
	s_or_b32 s10, s5, 31
	ds_write_b64 v13, v[131:132]
	v_add_u32_e32 v13, s17, v91
	s_waitcnt lgkmcnt(2)
	v_mul_f64 v[1:2], v[1:2], v[7:8]
	ds_write_b64 v13, v[110:111]
	s_waitcnt lgkmcnt(2)
	v_fma_f64 v[7:8], -v[5:6], v[11:12], v[9:10]
	v_add_u32_e32 v9, s18, v91
	ds_write_b64 v9, v[53:54]
	v_add_u32_e32 v9, s13, v91
	ds_write_b64 v9, v[29:30]
	v_add_u32_e32 v9, s12, v91
	s_mul_i32 s12, s10, 0x208
	ds_write_b64 v9, v[31:32]
	v_fma_f64 v[3:4], -v[1:2], v[3:4], v[7:8]
	v_mov_b32_e32 v7, s12
	ds_read_b64 v[7:8], v7
	v_add_u32_e32 v9, s14, v91
	ds_write_b64 v9, v[19:20]
	v_add_u32_e32 v9, s8, v91
	ds_write_b64 v9, v[5:6]
	v_lshl_add_u32 v5, s11, 9, v91
	s_waitcnt lgkmcnt(2)
	v_mul_f64 v[3:4], v[7:8], v[3:4]
	s_add_i32 s8, s5, 32
	s_add_i32 s5, s5, 63
	ds_write_b64 v5, v[1:2]
	v_lshl_add_u32 v1, s10, 9, v91
	s_cmp_lt_i32 s5, s22
	ds_write_b64 v1, v[3:4]
	s_cbranch_scc0 .LBB109_50
; %bb.49:                               ;   in Loop: Header=BB109_46 Depth=1
	s_mov_b32 s5, s8
	s_branch .LBB109_46
.LBB109_50:
	s_cmp_lt_i32 s8, s22
	s_cbranch_scc0 .LBB109_63
; %bb.51:
	s_add_i32 s4, s8, 3
	s_cmp_ge_i32 s4, s22
	s_cbranch_scc1 .LBB109_57
; %bb.52:
	v_mov_b32_e32 v1, 0x8000
	s_lshl_b32 s4, s8, 3
	v_lshl_or_b32 v9, v0, 3, v1
.LBB109_53:                             ; =>This Loop Header: Depth=1
                                        ;     Child Loop BB109_54 Depth 2
	s_lshl_b32 s5, s8, 9
	v_add_u32_e32 v10, s5, v91
	ds_read2st64_b64 v[5:8], v10 offset1:1
	ds_read2st64_b64 v[1:4], v10 offset0:2 offset1:3
	s_cmp_eq_u32 s8, 0
	v_mov_b32_e32 v11, v9
	s_mov_b32 s10, s4
	s_mov_b32 s11, s8
	s_cbranch_scc1 .LBB109_55
.LBB109_54:                             ;   Parent Loop BB109_53 Depth=1
                                        ; =>  This Inner Loop Header: Depth=2
	v_mov_b32_e32 v16, s10
	ds_read_b64 v[20:21], v11
	ds_read2_b64 v[12:15], v16 offset1:1
	ds_read2_b64 v[16:19], v16 offset0:2 offset1:3
	s_add_i32 s11, s11, -1
	s_addk_i32 s10, 0x200
	s_cmp_lg_u32 s11, 0
	s_waitcnt lgkmcnt(1)
	v_fma_f64 v[5:6], -v[20:21], v[12:13], v[5:6]
	v_fma_f64 v[7:8], -v[20:21], v[14:15], v[7:8]
	s_waitcnt lgkmcnt(0)
	v_fma_f64 v[1:2], -v[20:21], v[16:17], v[1:2]
	v_fma_f64 v[3:4], -v[20:21], v[18:19], v[3:4]
	v_add_u32_e32 v11, 0x200, v11
	s_cbranch_scc1 .LBB109_54
.LBB109_55:                             ;   in Loop: Header=BB109_53 Depth=1
	s_lshl_b32 s10, s8, 3
	s_add_i32 s11, s10, s5
	v_mov_b32_e32 v23, s11
	ds_read2_b64 v[11:14], v23 offset1:1
	ds_read2_b64 v[15:18], v23 offset0:2 offset1:3
	s_addk_i32 s5, 0x200
	s_add_i32 s10, s10, s5
	s_add_i32 s4, s4, 32
	s_waitcnt lgkmcnt(1)
	v_mul_f64 v[19:20], v[11:12], v[5:6]
	v_fma_f64 v[21:22], -v[19:20], v[13:14], v[7:8]
	ds_read2_b64 v[5:8], v23 offset0:65 offset1:66
	ds_read2_b64 v[11:14], v23 offset0:130 offset1:131
	s_waitcnt lgkmcnt(2)
	v_fma_f64 v[1:2], -v[19:20], v[15:16], v[1:2]
	v_fma_f64 v[3:4], -v[19:20], v[17:18], v[3:4]
	s_waitcnt lgkmcnt(1)
	v_mul_f64 v[5:6], v[5:6], v[21:22]
	v_fma_f64 v[1:2], -v[5:6], v[7:8], v[1:2]
	v_mov_b32_e32 v7, s10
	ds_read_b64 v[7:8], v7 offset:24
	ds_read_b64 v[15:16], v23 offset:1560
	s_waitcnt lgkmcnt(1)
	v_fma_f64 v[3:4], -v[5:6], v[7:8], v[3:4]
	v_add_u32_e32 v7, s5, v91
	v_mul_f64 v[1:2], v[11:12], v[1:2]
	s_add_i32 s5, s8, 4
	s_add_i32 s8, s8, 7
	s_cmp_lt_i32 s8, s22
	ds_write_b64 v7, v[5:6]
	ds_write2st64_b64 v10, v[19:20], v[1:2] offset1:2
	v_fma_f64 v[3:4], -v[1:2], v[13:14], v[3:4]
	s_waitcnt lgkmcnt(2)
	v_mul_f64 v[3:4], v[15:16], v[3:4]
	ds_write_b64 v10, v[3:4] offset:1536
	s_cbranch_scc0 .LBB109_58
; %bb.56:                               ;   in Loop: Header=BB109_53 Depth=1
	s_mov_b32 s8, s5
	s_branch .LBB109_53
.LBB109_57:
	s_mov_b32 s5, s8
.LBB109_58:
	s_cmp_ge_i32 s5, s22
	s_cbranch_scc1 .LBB109_63
; %bb.59:
	v_mov_b32_e32 v1, 0x8000
	s_lshl_b32 s4, s5, 3
	v_lshl_or_b32 v3, v0, 3, v1
	s_branch .LBB109_61
.LBB109_60:                             ;   in Loop: Header=BB109_61 Depth=1
	s_lshl_b32 s10, s5, 3
	s_add_i32 s8, s10, s8
	v_mov_b32_e32 v5, s8
	ds_read_b64 v[5:6], v5
	s_add_i32 s5, s5, 1
	s_add_i32 s4, s4, 8
	s_cmp_ge_i32 s5, s22
	s_waitcnt lgkmcnt(0)
	v_mul_f64 v[1:2], v[5:6], v[1:2]
	ds_write_b64 v4, v[1:2]
	s_cbranch_scc1 .LBB109_63
.LBB109_61:                             ; =>This Loop Header: Depth=1
                                        ;     Child Loop BB109_62 Depth 2
	s_lshl_b32 s8, s5, 9
	v_add_u32_e32 v4, s8, v91
	ds_read_b64 v[1:2], v4
	s_cmp_eq_u32 s5, 0
	v_mov_b32_e32 v5, v3
	s_mov_b32 s10, s4
	s_mov_b32 s11, s5
	s_cbranch_scc1 .LBB109_60
.LBB109_62:                             ;   Parent Loop BB109_61 Depth=1
                                        ; =>  This Inner Loop Header: Depth=2
	v_mov_b32_e32 v8, s10
	ds_read_b64 v[6:7], v5
	ds_read_b64 v[8:9], v8
	s_add_i32 s11, s11, -1
	s_addk_i32 s10, 0x200
	s_cmp_lg_u32 s11, 0
	v_add_u32_e32 v5, 0x200, v5
	s_waitcnt lgkmcnt(0)
	v_fma_f64 v[1:2], -v[6:7], v[8:9], v[1:2]
	s_cbranch_scc1 .LBB109_62
	s_branch .LBB109_60
.LBB109_63:
	s_waitcnt lgkmcnt(0)
	; wave barrier
	s_and_saveexec_b64 s[4:5], s[0:1]
	s_cbranch_execz .LBB109_67
; %bb.64:
	s_andn2_b64 vcc, exec, s[2:3]
	s_cbranch_vccnz .LBB109_67
; %bb.65:
	v_mad_i64_i32 v[1:2], s[0:1], s9, v0, 0
	v_mov_b32_e32 v3, s7
	v_lshlrev_b64 v[1:2], 3, v[1:2]
	v_add_co_u32_e32 v1, vcc, s6, v1
	v_addc_co_u32_e32 v2, vcc, v3, v2, vcc
	v_mov_b32_e32 v3, 0x8000
	v_lshl_or_b32 v0, v0, 3, v3
.LBB109_66:                             ; =>This Inner Loop Header: Depth=1
	ds_read_b64 v[3:4], v0
	s_add_i32 s22, s22, -1
	v_add_u32_e32 v0, 0x200, v0
	s_cmp_lg_u32 s22, 0
	s_waitcnt lgkmcnt(0)
	global_store_dwordx2 v[1:2], v[3:4], off
	v_add_co_u32_e32 v1, vcc, 8, v1
	v_addc_co_u32_e32 v2, vcc, 0, v2, vcc
	s_cbranch_scc1 .LBB109_66
.LBB109_67:
	s_endpgm
	.section	.rodata,"a",@progbits
	.p2align	6, 0x0
	.amdhsa_kernel _ZL38rocblas_trsm_small_left_device_sharedBILi64ELi32ELb1EddPKdPdEv13rocblas_fill_18rocblas_operation_17rocblas_diagonal_iiT3_T4_lilT5_lili
		.amdhsa_group_segment_fixed_size 65536
		.amdhsa_private_segment_fixed_size 0
		.amdhsa_kernarg_size 360
		.amdhsa_user_sgpr_count 6
		.amdhsa_user_sgpr_private_segment_buffer 1
		.amdhsa_user_sgpr_dispatch_ptr 0
		.amdhsa_user_sgpr_queue_ptr 0
		.amdhsa_user_sgpr_kernarg_segment_ptr 1
		.amdhsa_user_sgpr_dispatch_id 0
		.amdhsa_user_sgpr_flat_scratch_init 0
		.amdhsa_user_sgpr_private_segment_size 0
		.amdhsa_uses_dynamic_stack 0
		.amdhsa_system_sgpr_private_segment_wavefront_offset 0
		.amdhsa_system_sgpr_workgroup_id_x 1
		.amdhsa_system_sgpr_workgroup_id_y 0
		.amdhsa_system_sgpr_workgroup_id_z 1
		.amdhsa_system_sgpr_workgroup_info 0
		.amdhsa_system_vgpr_workitem_id 0
		.amdhsa_next_free_vgpr 236
		.amdhsa_next_free_sgpr 98
		.amdhsa_reserve_vcc 1
		.amdhsa_reserve_flat_scratch 0
		.amdhsa_float_round_mode_32 0
		.amdhsa_float_round_mode_16_64 0
		.amdhsa_float_denorm_mode_32 3
		.amdhsa_float_denorm_mode_16_64 3
		.amdhsa_dx10_clamp 1
		.amdhsa_ieee_mode 1
		.amdhsa_fp16_overflow 0
		.amdhsa_exception_fp_ieee_invalid_op 0
		.amdhsa_exception_fp_denorm_src 0
		.amdhsa_exception_fp_ieee_div_zero 0
		.amdhsa_exception_fp_ieee_overflow 0
		.amdhsa_exception_fp_ieee_underflow 0
		.amdhsa_exception_fp_ieee_inexact 0
		.amdhsa_exception_int_div_zero 0
	.end_amdhsa_kernel
	.section	.text._ZL38rocblas_trsm_small_left_device_sharedBILi64ELi32ELb1EddPKdPdEv13rocblas_fill_18rocblas_operation_17rocblas_diagonal_iiT3_T4_lilT5_lili,"axG",@progbits,_ZL38rocblas_trsm_small_left_device_sharedBILi64ELi32ELb1EddPKdPdEv13rocblas_fill_18rocblas_operation_17rocblas_diagonal_iiT3_T4_lilT5_lili,comdat
.Lfunc_end109:
	.size	_ZL38rocblas_trsm_small_left_device_sharedBILi64ELi32ELb1EddPKdPdEv13rocblas_fill_18rocblas_operation_17rocblas_diagonal_iiT3_T4_lilT5_lili, .Lfunc_end109-_ZL38rocblas_trsm_small_left_device_sharedBILi64ELi32ELb1EddPKdPdEv13rocblas_fill_18rocblas_operation_17rocblas_diagonal_iiT3_T4_lilT5_lili
                                        ; -- End function
	.set _ZL38rocblas_trsm_small_left_device_sharedBILi64ELi32ELb1EddPKdPdEv13rocblas_fill_18rocblas_operation_17rocblas_diagonal_iiT3_T4_lilT5_lili.num_vgpr, 236
	.set _ZL38rocblas_trsm_small_left_device_sharedBILi64ELi32ELb1EddPKdPdEv13rocblas_fill_18rocblas_operation_17rocblas_diagonal_iiT3_T4_lilT5_lili.num_agpr, 0
	.set _ZL38rocblas_trsm_small_left_device_sharedBILi64ELi32ELb1EddPKdPdEv13rocblas_fill_18rocblas_operation_17rocblas_diagonal_iiT3_T4_lilT5_lili.numbered_sgpr, 51
	.set _ZL38rocblas_trsm_small_left_device_sharedBILi64ELi32ELb1EddPKdPdEv13rocblas_fill_18rocblas_operation_17rocblas_diagonal_iiT3_T4_lilT5_lili.num_named_barrier, 0
	.set _ZL38rocblas_trsm_small_left_device_sharedBILi64ELi32ELb1EddPKdPdEv13rocblas_fill_18rocblas_operation_17rocblas_diagonal_iiT3_T4_lilT5_lili.private_seg_size, 0
	.set _ZL38rocblas_trsm_small_left_device_sharedBILi64ELi32ELb1EddPKdPdEv13rocblas_fill_18rocblas_operation_17rocblas_diagonal_iiT3_T4_lilT5_lili.uses_vcc, 1
	.set _ZL38rocblas_trsm_small_left_device_sharedBILi64ELi32ELb1EddPKdPdEv13rocblas_fill_18rocblas_operation_17rocblas_diagonal_iiT3_T4_lilT5_lili.uses_flat_scratch, 0
	.set _ZL38rocblas_trsm_small_left_device_sharedBILi64ELi32ELb1EddPKdPdEv13rocblas_fill_18rocblas_operation_17rocblas_diagonal_iiT3_T4_lilT5_lili.has_dyn_sized_stack, 0
	.set _ZL38rocblas_trsm_small_left_device_sharedBILi64ELi32ELb1EddPKdPdEv13rocblas_fill_18rocblas_operation_17rocblas_diagonal_iiT3_T4_lilT5_lili.has_recursion, 0
	.set _ZL38rocblas_trsm_small_left_device_sharedBILi64ELi32ELb1EddPKdPdEv13rocblas_fill_18rocblas_operation_17rocblas_diagonal_iiT3_T4_lilT5_lili.has_indirect_call, 0
	.section	.AMDGPU.csdata,"",@progbits
; Kernel info:
; codeLenInByte = 23068
; TotalNumSgprs: 55
; NumVgprs: 236
; ScratchSize: 0
; MemoryBound: 0
; FloatMode: 240
; IeeeMode: 1
; LDSByteSize: 65536 bytes/workgroup (compile time only)
; SGPRBlocks: 12
; VGPRBlocks: 58
; NumSGPRsForWavesPerEU: 102
; NumVGPRsForWavesPerEU: 236
; Occupancy: 1
; WaveLimiterHint : 0
; COMPUTE_PGM_RSRC2:SCRATCH_EN: 0
; COMPUTE_PGM_RSRC2:USER_SGPR: 6
; COMPUTE_PGM_RSRC2:TRAP_HANDLER: 0
; COMPUTE_PGM_RSRC2:TGID_X_EN: 1
; COMPUTE_PGM_RSRC2:TGID_Y_EN: 0
; COMPUTE_PGM_RSRC2:TGID_Z_EN: 1
; COMPUTE_PGM_RSRC2:TIDIG_COMP_CNT: 0
	.section	.text._ZL30rocblas_trsm_small_left_deviceILi64ELi32ELb1EddPKdPdEv13rocblas_fill_18rocblas_operation_17rocblas_diagonal_iiT3_T4_lilT5_lili,"axG",@progbits,_ZL30rocblas_trsm_small_left_deviceILi64ELi32ELb1EddPKdPdEv13rocblas_fill_18rocblas_operation_17rocblas_diagonal_iiT3_T4_lilT5_lili,comdat
	.globl	_ZL30rocblas_trsm_small_left_deviceILi64ELi32ELb1EddPKdPdEv13rocblas_fill_18rocblas_operation_17rocblas_diagonal_iiT3_T4_lilT5_lili ; -- Begin function _ZL30rocblas_trsm_small_left_deviceILi64ELi32ELb1EddPKdPdEv13rocblas_fill_18rocblas_operation_17rocblas_diagonal_iiT3_T4_lilT5_lili
	.p2align	8
	.type	_ZL30rocblas_trsm_small_left_deviceILi64ELi32ELb1EddPKdPdEv13rocblas_fill_18rocblas_operation_17rocblas_diagonal_iiT3_T4_lilT5_lili,@function
_ZL30rocblas_trsm_small_left_deviceILi64ELi32ELb1EddPKdPdEv13rocblas_fill_18rocblas_operation_17rocblas_diagonal_iiT3_T4_lilT5_lili: ; @_ZL30rocblas_trsm_small_left_deviceILi64ELi32ELb1EddPKdPdEv13rocblas_fill_18rocblas_operation_17rocblas_diagonal_iiT3_T4_lilT5_lili
; %bb.0:
	s_load_dwordx4 s[8:11], s[4:5], 0x4
	s_load_dwordx4 s[0:3], s[4:5], 0x18
	s_load_dwordx2 s[20:21], s[4:5], 0x28
	s_load_dwordx4 s[12:15], s[4:5], 0x38
	s_load_dwordx2 s[16:17], s[4:5], 0x48
	s_waitcnt lgkmcnt(0)
	s_min_i32 s26, s10, 64
	v_cmp_gt_i32_e32 vcc, s26, v0
	s_and_saveexec_b64 s[18:19], vcc
	s_cbranch_execz .LBB110_6
; %bb.1:
	s_load_dword s22, s[4:5], 0x30
	s_mul_i32 s13, s13, s7
	s_mul_hi_u32 s23, s12, s7
	s_mul_i32 s12, s12, s7
	s_add_i32 s13, s23, s13
	s_waitcnt lgkmcnt(0)
	s_ashr_i32 s23, s22, 31
	s_lshl_b64 s[12:13], s[12:13], 3
	s_add_u32 s12, s2, s12
	s_addc_u32 s13, s3, s13
	s_lshl_b64 s[2:3], s[20:21], 3
	s_add_u32 s2, s12, s2
	s_addc_u32 s3, s13, s3
	v_lshlrev_b32_e32 v3, 3, v0
	v_mov_b32_e32 v2, s3
	v_add_co_u32_e32 v1, vcc, s2, v3
	s_lshl_b64 s[2:3], s[22:23], 3
	v_addc_co_u32_e32 v2, vcc, 0, v2, vcc
	v_mov_b32_e32 v4, s3
	v_mov_b32_e32 v5, v3
	s_mov_b32 s3, s26
.LBB110_2:                              ; =>This Inner Loop Header: Depth=1
	global_load_dwordx2 v[6:7], v[1:2], off
	v_add_co_u32_e32 v1, vcc, s2, v1
	s_add_i32 s3, s3, -1
	v_addc_co_u32_e32 v2, vcc, v2, v4, vcc
	s_cmp_eq_u32 s3, 0
	s_waitcnt vmcnt(0)
	ds_write_b64 v5, v[6:7]
	v_add_u32_e32 v5, 0x200, v5
	s_cbranch_scc0 .LBB110_2
; %bb.3:
	v_lshlrev_b32_e32 v4, 9, v0
	v_mov_b32_e32 v1, 0
	s_cmpk_lg_i32 s9, 0x84
	v_mov_b32_e32 v2, 0x3ff00000
	v_add_u32_e32 v3, v3, v4
	s_cbranch_scc0 .LBB110_5
; %bb.4:
	ds_read_b64 v[1:2], v3
	s_waitcnt lgkmcnt(0)
	v_div_scale_f64 v[4:5], s[2:3], v[1:2], v[1:2], 1.0
	v_div_scale_f64 v[10:11], vcc, 1.0, v[1:2], 1.0
	v_rcp_f64_e32 v[6:7], v[4:5]
	v_fma_f64 v[8:9], -v[4:5], v[6:7], 1.0
	v_fma_f64 v[6:7], v[6:7], v[8:9], v[6:7]
	v_fma_f64 v[8:9], -v[4:5], v[6:7], 1.0
	v_fma_f64 v[6:7], v[6:7], v[8:9], v[6:7]
	v_mul_f64 v[8:9], v[10:11], v[6:7]
	v_fma_f64 v[4:5], -v[4:5], v[8:9], v[10:11]
	v_div_fmas_f64 v[4:5], v[4:5], v[6:7], v[8:9]
	v_div_fixup_f64 v[1:2], v[4:5], v[1:2], 1.0
.LBB110_5:
	ds_write_b64 v3, v[1:2]
.LBB110_6:
	s_or_b64 exec, exec, s[18:19]
	s_load_dword s2, s[4:5], 0x68
	s_waitcnt lgkmcnt(0)
	; wave barrier
	s_add_i32 s3, s2, -1
	s_lshl_b32 s2, s6, 6
	s_sub_i32 s9, s11, s2
	s_cmp_ge_u32 s6, s3
	s_cselect_b32 s3, s9, 64
	v_cmp_gt_i32_e32 vcc, s3, v0
	s_and_saveexec_b64 s[12:13], vcc
	s_cbranch_execz .LBB110_57
; %bb.7:
	s_load_dwordx2 s[12:13], s[4:5], 0x58
	s_load_dword s6, s[4:5], 0x50
	v_add_u32_e32 v0, s2, v0
	s_waitcnt lgkmcnt(0)
	s_mul_i32 s3, s13, s7
	s_mul_hi_u32 s4, s12, s7
	s_mul_i32 s2, s12, s7
	s_add_i32 s3, s4, s3
	s_lshl_b64 s[2:3], s[2:3], 3
	s_add_u32 s4, s14, s2
	s_addc_u32 s5, s15, s3
	v_mad_i64_i32 v[0:1], s[2:3], s6, v0, 0
	s_lshl_b64 s[2:3], s[16:17], 3
	s_add_u32 s2, s4, s2
	v_lshlrev_b64 v[0:1], 3, v[0:1]
	s_addc_u32 s3, s5, s3
	v_mov_b32_e32 v2, s3
	v_add_co_u32_e32 v64, vcc, s2, v0
	v_addc_co_u32_e32 v65, vcc, v2, v1, vcc
	s_cmpk_eq_i32 s8, 0x6f
	s_mov_b64 s[2:3], -1
	s_cbranch_scc1 .LBB110_37
; %bb.8:
	s_add_i32 s11, s26, -1
	s_cmp_lt_i32 s10, 32
	s_mov_b32 s2, s11
	s_cbranch_scc1 .LBB110_15
; %bb.9:
	s_lshl_b32 s27, s26, 3
	s_addk_i32 s27, 0xc1f8
	s_mov_b32 s3, 0
	s_mov_b32 s5, s11
	s_branch .LBB110_11
.LBB110_10:                             ;   in Loop: Header=BB110_11 Depth=1
	s_mul_i32 s2, s4, 0x208
	v_mov_b32_e32 v68, s2
	ds_read_b64 v[72:73], v68
	s_add_i32 s2, s4, -1
	s_lshl_b32 s5, s2, 9
	s_lshl_b32 s6, s2, 3
	s_add_i32 s5, s5, s6
	s_waitcnt lgkmcnt(0)
	v_mul_f64 v[10:11], v[72:73], v[10:11]
	v_mov_b32_e32 v68, s5
	ds_read2_b64 v[68:71], v68 offset1:1
	s_lshl_b64 s[8:9], s[2:3], 3
	s_add_i32 s2, s4, -2
	s_lshl_b32 s5, s4, 3
	s_lshl_b32 s6, s2, 9
	s_add_i32 s7, s6, s5
	s_waitcnt lgkmcnt(0)
	v_fma_f64 v[66:67], -v[10:11], v[70:71], v[66:67]
	v_mov_b32_e32 v70, s7
	ds_read_b64 v[74:75], v70
	s_lshl_b32 s7, s2, 3
	s_add_i32 s6, s6, s7
	s_lshl_b64 s[12:13], s[2:3], 3
	s_add_i32 s2, s4, -3
	s_waitcnt lgkmcnt(0)
	v_fma_f64 v[74:75], -v[10:11], v[74:75], v[12:13]
	v_mul_f64 v[12:13], v[68:69], v[66:67]
	v_mov_b32_e32 v70, s6
	s_lshl_b32 s6, s2, 9
	ds_read2_b64 v[70:73], v70 offset1:1
	s_add_i32 s7, s6, s5
	s_add_i32 s7, s7, -8
	v_mov_b32_e32 v66, s7
	ds_read2_b64 v[66:69], v66 offset1:1
	s_waitcnt lgkmcnt(1)
	v_fma_f64 v[76:77], -v[12:13], v[72:73], v[74:75]
	s_lshl_b32 s7, s2, 3
	s_add_i32 s6, s6, s7
	s_lshl_b64 s[24:25], s[2:3], 3
	s_waitcnt lgkmcnt(0)
	v_fma_f64 v[68:69], -v[10:11], v[68:69], v[16:17]
	s_add_i32 s2, s4, -4
	v_mov_b32_e32 v72, s6
	s_lshl_b32 s6, s2, 9
	s_add_i32 s7, s6, s5
	v_mul_f64 v[16:17], v[70:71], v[76:77]
	v_mov_b32_e32 v70, s7
	ds_read_b64 v[70:71], v70
	s_add_i32 s7, s7, -16
	v_fma_f64 v[80:81], -v[12:13], v[66:67], v[68:69]
	v_mov_b32_e32 v66, s7
	s_lshl_b32 s7, s2, 3
	s_lshl_b64 s[18:19], s[2:3], 3
	s_add_i32 s2, s4, -5
	s_lshl_b32 s14, s2, 9
	s_add_i32 s15, s14, s5
	ds_read2_b64 v[66:69], v66 offset1:1
	s_waitcnt lgkmcnt(1)
	v_fma_f64 v[62:63], -v[10:11], v[70:71], v[62:63]
	s_add_i32 s16, s15, -8
	v_mov_b32_e32 v70, s16
	ds_read2_b64 v[76:79], v70 offset1:1
	ds_read2_b64 v[72:75], v72 offset1:1
	s_add_i32 s6, s6, s7
	s_lshl_b64 s[16:17], s[2:3], 3
	s_sub_i32 s15, s15, 24
	s_waitcnt lgkmcnt(1)
	v_fma_f64 v[78:79], -v[10:11], v[78:79], v[18:19]
	v_mov_b32_e32 v18, s6
	v_fma_f64 v[62:63], -v[12:13], v[68:69], v[62:63]
	ds_read2_b64 v[68:71], v18 offset1:1
	s_waitcnt lgkmcnt(1)
	v_fma_f64 v[74:75], -v[16:17], v[74:75], v[80:81]
	s_lshl_b32 s6, s2, 3
	s_add_i32 s2, s4, -6
	s_lshl_b32 s7, s2, 9
	s_add_i32 s22, s7, s5
	s_add_i32 s6, s14, s6
	v_fma_f64 v[62:63], -v[16:17], v[66:67], v[62:63]
	v_fma_f64 v[66:67], -v[12:13], v[76:77], v[78:79]
	v_mul_f64 v[18:19], v[72:73], v[74:75]
	v_mov_b32_e32 v72, s22
	ds_read_b64 v[76:77], v72
	s_add_i32 s20, s22, -16
	s_sub_i32 s22, s22, 32
	s_waitcnt lgkmcnt(1)
	v_fma_f64 v[62:63], -v[18:19], v[70:71], v[62:63]
	v_mov_b32_e32 v70, s6
	ds_read2_b64 v[80:83], v70 offset1:1
	v_mov_b32_e32 v72, s20
	s_waitcnt lgkmcnt(1)
	v_fma_f64 v[20:21], -v[10:11], v[76:77], v[20:21]
	v_mov_b32_e32 v76, s15
	ds_read2_b64 v[72:75], v72 offset1:1
	ds_read2_b64 v[76:79], v76 offset1:1
	s_lshl_b32 s6, s2, 3
	s_lshl_b64 s[20:21], s[2:3], 3
	s_add_i32 s2, s4, -7
	s_lshl_b32 s14, s2, 9
	s_waitcnt lgkmcnt(0)
	v_fma_f64 v[66:67], -v[16:17], v[78:79], v[66:67]
	v_fma_f64 v[70:71], -v[12:13], v[74:75], v[20:21]
	s_add_i32 s15, s14, s5
	s_add_i32 s23, s15, -8
	v_mul_f64 v[20:21], v[68:69], v[62:63]
	s_add_i32 s6, s7, s6
	v_mov_b32_e32 v98, s21
	v_fma_f64 v[62:63], -v[18:19], v[76:77], v[66:67]
	v_mov_b32_e32 v66, s23
	ds_read2_b64 v[66:69], v66 offset1:1
	s_sub_i32 s23, s15, 24
	v_fma_f64 v[78:79], -v[16:17], v[72:73], v[70:71]
	v_mov_b32_e32 v70, s23
	ds_read2_b64 v[70:73], v70 offset1:1
	s_waitcnt lgkmcnt(1)
	v_fma_f64 v[24:25], -v[10:11], v[68:69], v[24:25]
	v_mov_b32_e32 v68, s22
	ds_read2_b64 v[74:77], v68 offset1:1
	v_mov_b32_e32 v68, s6
	s_lshl_b32 s22, s2, 3
	s_lshl_b64 s[6:7], s[2:3], 3
	s_add_i32 s2, s4, -8
	s_lshl_b32 s28, s2, 9
	v_fma_f64 v[24:25], -v[12:13], v[66:67], v[24:25]
	s_add_i32 s23, s28, s5
	v_mov_b32_e32 v66, s23
	v_fma_f64 v[62:63], -v[20:21], v[82:83], v[62:63]
	ds_read2_b64 v[82:85], v68 offset1:1
	s_waitcnt lgkmcnt(1)
	v_fma_f64 v[76:77], -v[18:19], v[76:77], v[78:79]
	ds_read_b64 v[78:79], v66
	s_add_i32 s29, s23, -16
	v_fma_f64 v[24:25], -v[16:17], v[72:73], v[24:25]
	v_mov_b32_e32 v66, s29
	ds_read2_b64 v[66:69], v66 offset1:1
	s_waitcnt lgkmcnt(1)
	v_fma_f64 v[72:73], -v[10:11], v[78:79], v[22:23]
	v_mul_f64 v[22:23], v[80:81], v[62:63]
	v_fma_f64 v[62:63], -v[20:21], v[74:75], v[76:77]
	s_sub_i32 s15, s15, 40
	s_add_i32 s14, s14, s22
	v_fma_f64 v[24:25], -v[18:19], v[70:71], v[24:25]
	v_mov_b32_e32 v80, s9
	s_waitcnt lgkmcnt(0)
	v_fma_f64 v[76:77], -v[12:13], v[68:69], v[72:73]
	v_mov_b32_e32 v68, s15
	ds_read2_b64 v[68:71], v68 offset1:1
	v_mov_b32_e32 v72, s14
	s_sub_i32 s14, s23, 32
	ds_read2_b64 v[72:75], v72 offset1:1
	v_fma_f64 v[62:63], -v[22:23], v[84:85], v[62:63]
	s_waitcnt lgkmcnt(1)
	v_fma_f64 v[70:71], -v[20:21], v[70:71], v[24:25]
	v_fma_f64 v[24:25], -v[16:17], v[66:67], v[76:77]
	v_mov_b32_e32 v66, s14
	s_sub_i32 s14, s23, 48
	v_mov_b32_e32 v67, s14
	s_lshl_b32 s14, s2, 3
	s_lshl_b64 s[22:23], s[2:3], 3
	s_add_i32 s2, s4, -9
	s_lshl_b32 s29, s2, 9
	s_add_i32 s30, s29, s5
	s_add_i32 s15, s30, -8
	ds_read2_b64 v[76:79], v66 offset1:1
	ds_read2_b64 v[84:87], v67 offset1:1
	v_mov_b32_e32 v66, s15
	ds_read2_b64 v[88:91], v66 offset1:1
	s_sub_i32 s15, s30, 24
	s_waitcnt lgkmcnt(2)
	v_fma_f64 v[66:67], -v[18:19], v[78:79], v[24:25]
	v_mul_f64 v[24:25], v[82:83], v[62:63]
	v_fma_f64 v[62:63], -v[22:23], v[68:69], v[70:71]
	s_waitcnt lgkmcnt(0)
	v_fma_f64 v[60:61], -v[10:11], v[90:91], v[60:61]
	s_add_i32 s14, s28, s14
	s_lshl_b32 s9, s2, 3
	global_store_dwordx2 v[26:27], v[10:11], off
	v_fma_f64 v[66:67], -v[20:21], v[76:77], v[66:67]
	v_fma_f64 v[70:71], -v[24:25], v[74:75], v[62:63]
	;; [unrolled: 1-line block ×3, first 2 shown]
	v_mov_b32_e32 v60, s15
	ds_read2_b64 v[60:63], v60 offset1:1
	s_sub_i32 s15, s30, 40
	v_mov_b32_e32 v88, s19
	v_fma_f64 v[78:79], -v[22:23], v[86:87], v[66:67]
	v_mov_b32_e32 v66, s15
	ds_read2_b64 v[66:69], v66 offset1:1
	s_waitcnt lgkmcnt(1)
	v_fma_f64 v[62:63], -v[16:17], v[62:63], v[74:75]
	v_mov_b32_e32 v74, s14
	s_lshl_b64 s[14:15], s[2:3], 3
	s_add_i32 s2, s4, -10
	s_lshl_b32 s31, s2, 9
	s_add_i32 s33, s31, s5
	v_mul_f64 v[26:27], v[72:73], v[70:71]
	s_add_i32 s28, s33, -16
	v_fma_f64 v[60:61], -v[18:19], v[60:61], v[62:63]
	v_mov_b32_e32 v62, s33
	ds_read_b64 v[72:73], v62
	ds_read2_b64 v[74:77], v74 offset1:1
	v_fma_f64 v[70:71], -v[24:25], v[84:85], v[78:79]
	v_mov_b32_e32 v86, s13
	s_lshl_b32 s13, s2, 3
	s_waitcnt lgkmcnt(1)
	v_fma_f64 v[56:57], -v[10:11], v[72:73], v[56:57]
	v_fma_f64 v[68:69], -v[20:21], v[68:69], v[60:61]
	v_mov_b32_e32 v60, s28
	ds_read2_b64 v[60:63], v60 offset1:1
	v_add_co_u32_e32 v72, vcc, s8, v64
	s_waitcnt lgkmcnt(1)
	v_fma_f64 v[84:85], -v[26:27], v[76:77], v[70:71]
	v_addc_co_u32_e32 v73, vcc, v65, v80, vcc
	s_waitcnt lgkmcnt(0)
	v_fma_f64 v[56:57], -v[12:13], v[62:63], v[56:57]
	v_fma_f64 v[76:77], -v[22:23], v[66:67], v[68:69]
	s_sub_i32 s8, s30, 56
	global_store_dwordx2 v[72:73], v[12:13], off
	v_mov_b32_e32 v62, s8
	s_add_i32 s8, s29, s9
	v_mov_b32_e32 v63, s8
	ds_read2_b64 v[66:69], v62 offset1:1
	ds_read2_b64 v[70:73], v63 offset1:1
	v_fma_f64 v[56:57], -v[16:17], v[60:61], v[56:57]
	s_sub_i32 s8, s33, 32
	v_mov_b32_e32 v60, s8
	ds_read2_b64 v[60:63], v60 offset1:1
	s_sub_i32 s8, s33, 48
	s_waitcnt lgkmcnt(2)
	v_fma_f64 v[68:69], -v[24:25], v[68:69], v[76:77]
	v_mov_b32_e32 v76, s8
	s_lshl_b64 s[8:9], s[2:3], 3
	s_add_i32 s2, s4, -11
	s_lshl_b32 s28, s2, 9
	s_add_i32 s29, s28, s5
	s_add_i32 s30, s29, -8
	ds_read2_b64 v[76:79], v76 offset1:1
	s_waitcnt lgkmcnt(1)
	v_fma_f64 v[56:57], -v[18:19], v[62:63], v[56:57]
	v_mov_b32_e32 v62, s30
	ds_read2_b64 v[80:83], v62 offset1:1
	s_sub_i32 s30, s29, 24
	v_fma_f64 v[66:67], -v[26:27], v[66:67], v[68:69]
	s_waitcnt lgkmcnt(0)
	v_fma_f64 v[82:83], -v[10:11], v[82:83], v[28:29]
	v_add_co_u32_e32 v28, vcc, s12, v64
	v_fma_f64 v[56:57], -v[20:21], v[60:61], v[56:57]
	v_addc_co_u32_e32 v29, vcc, v65, v86, vcc
	global_store_dwordx2 v[28:29], v[16:17], off
	v_mul_f64 v[28:29], v[74:75], v[84:85]
	v_fma_f64 v[74:75], -v[12:13], v[80:81], v[82:83]
	v_mov_b32_e32 v60, s30
	ds_read2_b64 v[60:63], v60 offset1:1
	v_fma_f64 v[56:57], -v[22:23], v[78:79], v[56:57]
	s_sub_i32 s12, s33, 64
	v_mov_b32_e32 v86, s25
	v_add_co_u32_e32 v68, vcc, s24, v64
	s_waitcnt lgkmcnt(0)
	v_fma_f64 v[62:63], -v[16:17], v[62:63], v[74:75]
	v_mov_b32_e32 v74, s12
	s_add_i32 s12, s31, s13
	v_fma_f64 v[56:57], -v[24:25], v[76:77], v[56:57]
	v_mov_b32_e32 v76, s12
	s_sub_i32 s12, s29, 40
	v_addc_co_u32_e32 v69, vcc, v65, v86, vcc
	v_fma_f64 v[86:87], -v[18:19], v[60:61], v[62:63]
	v_mov_b32_e32 v60, s12
	s_lshl_b32 s24, s2, 3
	s_lshl_b64 s[12:13], s[2:3], 3
	s_add_i32 s2, s4, -12
	s_lshl_b32 s19, s2, 9
	s_add_i32 s25, s19, s5
	global_store_dwordx2 v[68:69], v[18:19], off
	v_mov_b32_e32 v61, s25
	v_fma_f64 v[84:85], -v[28:29], v[72:73], v[66:67]
	ds_read_b64 v[72:73], v61
	ds_read2_b64 v[60:63], v60 offset1:1
	s_add_i32 s30, s25, -16
	v_mov_b32_e32 v66, s30
	ds_read2_b64 v[66:69], v66 offset1:1
	s_waitcnt lgkmcnt(2)
	v_fma_f64 v[32:33], -v[10:11], v[72:73], v[32:33]
	s_waitcnt lgkmcnt(1)
	v_fma_f64 v[62:63], -v[20:21], v[62:63], v[86:87]
	ds_read2_b64 v[72:75], v74 offset1:1
	ds_read2_b64 v[76:79], v76 offset1:1
	v_mov_b32_e32 v87, s17
	s_sub_i32 s17, s25, 32
	s_sub_i32 s30, s29, 56
	s_waitcnt lgkmcnt(1)
	v_fma_f64 v[56:57], -v[26:27], v[74:75], v[56:57]
	v_mov_b32_e32 v80, s30
	v_fma_f64 v[68:69], -v[12:13], v[68:69], v[32:33]
	v_add_co_u32_e32 v32, vcc, s18, v64
	v_addc_co_u32_e32 v33, vcc, v65, v88, vcc
	global_store_dwordx2 v[32:33], v[20:21], off
	v_mul_f64 v[32:33], v[70:71], v[84:85]
	v_fma_f64 v[74:75], -v[22:23], v[60:61], v[62:63]
	v_fma_f64 v[70:71], -v[16:17], v[66:67], v[68:69]
	v_mov_b32_e32 v60, s17
	ds_read2_b64 v[60:63], v60 offset1:1
	s_sub_i32 s17, s25, 48
	ds_read2_b64 v[80:83], v80 offset1:1
	v_mov_b32_e32 v66, s17
	s_lshl_b32 s17, s2, 3
	s_add_i32 s17, s19, s17
	s_lshl_b64 s[18:19], s[2:3], 3
	s_add_i32 s2, s4, -13
	s_lshl_b32 s31, s2, 9
	s_add_i32 s33, s31, s5
	ds_read2_b64 v[66:69], v66 offset1:1
	s_waitcnt lgkmcnt(2)
	v_fma_f64 v[62:63], -v[18:19], v[62:63], v[70:71]
	v_mov_b32_e32 v70, s17
	s_add_i32 s17, s33, -8
	s_waitcnt lgkmcnt(1)
	v_fma_f64 v[74:75], -v[24:25], v[82:83], v[74:75]
	v_mov_b32_e32 v82, s17
	v_fma_f64 v[56:57], -v[28:29], v[72:73], v[56:57]
	ds_read2_b64 v[70:73], v70 offset1:1
	ds_read2_b64 v[82:85], v82 offset1:1
	v_add_co_u32_e32 v86, vcc, s16, v64
	v_addc_co_u32_e32 v87, vcc, v65, v87, vcc
	s_waitcnt lgkmcnt(0)
	v_fma_f64 v[52:53], -v[10:11], v[84:85], v[52:53]
	global_store_dwordx2 v[86:87], v[22:23], off
	v_fma_f64 v[86:87], -v[20:21], v[60:61], v[62:63]
	s_add_i32 s16, s29, 0xffffffb8
	s_sub_i32 s17, s33, 24
	v_fma_f64 v[56:57], -v[32:33], v[78:79], v[56:57]
	v_mov_b32_e32 v60, s16
	v_mov_b32_e32 v78, s17
	v_fma_f64 v[52:53], -v[12:13], v[82:83], v[52:53]
	v_fma_f64 v[74:75], -v[26:27], v[80:81], v[74:75]
	ds_read2_b64 v[60:63], v60 offset1:1
	ds_read2_b64 v[78:81], v78 offset1:1
	v_fma_f64 v[68:69], -v[22:23], v[68:69], v[86:87]
	s_add_i32 s16, s28, s24
	v_mov_b32_e32 v86, s16
	s_sub_i32 s16, s33, 40
	s_waitcnt lgkmcnt(0)
	v_fma_f64 v[52:53], -v[16:17], v[80:81], v[52:53]
	v_mov_b32_e32 v82, s16
	s_sub_i32 s16, s25, 64
	v_fma_f64 v[62:63], -v[28:29], v[62:63], v[74:75]
	v_fma_f64 v[74:75], -v[24:25], v[66:67], v[68:69]
	v_mov_b32_e32 v66, s16
	s_lshl_b32 s36, s2, 3
	s_lshl_b64 s[16:17], s[2:3], 3
	s_add_i32 s2, s4, -14
	v_fma_f64 v[52:53], -v[18:19], v[78:79], v[52:53]
	s_lshl_b32 s28, s2, 9
	s_add_i32 s35, s28, s5
	v_mov_b32_e32 v78, s35
	ds_read2_b64 v[82:85], v82 offset1:1
	ds_read2_b64 v[66:69], v66 offset1:1
	ds_read_b64 v[90:91], v78
	s_add_i32 s24, s35, -16
	v_mov_b32_e32 v78, s24
	s_waitcnt lgkmcnt(2)
	v_fma_f64 v[52:53], -v[20:21], v[84:85], v[52:53]
	ds_read2_b64 v[78:81], v78 offset1:1
	s_waitcnt lgkmcnt(1)
	v_fma_f64 v[36:37], -v[10:11], v[90:91], v[36:37]
	s_add_i32 s21, s25, 0xffffffb0
	v_mov_b32_e32 v84, s21
	s_sub_i32 s21, s33, 56
	v_fma_f64 v[68:69], -v[26:27], v[68:69], v[74:75]
	v_mov_b32_e32 v74, s21
	ds_read2_b64 v[90:93], v84 offset1:1
	v_fma_f64 v[52:53], -v[22:23], v[82:83], v[52:53]
	ds_read2_b64 v[82:85], v74 offset1:1
	s_waitcnt lgkmcnt(2)
	v_fma_f64 v[74:75], -v[12:13], v[80:81], v[36:37]
	s_add_i32 s21, s33, 0xffffffb8
	v_mov_b32_e32 v36, s21
	s_sub_i32 s21, s35, 32
	ds_read2_b64 v[86:89], v86 offset1:1
	ds_read2_b64 v[94:97], v36 offset1:1
	v_mul_f64 v[36:37], v[76:77], v[56:57]
	v_fma_f64 v[56:57], -v[32:33], v[60:61], v[62:63]
	v_fma_f64 v[74:75], -v[16:17], v[78:79], v[74:75]
	v_mov_b32_e32 v60, s21
	ds_read2_b64 v[60:63], v60 offset1:1
	s_sub_i32 s21, s35, 48
	v_fma_f64 v[76:77], -v[28:29], v[66:67], v[68:69]
	v_mov_b32_e32 v66, s21
	ds_read2_b64 v[66:69], v66 offset1:1
	s_lshl_b32 s34, s2, 3
	s_waitcnt lgkmcnt(1)
	v_fma_f64 v[62:63], -v[18:19], v[62:63], v[74:75]
	v_add_co_u32_e32 v74, vcc, s20, v64
	v_addc_co_u32_e32 v75, vcc, v65, v98, vcc
	s_lshl_b64 s[24:25], s[2:3], 3
	s_add_i32 s2, s4, -15
	v_fma_f64 v[52:53], -v[24:25], v[84:85], v[52:53]
	global_store_dwordx2 v[74:75], v[24:25], off
	v_fma_f64 v[74:75], -v[20:21], v[60:61], v[62:63]
	s_lshl_b32 s29, s2, 9
	s_add_i32 s30, s29, s5
	s_add_i32 s20, s30, -8
	v_mov_b32_e32 v60, s20
	ds_read2_b64 v[60:63], v60 offset1:1
	s_sub_i32 s20, s30, 24
	v_fma_f64 v[52:53], -v[26:27], v[82:83], v[52:53]
	v_fma_f64 v[56:57], -v[36:37], v[88:89], v[56:57]
	;; [unrolled: 1-line block ×3, first 2 shown]
	s_waitcnt lgkmcnt(1)
	v_fma_f64 v[68:69], -v[22:23], v[68:69], v[74:75]
	v_mov_b32_e32 v74, s20
	ds_read2_b64 v[74:77], v74 offset1:1
	s_waitcnt lgkmcnt(1)
	v_fma_f64 v[62:63], -v[10:11], v[62:63], v[38:39]
	s_sub_i32 s20, s35, 64
	v_fma_f64 v[52:53], -v[28:29], v[96:97], v[52:53]
	v_mul_f64 v[38:39], v[86:87], v[56:57]
	v_fma_f64 v[56:57], -v[36:37], v[90:91], v[78:79]
	v_fma_f64 v[78:79], -v[24:25], v[66:67], v[68:69]
	v_mov_b32_e32 v92, s7
	s_add_i32 s7, s33, 0xffffffa8
	v_fma_f64 v[80:81], -v[12:13], v[60:61], v[62:63]
	v_mov_b32_e32 v60, s20
	ds_read2_b64 v[60:63], v60 offset1:1
	v_mov_b32_e32 v82, s7
	s_add_i32 s7, s35, 0xffffffb0
	v_mov_b32_e32 v66, s7
	v_fma_f64 v[52:53], -v[32:33], v[94:95], v[52:53]
	ds_read2_b64 v[66:69], v66 offset1:1
	s_waitcnt lgkmcnt(1)
	v_fma_f64 v[62:63], -v[26:27], v[62:63], v[78:79]
	v_fma_f64 v[84:85], -v[16:17], v[76:77], v[80:81]
	ds_read2_b64 v[76:79], v82 offset1:1
	s_add_i32 s7, s31, s36
	v_fma_f64 v[56:57], -v[38:39], v[72:73], v[56:57]
	v_mov_b32_e32 v72, s7
	s_sub_i32 s7, s30, 40
	s_waitcnt lgkmcnt(0)
	v_fma_f64 v[52:53], -v[36:37], v[78:79], v[52:53]
	v_fma_f64 v[78:79], -v[28:29], v[60:61], v[62:63]
	v_mov_b32_e32 v60, s7
	s_sub_i32 s7, s30, 56
	s_lshl_b32 s31, s2, 3
	s_lshl_b64 s[20:21], s[2:3], 3
	s_add_i32 s2, s4, -16
	ds_read2_b64 v[80:83], v72 offset1:1
	v_fma_f64 v[84:85], -v[18:19], v[74:75], v[84:85]
	v_mov_b32_e32 v72, s7
	s_lshl_b32 s7, s2, 9
	s_add_i32 s33, s7, s5
	v_mov_b32_e32 v86, s33
	ds_read2_b64 v[60:63], v60 offset1:1
	ds_read2_b64 v[72:75], v72 offset1:1
	ds_read_b64 v[88:89], v86
	s_add_i32 s36, s33, -16
	v_mov_b32_e32 v90, s23
	s_waitcnt lgkmcnt(2)
	v_fma_f64 v[62:63], -v[20:21], v[62:63], v[84:85]
	v_mov_b32_e32 v84, s36
	s_waitcnt lgkmcnt(0)
	v_fma_f64 v[88:89], -v[10:11], v[88:89], v[42:43]
	ds_read2_b64 v[84:87], v84 offset1:1
	v_add_co_u32_e32 v42, vcc, s6, v64
	v_addc_co_u32_e32 v43, vcc, v65, v92, vcc
	v_fma_f64 v[60:61], -v[22:23], v[60:61], v[62:63]
	global_store_dwordx2 v[42:43], v[26:27], off
	s_waitcnt lgkmcnt(0)
	v_fma_f64 v[62:63], -v[12:13], v[86:87], v[88:89]
	v_mul_f64 v[42:43], v[70:71], v[56:57]
	v_fma_f64 v[56:57], -v[32:33], v[68:69], v[78:79]
	s_sub_i32 s6, s33, 32
	v_add_co_u32_e32 v68, vcc, s22, v64
	v_fma_f64 v[70:71], -v[24:25], v[74:75], v[60:61]
	v_mov_b32_e32 v60, s6
	v_fma_f64 v[74:75], -v[16:17], v[84:85], v[62:63]
	ds_read2_b64 v[60:63], v60 offset1:1
	v_mov_b32_e32 v92, s15
	s_sub_i32 s15, s33, 48
	v_addc_co_u32_e32 v69, vcc, v65, v90, vcc
	v_fma_f64 v[56:57], -v[36:37], v[66:67], v[56:57]
	v_mov_b32_e32 v66, s15
	global_store_dwordx2 v[68:69], v[28:29], off
	ds_read2_b64 v[66:69], v66 offset1:1
	s_waitcnt lgkmcnt(1)
	v_fma_f64 v[62:63], -v[18:19], v[62:63], v[74:75]
	v_fma_f64 v[52:53], -v[38:39], v[76:77], v[52:53]
	s_add_i32 s6, s35, 0xffffffa0
	v_mov_b32_e32 v74, s6
	s_add_i32 s6, s30, 0xffffffb8
	v_fma_f64 v[78:79], -v[26:27], v[72:73], v[70:71]
	v_mov_b32_e32 v70, s6
	s_lshl_b32 s6, s2, 3
	s_add_i32 s6, s7, s6
	v_fma_f64 v[90:91], -v[20:21], v[60:61], v[62:63]
	v_mov_b32_e32 v60, s6
	s_lshl_b64 s[6:7], s[2:3], 3
	s_sub_i32 s2, s4, 17
	s_lshl_b32 s22, s2, 9
	s_add_i32 s23, s22, s5
	s_add_i32 s35, s23, -8
	v_fma_f64 v[52:53], -v[42:43], v[82:83], v[52:53]
	v_mov_b32_e32 v82, s35
	ds_read2_b64 v[74:77], v74 offset1:1
	ds_read2_b64 v[70:73], v70 offset1:1
	;; [unrolled: 1-line block ×4, first 2 shown]
	s_waitcnt lgkmcnt(4)
	v_fma_f64 v[68:69], -v[22:23], v[68:69], v[90:91]
	s_add_i32 s15, s30, 0xffffffa8
	v_mov_b32_e32 v86, s15
	s_add_i32 s15, s28, s34
	s_waitcnt lgkmcnt(0)
	v_fma_f64 v[84:85], -v[10:11], v[84:85], v[46:47]
	v_mul_f64 v[46:47], v[80:81], v[52:53]
	v_mov_b32_e32 v52, s15
	s_sub_i32 s15, s23, 24
	v_fma_f64 v[90:91], -v[24:25], v[66:67], v[68:69]
	v_mov_b32_e32 v66, s15
	v_fma_f64 v[72:73], -v[28:29], v[72:73], v[78:79]
	ds_read2_b64 v[78:81], v52 offset1:1
	ds_read2_b64 v[66:69], v66 offset1:1
	v_fma_f64 v[52:53], -v[38:39], v[76:77], v[56:57]
	v_fma_f64 v[76:77], -v[12:13], v[82:83], v[84:85]
	s_sub_i32 s15, s33, 64
	s_sub_i32 s28, s23, 40
	ds_read2_b64 v[86:89], v86 offset1:1
	v_fma_f64 v[56:57], -v[32:33], v[70:71], v[72:73]
	v_mov_b32_e32 v70, s28
	ds_read2_b64 v[70:73], v70 offset1:1
	v_fma_f64 v[52:53], -v[42:43], v[74:75], v[52:53]
	s_waitcnt lgkmcnt(2)
	v_fma_f64 v[68:69], -v[16:17], v[68:69], v[76:77]
	v_mov_b32_e32 v76, s15
	ds_read2_b64 v[82:85], v76 offset1:1
	s_add_i32 s15, s33, 0xffffffb0
	v_mov_b32_e32 v74, s15
	s_lshl_b32 s35, s2, 3
	v_mov_b32_e32 v96, s9
	s_waitcnt lgkmcnt(0)
	v_fma_f64 v[84:85], -v[26:27], v[84:85], v[90:91]
	v_fma_f64 v[66:67], -v[18:19], v[66:67], v[68:69]
	v_add_co_u32_e32 v68, vcc, s14, v64
	s_lshl_b64 s[14:15], s[2:3], 3
	s_sub_i32 s2, s4, 18
	s_add_i32 s9, s30, 0xffffff98
	s_lshl_b32 s28, s2, 9
	v_addc_co_u32_e32 v69, vcc, v65, v92, vcc
	v_fma_f64 v[72:73], -v[20:21], v[72:73], v[66:67]
	v_mov_b32_e32 v66, s9
	s_sub_i32 s9, s23, 56
	s_add_i32 s30, s28, s5
	v_fma_f64 v[56:57], -v[36:37], v[88:89], v[56:57]
	global_store_dwordx2 v[68:69], v[32:33], off
	v_fma_f64 v[82:83], -v[28:29], v[82:83], v[84:85]
	ds_read2_b64 v[74:77], v74 offset1:1
	ds_read2_b64 v[66:69], v66 offset1:1
	v_fma_f64 v[88:89], -v[22:23], v[70:71], v[72:73]
	v_mov_b32_e32 v70, s9
	v_mov_b32_e32 v71, s30
	ds_read_b64 v[84:85], v71
	ds_read2_b64 v[70:73], v70 offset1:1
	s_add_i32 s9, s30, -16
	v_fma_f64 v[52:53], -v[46:47], v[80:81], v[52:53]
	v_mov_b32_e32 v80, s9
	s_waitcnt lgkmcnt(1)
	v_fma_f64 v[50:51], -v[10:11], v[84:85], v[50:51]
	v_fma_f64 v[76:77], -v[32:33], v[76:77], v[82:83]
	ds_read2_b64 v[80:83], v80 offset1:1
	s_add_i32 s9, s23, 0xffffffb8
	s_waitcnt lgkmcnt(1)
	v_fma_f64 v[72:73], -v[24:25], v[72:73], v[88:89]
	v_mov_b32_e32 v84, s9
	v_fma_f64 v[56:57], -v[38:39], v[86:87], v[56:57]
	ds_read2_b64 v[84:87], v84 offset1:1
	s_waitcnt lgkmcnt(1)
	v_fma_f64 v[50:51], -v[12:13], v[82:83], v[50:51]
	v_fma_f64 v[92:93], -v[36:37], v[74:75], v[76:77]
	s_add_i32 s9, s29, s31
	s_sub_i32 s29, s30, 32
	v_fma_f64 v[76:77], -v[26:27], v[70:71], v[72:73]
	v_mov_b32_e32 v72, s29
	ds_read2_b64 v[72:75], v72 offset1:1
	v_fma_f64 v[56:57], -v[42:43], v[68:69], v[56:57]
	v_fma_f64 v[50:51], -v[16:17], v[80:81], v[50:51]
	s_sub_i32 s29, s30, 48
	v_mov_b32_e32 v88, s9
	s_add_i32 s9, s33, 0xffffffa0
	s_waitcnt lgkmcnt(1)
	v_fma_f64 v[86:87], -v[28:29], v[86:87], v[76:77]
	v_mov_b32_e32 v76, s29
	ds_read2_b64 v[80:83], v76 offset1:1
	v_mov_b32_e32 v68, s9
	s_waitcnt lgkmcnt(1)
	v_fma_f64 v[94:95], -v[18:19], v[74:75], v[50:51]
	ds_read2_b64 v[68:71], v68 offset1:1
	s_add_i32 s9, s33, 0xffffff90
	v_mov_b32_e32 v50, s9
	ds_read2_b64 v[74:77], v50 offset1:1
	v_mul_f64 v[50:51], v[78:79], v[52:53]
	v_fma_f64 v[52:53], -v[46:47], v[66:67], v[56:57]
	v_fma_f64 v[56:57], -v[32:33], v[84:85], v[86:87]
	s_waitcnt lgkmcnt(1)
	v_fma_f64 v[92:93], -v[38:39], v[70:71], v[92:93]
	s_add_i32 s9, s23, 0xffffffa8
	v_fma_f64 v[78:79], -v[20:21], v[72:73], v[94:95]
	v_mov_b32_e32 v66, s9
	ds_read2_b64 v[88:91], v88 offset1:1
	ds_read2_b64 v[70:73], v66 offset1:1
	s_add_i32 s9, s23, 0xffffff98
	v_mov_b32_e32 v66, s9
	v_fma_f64 v[84:85], -v[42:43], v[68:69], v[92:93]
	s_waitcnt lgkmcnt(1)
	v_fma_f64 v[52:53], -v[50:51], v[90:91], v[52:53]
	s_waitcnt lgkmcnt(0)
	v_fma_f64 v[56:57], -v[36:37], v[72:73], v[56:57]
	v_fma_f64 v[72:73], -v[22:23], v[82:83], v[78:79]
	v_add_co_u32_e32 v78, vcc, s8, v64
	s_sub_i32 s8, s30, 64
	s_lshl_b32 s34, s2, 3
	v_fma_f64 v[90:91], -v[46:47], v[76:77], v[84:85]
	v_mov_b32_e32 v92, s13
	v_fma_f64 v[56:57], -v[38:39], v[70:71], v[56:57]
	v_mov_b32_e32 v70, s8
	s_add_i32 s8, s30, 0xffffffb0
	v_mov_b32_e32 v76, s8
	s_lshl_b64 s[8:9], s[2:3], 3
	s_sub_i32 s2, s4, 19
	v_fma_f64 v[84:85], -v[24:25], v[80:81], v[72:73]
	s_lshl_b32 s13, s2, 9
	s_add_i32 s29, s13, s5
	v_addc_co_u32_e32 v79, vcc, v65, v96, vcc
	s_add_i32 s31, s29, -8
	global_store_dwordx2 v[78:79], v[36:37], off
	v_mov_b32_e32 v80, s31
	ds_read2_b64 v[66:69], v66 offset1:1
	ds_read2_b64 v[70:73], v70 offset1:1
	;; [unrolled: 1-line block ×4, first 2 shown]
	s_sub_i32 s31, s29, 24
	v_mul_f64 v[52:53], v[88:89], v[52:53]
	s_waitcnt lgkmcnt(2)
	v_fma_f64 v[72:73], -v[26:27], v[72:73], v[84:85]
	v_mov_b32_e32 v84, s31
	ds_read2_b64 v[84:87], v84 offset1:1
	s_waitcnt lgkmcnt(1)
	v_fma_f64 v[2:3], -v[10:11], v[82:83], v[2:3]
	v_fma_f64 v[74:75], -v[50:51], v[74:75], v[90:91]
	;; [unrolled: 1-line block ×3, first 2 shown]
	v_add_co_u32_e32 v82, vcc, s12, v64
	v_fma_f64 v[68:69], -v[28:29], v[70:71], v[72:73]
	v_addc_co_u32_e32 v83, vcc, v65, v92, vcc
	v_fma_f64 v[2:3], -v[12:13], v[80:81], v[2:3]
	v_fma_f64 v[62:63], -v[52:53], v[62:63], v[74:75]
	global_store_dwordx2 v[82:83], v[38:39], off
	v_mov_b32_e32 v82, s19
	v_add_co_u32_e32 v70, vcc, s18, v64
	v_fma_f64 v[74:75], -v[32:33], v[78:79], v[68:69]
	s_add_i32 s12, s23, 0xffffff88
	s_waitcnt lgkmcnt(0)
	v_fma_f64 v[2:3], -v[16:17], v[86:87], v[2:3]
	v_addc_co_u32_e32 v71, vcc, v65, v82, vcc
	v_fma_f64 v[56:57], -v[46:47], v[66:67], v[56:57]
	v_mov_b32_e32 v66, s12
	s_add_i32 s12, s22, s35
	global_store_dwordx2 v[70:71], v[42:43], off
	v_mov_b32_e32 v70, s12
	v_fma_f64 v[2:3], -v[18:19], v[84:85], v[2:3]
	s_sub_i32 s12, s29, 40
	v_fma_f64 v[90:91], -v[36:37], v[76:77], v[74:75]
	v_mov_b32_e32 v74, s12
	ds_read2_b64 v[66:69], v66 offset1:1
	ds_read2_b64 v[70:73], v70 offset1:1
	;; [unrolled: 1-line block ×3, first 2 shown]
	s_add_i32 s12, s30, 0xffffffa0
	v_mov_b32_e32 v92, s17
	s_sub_i32 s17, s29, 56
	s_waitcnt lgkmcnt(2)
	v_fma_f64 v[68:69], -v[50:51], v[68:69], v[56:57]
	s_waitcnt lgkmcnt(0)
	v_fma_f64 v[2:3], -v[20:21], v[76:77], v[2:3]
	v_mov_b32_e32 v76, s12
	s_add_i32 s12, s30, 0xffffff90
	v_mov_b32_e32 v56, s12
	s_lshl_b32 s12, s2, 3
	s_lshl_b64 s[22:23], s[2:3], 3
	s_sub_i32 s2, s4, 20
	v_mov_b32_e32 v78, s17
	s_lshl_b32 s17, s2, 9
	s_add_i32 s31, s17, s5
	s_add_i32 s18, s31, -16
	v_fma_f64 v[2:3], -v[22:23], v[74:75], v[2:3]
	v_mov_b32_e32 v74, s18
	ds_read2_b64 v[82:85], v76 offset1:1
	ds_read2_b64 v[86:89], v56 offset1:1
	;; [unrolled: 1-line block ×3, first 2 shown]
	v_mov_b32_e32 v56, s31
	ds_read2_b64 v[78:81], v78 offset1:1
	ds_read_b64 v[56:57], v56
	s_waitcnt lgkmcnt(4)
	v_fma_f64 v[84:85], -v[38:39], v[84:85], v[90:91]
	v_mov_b32_e32 v90, s25
	v_mov_b32_e32 v98, s21
	s_waitcnt lgkmcnt(1)
	v_fma_f64 v[2:3], -v[24:25], v[80:81], v[2:3]
	s_waitcnt lgkmcnt(0)
	v_fma_f64 v[0:1], -v[10:11], v[56:57], v[0:1]
	v_fma_f64 v[80:81], -v[52:53], v[66:67], v[68:69]
	v_add_co_u32_e32 v56, vcc, s16, v64
	s_add_i32 s16, s29, 0xffffffb8
	v_addc_co_u32_e32 v57, vcc, v65, v92, vcc
	global_store_dwordx2 v[56:57], v[46:47], off
	v_fma_f64 v[66:67], -v[12:13], v[76:77], v[0:1]
	v_fma_f64 v[76:77], -v[26:27], v[78:79], v[2:3]
	v_mov_b32_e32 v0, s16
	s_add_i32 s16, s29, 0xffffffa8
	v_mul_f64 v[56:57], v[60:61], v[62:63]
	v_mov_b32_e32 v60, s16
	ds_read2_b64 v[0:3], v0 offset1:1
	ds_read2_b64 v[60:63], v60 offset1:1
	s_sub_i32 s16, s31, 32
	v_fma_f64 v[78:79], -v[16:17], v[74:75], v[66:67]
	v_mov_b32_e32 v66, s16
	ds_read2_b64 v[66:69], v66 offset1:1
	s_waitcnt lgkmcnt(2)
	v_fma_f64 v[2:3], -v[28:29], v[2:3], v[76:77]
	s_sub_i32 s16, s31, 48
	v_mov_b32_e32 v74, s16
	ds_read2_b64 v[74:77], v74 offset1:1
	s_lshl_b32 s16, s2, 3
	s_waitcnt lgkmcnt(1)
	v_fma_f64 v[68:69], -v[18:19], v[68:69], v[78:79]
	v_add_co_u32_e32 v78, vcc, s24, v64
	v_addc_co_u32_e32 v79, vcc, v65, v90, vcc
	s_add_i32 s16, s17, s16
	global_store_dwordx2 v[78:79], v[50:51], off
	v_fma_f64 v[78:79], -v[32:33], v[0:1], v[2:3]
	v_mov_b32_e32 v0, s16
	s_lshl_b64 s[16:17], s[2:3], 3
	s_sub_i32 s2, s4, 21
	s_lshl_b32 s21, s2, 9
	v_fma_f64 v[82:83], -v[42:43], v[82:83], v[84:85]
	s_add_i32 s33, s21, s5
	s_add_i32 s18, s33, -8
	v_fma_f64 v[92:93], -v[56:57], v[72:73], v[80:81]
	v_fma_f64 v[80:81], -v[20:21], v[66:67], v[68:69]
	v_mov_b32_e32 v66, s18
	ds_read2_b64 v[0:3], v0 offset1:1
	ds_read2_b64 v[66:69], v66 offset1:1
	v_fma_f64 v[62:63], -v[36:37], v[62:63], v[78:79]
	v_fma_f64 v[72:73], -v[46:47], v[88:89], v[82:83]
	s_add_i32 s18, s30, 0xffffff80
	v_mov_b32_e32 v84, s18
	s_waitcnt lgkmcnt(0)
	v_fma_f64 v[58:59], -v[10:11], v[68:69], v[58:59]
	s_add_i32 s18, s28, s34
	v_mov_b32_e32 v85, s18
	s_add_i32 s18, s29, 0xffffff98
	v_fma_f64 v[96:97], -v[38:39], v[60:61], v[62:63]
	v_fma_f64 v[94:95], -v[50:51], v[86:87], v[72:73]
	;; [unrolled: 1-line block ×3, first 2 shown]
	v_mov_b32_e32 v76, s18
	v_fma_f64 v[62:63], -v[12:13], v[66:67], v[58:59]
	s_sub_i32 s18, s33, 24
	v_mov_b32_e32 v58, s18
	ds_read2_b64 v[58:61], v58 offset1:1
	s_sub_i32 s19, s33, 40
	v_mov_b32_e32 v66, s19
	v_fma_f64 v[80:81], -v[24:25], v[74:75], v[72:73]
	ds_read2_b64 v[66:69], v66 offset1:1
	s_waitcnt lgkmcnt(1)
	v_fma_f64 v[82:83], -v[16:17], v[60:61], v[62:63]
	s_sub_i32 s18, s31, 64
	v_mov_b32_e32 v60, s18
	ds_read2_b64 v[60:63], v60 offset1:1
	ds_read2_b64 v[72:75], v76 offset1:1
	s_add_i32 s18, s31, 0xffffffb0
	v_mov_b32_e32 v76, s18
	ds_read2_b64 v[76:79], v76 offset1:1
	s_waitcnt lgkmcnt(2)
	v_fma_f64 v[62:63], -v[26:27], v[62:63], v[80:81]
	v_fma_f64 v[58:59], -v[18:19], v[58:59], v[82:83]
	s_waitcnt lgkmcnt(1)
	v_fma_f64 v[74:75], -v[42:43], v[74:75], v[96:97]
	ds_read2_b64 v[80:83], v84 offset1:1
	ds_read2_b64 v[84:87], v85 offset1:1
	s_add_i32 s18, s29, 0xffffff88
	v_mov_b32_e32 v88, s18
	s_sub_i32 s18, s33, 56
	ds_read2_b64 v[88:91], v88 offset1:1
	v_fma_f64 v[60:61], -v[28:29], v[60:61], v[62:63]
	v_fma_f64 v[62:63], -v[20:21], v[68:69], v[58:59]
	;; [unrolled: 1-line block ×3, first 2 shown]
	v_mul_f64 v[58:59], v[70:71], v[92:93]
	s_waitcnt lgkmcnt(2)
	v_fma_f64 v[82:83], -v[52:53], v[82:83], v[94:95]
	v_add_co_u32_e32 v94, vcc, s20, v64
	s_lshl_b32 s20, s2, 3
	v_fma_f64 v[70:71], -v[32:33], v[78:79], v[60:61]
	v_fma_f64 v[72:73], -v[22:23], v[66:67], v[62:63]
	v_mov_b32_e32 v60, s18
	ds_read2_b64 v[60:63], v60 offset1:1
	s_add_i32 s18, s33, 0xffffffb8
	v_mov_b32_e32 v66, s18
	s_waitcnt lgkmcnt(1)
	v_fma_f64 v[78:79], -v[50:51], v[90:91], v[68:69]
	ds_read2_b64 v[66:69], v66 offset1:1
	s_add_i32 s18, s31, 0xffffffa0
	s_waitcnt lgkmcnt(1)
	v_fma_f64 v[62:63], -v[24:25], v[62:63], v[72:73]
	v_fma_f64 v[80:81], -v[56:57], v[80:81], v[82:83]
	;; [unrolled: 1-line block ×3, first 2 shown]
	v_mov_b32_e32 v70, s18
	s_add_i32 s18, s31, 0xffffff90
	v_mov_b32_e32 v74, s18
	s_lshl_b64 s[18:19], s[2:3], 3
	s_sub_i32 s2, s4, 22
	s_lshl_b32 s25, s2, 9
	s_add_i32 s28, s25, s5
	v_fma_f64 v[90:91], -v[26:27], v[60:61], v[62:63]
	v_mov_b32_e32 v60, s28
	ds_read2_b64 v[70:73], v70 offset1:1
	ds_read2_b64 v[74:77], v74 offset1:1
	ds_read_b64 v[92:93], v60
	s_add_i32 s24, s28, -16
	v_mov_b32_e32 v60, s24
	ds_read2_b64 v[60:63], v60 offset1:1
	s_waitcnt lgkmcnt(3)
	v_fma_f64 v[72:73], -v[38:39], v[72:73], v[82:83]
	s_waitcnt lgkmcnt(1)
	v_fma_f64 v[54:55], -v[10:11], v[92:93], v[54:55]
	v_fma_f64 v[68:69], -v[28:29], v[68:69], v[90:91]
	;; [unrolled: 1-line block ×3, first 2 shown]
	s_add_i32 s24, s33, 0xffffffa8
	v_addc_co_u32_e32 v95, vcc, v65, v98, vcc
	global_store_dwordx2 v[94:95], v[52:53], off
	v_fma_f64 v[92:93], -v[42:43], v[70:71], v[72:73]
	s_waitcnt lgkmcnt(0)
	v_fma_f64 v[54:55], -v[12:13], v[62:63], v[54:55]
	v_fma_f64 v[78:79], -v[32:33], v[66:67], v[68:69]
	v_mov_b32_e32 v62, s24
	s_add_i32 s24, s33, 0xffffff98
	v_mov_b32_e32 v63, s24
	s_sub_i32 s24, s28, 32
	ds_read2_b64 v[66:69], v62 offset1:1
	ds_read2_b64 v[70:73], v63 offset1:1
	v_fma_f64 v[82:83], -v[58:59], v[86:87], v[80:81]
	v_fma_f64 v[54:55], -v[16:17], v[60:61], v[54:55]
	v_mov_b32_e32 v60, s24
	ds_read2_b64 v[60:63], v60 offset1:1
	s_sub_i32 s24, s28, 48
	s_waitcnt lgkmcnt(2)
	v_fma_f64 v[68:69], -v[36:37], v[68:69], v[78:79]
	v_mov_b32_e32 v78, s24
	ds_read2_b64 v[78:81], v78 offset1:1
	v_mov_b32_e32 v96, s7
	s_waitcnt lgkmcnt(1)
	v_fma_f64 v[54:55], -v[18:19], v[62:63], v[54:55]
	s_add_i32 s7, s29, 0xffffff78
	v_mov_b32_e32 v62, s7
	s_add_i32 s7, s13, s12
	ds_read2_b64 v[86:89], v62 offset1:1
	v_fma_f64 v[62:63], -v[46:47], v[76:77], v[92:93]
	v_mov_b32_e32 v92, s7
	v_fma_f64 v[76:77], -v[38:39], v[66:67], v[68:69]
	ds_read2_b64 v[66:69], v92 offset1:1
	v_fma_f64 v[92:93], -v[20:21], v[60:61], v[54:55]
	s_lshl_b32 s30, s2, 3
	s_lshl_b64 s[12:13], s[2:3], 3
	s_sub_i32 s2, s4, 23
	s_add_i32 s7, s31, 0xffffff80
	s_lshl_b32 s24, s2, 9
	v_fma_f64 v[76:77], -v[42:43], v[72:73], v[76:77]
	v_mul_f64 v[54:55], v[84:85], v[82:83]
	s_waitcnt lgkmcnt(2)
	v_fma_f64 v[80:81], -v[22:23], v[80:81], v[92:93]
	v_fma_f64 v[82:83], -v[50:51], v[74:75], v[62:63]
	v_mov_b32_e32 v60, s7
	s_add_i32 s7, s31, 0xffffff70
	s_add_i32 s31, s24, s5
	s_add_i32 s29, s31, -8
	v_fma_f64 v[70:71], -v[46:47], v[70:71], v[76:77]
	v_mov_b32_e32 v76, s29
	ds_read2_b64 v[60:63], v60 offset1:1
	v_fma_f64 v[94:95], -v[24:25], v[78:79], v[80:81]
	ds_read2_b64 v[76:79], v76 offset1:1
	s_sub_i32 s34, s31, 24
	v_mov_b32_e32 v72, s7
	v_mov_b32_e32 v80, s34
	ds_read2_b64 v[72:75], v72 offset1:1
	s_waitcnt lgkmcnt(2)
	v_fma_f64 v[62:63], -v[52:53], v[62:63], v[82:83]
	ds_read2_b64 v[80:83], v80 offset1:1
	s_waitcnt lgkmcnt(2)
	v_fma_f64 v[48:49], -v[10:11], v[78:79], v[48:49]
	v_fma_f64 v[88:89], -v[56:57], v[88:89], v[90:91]
	s_sub_i32 s29, s28, 64
	v_mov_b32_e32 v78, s29
	s_add_i32 s7, s33, 0xffffff88
	v_mov_b32_e32 v102, s17
	v_mov_b32_e32 v104, s13
	v_fma_f64 v[48:49], -v[12:13], v[76:77], v[48:49]
	v_fma_f64 v[92:93], -v[58:59], v[86:87], v[88:89]
	ds_read2_b64 v[84:87], v78 offset1:1
	v_mov_b32_e32 v78, s7
	s_add_i32 s7, s28, 0xffffffb0
	v_mov_b32_e32 v79, s7
	ds_read2_b64 v[88:91], v79 offset1:1
	s_waitcnt lgkmcnt(1)
	v_fma_f64 v[86:87], -v[26:27], v[86:87], v[94:95]
	ds_read2_b64 v[76:79], v78 offset1:1
	v_fma_f64 v[48:49], -v[16:17], v[82:83], v[48:49]
	s_add_i32 s7, s33, 0xffffff78
	v_add_co_u32_e32 v82, vcc, s6, v64
	s_waitcnt lgkmcnt(0)
	v_fma_f64 v[70:71], -v[50:51], v[78:79], v[70:71]
	s_sub_i32 s6, s31, 40
	v_fma_f64 v[78:79], -v[28:29], v[84:85], v[86:87]
	v_fma_f64 v[94:95], -v[56:57], v[60:61], v[62:63]
	;; [unrolled: 1-line block ×3, first 2 shown]
	v_mov_b32_e32 v60, s7
	v_fma_f64 v[86:87], -v[54:55], v[68:69], v[92:93]
	v_mov_b32_e32 v68, s6
	ds_read2_b64 v[60:63], v60 offset1:1
	v_fma_f64 v[76:77], -v[52:53], v[76:77], v[70:71]
	ds_read2_b64 v[68:71], v68 offset1:1
	v_fma_f64 v[78:79], -v[32:33], v[90:91], v[78:79]
	s_sub_i32 s6, s31, 56
	v_fma_f64 v[92:93], -v[58:59], v[74:75], v[94:95]
	v_mov_b32_e32 v74, s6
	s_waitcnt lgkmcnt(0)
	v_fma_f64 v[48:49], -v[20:21], v[70:71], v[48:49]
	s_add_i32 s6, s28, 0xffffffa0
	v_fma_f64 v[62:63], -v[56:57], v[62:63], v[76:77]
	ds_read2_b64 v[74:77], v74 offset1:1
	v_fma_f64 v[70:71], -v[36:37], v[88:89], v[78:79]
	v_mov_b32_e32 v78, s6
	ds_read2_b64 v[78:81], v78 offset1:1
	v_addc_co_u32_e32 v83, vcc, v65, v96, vcc
	v_fma_f64 v[48:49], -v[22:23], v[68:69], v[48:49]
	v_mov_b32_e32 v96, s15
	s_add_i32 s6, s28, 0xffffff90
	s_waitcnt lgkmcnt(0)
	v_fma_f64 v[68:69], -v[38:39], v[80:81], v[70:71]
	v_add_co_u32_e32 v70, vcc, s14, v64
	v_addc_co_u32_e32 v71, vcc, v65, v96, vcc
	global_store_dwordx2 v[70:71], v[58:59], off
	v_fma_f64 v[70:71], -v[24:25], v[76:77], v[48:49]
	global_store_dwordx2 v[82:83], v[56:57], off
	v_mov_b32_e32 v82, s6
	s_add_i32 s6, s33, 0xffffff68
	v_fma_f64 v[80:81], -v[58:59], v[60:61], v[62:63]
	v_mov_b32_e32 v60, s6
	s_add_i32 s6, s31, 0xffffffb8
	v_mul_f64 v[48:49], v[66:67], v[86:87]
	v_fma_f64 v[74:75], -v[26:27], v[74:75], v[70:71]
	v_mov_b32_e32 v66, s6
	v_fma_f64 v[76:77], -v[54:55], v[72:73], v[92:93]
	v_fma_f64 v[72:73], -v[42:43], v[78:79], v[68:69]
	ds_read2_b64 v[60:63], v60 offset1:1
	ds_read2_b64 v[66:69], v66 offset1:1
	s_add_i32 s6, s31, 0xffffffa8
	s_lshl_b32 s33, s2, 3
	s_lshl_b64 s[14:15], s[2:3], 3
	s_sub_i32 s2, s4, 24
	v_mov_b32_e32 v70, s6
	s_lshl_b32 s6, s2, 9
	s_add_i32 s29, s6, s5
	s_waitcnt lgkmcnt(0)
	v_fma_f64 v[68:69], -v[28:29], v[68:69], v[74:75]
	v_mov_b32_e32 v74, s29
	ds_read2_b64 v[82:85], v82 offset1:1
	ds_read_b64 v[74:75], v74
	s_add_i32 s7, s29, -16
	v_fma_f64 v[2:3], -v[48:49], v[2:3], v[76:77]
	v_fma_f64 v[62:63], -v[54:55], v[62:63], v[80:81]
	s_waitcnt lgkmcnt(1)
	v_fma_f64 v[78:79], -v[46:47], v[84:85], v[72:73]
	s_waitcnt lgkmcnt(0)
	v_fma_f64 v[44:45], -v[10:11], v[74:75], v[44:45]
	v_fma_f64 v[84:85], -v[32:33], v[66:67], v[68:69]
	v_mov_b32_e32 v66, s7
	ds_read2_b64 v[70:73], v70 offset1:1
	ds_read2_b64 v[66:69], v66 offset1:1
	s_add_i32 s7, s21, s20
	v_mov_b32_e32 v74, s7
	s_add_i32 s7, s28, 0xffffff80
	ds_read2_b64 v[74:77], v74 offset1:1
	s_waitcnt lgkmcnt(1)
	v_fma_f64 v[44:45], -v[12:13], v[68:69], v[44:45]
	v_fma_f64 v[72:73], -v[36:37], v[72:73], v[84:85]
	v_mov_b32_e32 v68, s7
	s_add_i32 s7, s28, 0xffffff70
	v_mov_b32_e32 v69, s7
	s_sub_i32 s7, s29, 32
	v_fma_f64 v[90:91], -v[50:51], v[82:83], v[78:79]
	ds_read2_b64 v[78:81], v68 offset1:1
	ds_read2_b64 v[82:85], v69 offset1:1
	v_fma_f64 v[44:45], -v[16:17], v[66:67], v[44:45]
	v_mov_b32_e32 v66, s7
	ds_read2_b64 v[66:69], v66 offset1:1
	v_mov_b32_e32 v96, s9
	s_sub_i32 s9, s29, 48
	v_fma_f64 v[94:95], -v[38:39], v[70:71], v[72:73]
	v_mov_b32_e32 v70, s9
	ds_read2_b64 v[70:73], v70 offset1:1
	s_waitcnt lgkmcnt(1)
	v_fma_f64 v[44:45], -v[18:19], v[68:69], v[44:45]
	s_add_i32 s7, s31, 0xffffff98
	v_mov_b32_e32 v68, s7
	ds_read2_b64 v[86:89], v68 offset1:1
	s_add_i32 s7, s31, 0xffffff88
	v_fma_f64 v[68:69], -v[52:53], v[80:81], v[90:91]
	v_mov_b32_e32 v80, s7
	ds_read2_b64 v[90:93], v80 offset1:1
	s_waitcnt lgkmcnt(1)
	v_fma_f64 v[80:81], -v[42:43], v[88:89], v[94:95]
	v_fma_f64 v[66:67], -v[20:21], v[66:67], v[44:45]
	v_add_co_u32_e32 v44, vcc, s8, v64
	v_addc_co_u32_e32 v45, vcc, v65, v96, vcc
	global_store_dwordx2 v[44:45], v[54:55], off
	v_mul_f64 v[44:45], v[0:1], v[2:3]
	v_fma_f64 v[0:1], -v[48:49], v[60:61], v[62:63]
	v_fma_f64 v[60:61], -v[46:47], v[86:87], v[80:81]
	;; [unrolled: 1-line block ×3, first 2 shown]
	v_mov_b32_e32 v88, s23
	v_fma_f64 v[2:3], -v[56:57], v[78:79], v[68:69]
	v_add_co_u32_e32 v80, vcc, s22, v64
	s_sub_i32 s7, s29, 64
	v_addc_co_u32_e32 v81, vcc, v65, v88, vcc
	v_fma_f64 v[86:87], -v[44:45], v[76:77], v[0:1]
	s_waitcnt lgkmcnt(0)
	v_fma_f64 v[88:89], -v[50:51], v[92:93], v[60:61]
	v_fma_f64 v[60:61], -v[24:25], v[70:71], v[62:63]
	v_mov_b32_e32 v0, s7
	s_add_i32 s7, s29, 0xffffffb0
	v_mov_b32_e32 v1, s7
	s_lshl_b32 s7, s2, 3
	s_add_i32 s6, s6, s7
	ds_read2_b64 v[66:69], v0 offset1:1
	ds_read2_b64 v[70:73], v1 offset1:1
	v_mov_b32_e32 v0, s6
	s_lshl_b64 s[6:7], s[2:3], 3
	s_sub_i32 s2, s4, 25
	s_lshl_b32 s20, s2, 9
	s_add_i32 s21, s20, s5
	s_add_i32 s8, s21, -8
	v_fma_f64 v[84:85], -v[58:59], v[84:85], v[2:3]
	v_mov_b32_e32 v62, s8
	ds_read2_b64 v[0:3], v0 offset1:1
	ds_read2_b64 v[76:79], v62 offset1:1
	s_waitcnt lgkmcnt(3)
	v_fma_f64 v[62:63], -v[26:27], v[68:69], v[60:61]
	s_sub_i32 s9, s21, 24
	v_mul_f64 v[60:61], v[74:75], v[86:87]
	v_mov_b32_e32 v74, s9
	s_waitcnt lgkmcnt(0)
	v_fma_f64 v[40:41], -v[10:11], v[78:79], v[40:41]
	v_fma_f64 v[86:87], -v[52:53], v[90:91], v[88:89]
	s_add_i32 s8, s31, 0xffffff78
	s_sub_i32 s9, s21, 40
	v_fma_f64 v[62:63], -v[28:29], v[66:67], v[62:63]
	v_mov_b32_e32 v66, s8
	ds_read2_b64 v[66:69], v66 offset1:1
	s_add_i32 s8, s31, 0xffffff68
	v_fma_f64 v[40:41], -v[12:13], v[76:77], v[40:41]
	ds_read2_b64 v[74:77], v74 offset1:1
	global_store_dwordx2 v[80:81], v[48:49], off
	v_fma_f64 v[92:93], -v[54:55], v[82:83], v[84:85]
	v_fma_f64 v[62:63], -v[32:33], v[72:73], v[62:63]
	v_mov_b32_e32 v72, s9
	ds_read2_b64 v[78:81], v72 offset1:1
	v_mov_b32_e32 v72, s8
	s_waitcnt lgkmcnt(1)
	v_fma_f64 v[40:41], -v[16:17], v[76:77], v[40:41]
	s_add_i32 s8, s29, 0xffffffa0
	v_fma_f64 v[76:77], -v[56:57], v[68:69], v[86:87]
	v_mov_b32_e32 v68, s8
	v_fma_f64 v[62:63], -v[36:37], v[70:71], v[62:63]
	ds_read2_b64 v[82:85], v72 offset1:1
	ds_read2_b64 v[68:71], v68 offset1:1
	s_add_i32 s8, s29, 0xffffff90
	v_fma_f64 v[40:41], -v[18:19], v[74:75], v[40:41]
	v_mov_b32_e32 v72, s8
	ds_read2_b64 v[72:75], v72 offset1:1
	s_add_i32 s8, s28, 0xffffff60
	s_waitcnt lgkmcnt(1)
	v_fma_f64 v[62:63], -v[38:39], v[70:71], v[62:63]
	v_mov_b32_e32 v86, s8
	s_add_i32 s8, s25, s30
	v_fma_f64 v[70:71], -v[58:59], v[66:67], v[76:77]
	v_fma_f64 v[40:41], -v[20:21], v[80:81], v[40:41]
	v_mov_b32_e32 v66, s8
	s_sub_i32 s8, s21, 56
	ds_read2_b64 v[86:89], v86 offset1:1
	v_fma_f64 v[62:63], -v[42:43], v[68:69], v[62:63]
	v_mov_b32_e32 v76, s8
	s_add_i32 s8, s21, 0xffffffb8
	s_lshl_b32 s34, s2, 3
	v_fma_f64 v[40:41], -v[22:23], v[78:79], v[40:41]
	ds_read2_b64 v[76:79], v76 offset1:1
	s_waitcnt lgkmcnt(1)
	v_fma_f64 v[80:81], -v[48:49], v[88:89], v[92:93]
	v_fma_f64 v[70:71], -v[54:55], v[84:85], v[70:71]
	;; [unrolled: 1-line block ×3, first 2 shown]
	v_mov_b32_e32 v74, s8
	s_lshl_b64 s[8:9], s[2:3], 3
	s_sub_i32 s2, s4, 26
	s_lshl_b32 s28, s2, 9
	s_add_i32 s30, s28, s5
	ds_read2_b64 v[88:91], v74 offset1:1
	v_mov_b32_e32 v74, s30
	s_waitcnt lgkmcnt(1)
	v_fma_f64 v[40:41], -v[24:25], v[78:79], v[40:41]
	ds_read_b64 v[78:79], v74
	s_add_i32 s17, s30, -16
	v_mov_b32_e32 v74, s17
	s_add_i32 s17, s31, 0xffffff58
	v_fma_f64 v[100:101], -v[48:49], v[82:83], v[70:71]
	s_waitcnt lgkmcnt(0)
	v_fma_f64 v[34:35], -v[10:11], v[78:79], v[34:35]
	v_mov_b32_e32 v70, s17
	v_fma_f64 v[40:41], -v[26:27], v[76:77], v[40:41]
	ds_read2_b64 v[74:77], v74 offset1:1
	s_add_i32 s17, s29, 0xffffff80
	ds_read2_b64 v[66:69], v66 offset1:1
	v_fma_f64 v[98:99], -v[44:45], v[86:87], v[80:81]
	ds_read2_b64 v[78:81], v70 offset1:1
	s_waitcnt lgkmcnt(2)
	v_fma_f64 v[34:35], -v[12:13], v[76:77], v[34:35]
	v_mov_b32_e32 v70, s17
	s_add_i32 s17, s29, 0xffffff70
	v_mov_b32_e32 v76, s17
	s_sub_i32 s17, s30, 32
	v_fma_f64 v[62:63], -v[50:51], v[72:73], v[62:63]
	ds_read2_b64 v[70:73], v70 offset1:1
	ds_read2_b64 v[82:85], v76 offset1:1
	v_fma_f64 v[40:41], -v[28:29], v[90:91], v[40:41]
	v_fma_f64 v[34:35], -v[16:17], v[74:75], v[34:35]
	v_mov_b32_e32 v74, s17
	ds_read2_b64 v[74:77], v74 offset1:1
	s_add_i32 s17, s21, 0xffffffa8
	s_sub_i32 s22, s30, 48
	s_waitcnt lgkmcnt(2)
	v_fma_f64 v[62:63], -v[52:53], v[72:73], v[62:63]
	v_mov_b32_e32 v86, s22
	v_fma_f64 v[40:41], -v[32:33], v[88:89], v[40:41]
	s_waitcnt lgkmcnt(0)
	v_fma_f64 v[34:35], -v[18:19], v[76:77], v[34:35]
	v_mov_b32_e32 v76, s17
	s_add_i32 s17, s21, 0xffffff98
	ds_read2_b64 v[86:89], v86 offset1:1
	v_mov_b32_e32 v72, s17
	v_fma_f64 v[68:69], -v[60:61], v[68:69], v[98:99]
	ds_read2_b64 v[90:93], v76 offset1:1
	ds_read2_b64 v[94:97], v72 offset1:1
	v_fma_f64 v[34:35], -v[20:21], v[74:75], v[34:35]
	v_fma_f64 v[76:77], -v[44:45], v[80:81], v[100:101]
	s_add_i32 s17, s24, s33
	v_mov_b32_e32 v72, s17
	ds_read2_b64 v[72:75], v72 offset1:1
	v_fma_f64 v[62:63], -v[56:57], v[70:71], v[62:63]
	s_waitcnt lgkmcnt(2)
	v_fma_f64 v[40:41], -v[36:37], v[92:93], v[40:41]
	s_lshl_b32 s33, s2, 3
	v_fma_f64 v[70:71], -v[22:23], v[88:89], v[34:35]
	v_add_co_u32_e32 v34, vcc, s16, v64
	v_addc_co_u32_e32 v35, vcc, v65, v102, vcc
	s_sub_i32 s16, s30, 64
	global_store_dwordx2 v[34:35], v[44:45], off
	v_mul_f64 v[34:35], v[66:67], v[68:69]
	v_mov_b32_e32 v66, s16
	s_add_i32 s16, s30, 0xffffffb0
	v_fma_f64 v[92:93], -v[60:61], v[78:79], v[76:77]
	v_mov_b32_e32 v76, s16
	s_lshl_b64 s[16:17], s[2:3], 3
	s_sub_i32 s2, s4, 27
	s_lshl_b32 s22, s2, 9
	s_add_i32 s23, s22, s5
	v_mov_b32_e32 v99, s19
	s_add_i32 s19, s23, -8
	v_fma_f64 v[70:71], -v[24:25], v[86:87], v[70:71]
	v_mov_b32_e32 v80, s19
	v_fma_f64 v[62:63], -v[58:59], v[84:85], v[62:63]
	ds_read2_b64 v[66:69], v66 offset1:1
	ds_read2_b64 v[76:79], v76 offset1:1
	;; [unrolled: 1-line block ×3, first 2 shown]
	v_fma_f64 v[40:41], -v[38:39], v[90:91], v[40:41]
	s_sub_i32 s19, s23, 24
	s_sub_i32 s24, s23, 56
	s_waitcnt lgkmcnt(2)
	v_fma_f64 v[80:81], -v[26:27], v[68:69], v[70:71]
	s_waitcnt lgkmcnt(0)
	v_fma_f64 v[30:31], -v[10:11], v[86:87], v[30:31]
	v_mov_b32_e32 v68, s19
	ds_read2_b64 v[68:71], v68 offset1:1
	v_fma_f64 v[62:63], -v[54:55], v[82:83], v[62:63]
	v_fma_f64 v[40:41], -v[42:43], v[96:97], v[40:41]
	s_add_i32 s19, s29, 0xffffff60
	v_mov_b32_e32 v86, s19
	v_fma_f64 v[66:67], -v[28:29], v[66:67], v[80:81]
	v_fma_f64 v[30:31], -v[12:13], v[84:85], v[30:31]
	s_add_i32 s19, s21, 0xffffff88
	v_mov_b32_e32 v82, s19
	ds_read2_b64 v[80:83], v82 offset1:1
	ds_read2_b64 v[84:87], v86 offset1:1
	v_fma_f64 v[40:41], -v[46:47], v[94:95], v[40:41]
	s_add_i32 s19, s21, 0xffffff78
	v_mov_b32_e32 v88, s19
	v_fma_f64 v[66:67], -v[32:33], v[78:79], v[66:67]
	s_waitcnt lgkmcnt(2)
	v_fma_f64 v[30:31], -v[16:17], v[70:71], v[30:31]
	s_add_i32 s19, s29, 0xffffff50
	v_mov_b32_e32 v70, s19
	s_sub_i32 s19, s23, 40
	s_waitcnt lgkmcnt(0)
	v_fma_f64 v[62:63], -v[48:49], v[86:87], v[62:63]
	v_fma_f64 v[40:41], -v[50:51], v[82:83], v[40:41]
	;; [unrolled: 1-line block ×5, first 2 shown]
	v_mov_b32_e32 v66, s19
	ds_read2_b64 v[92:95], v70 offset1:1
	ds_read2_b64 v[66:69], v66 offset1:1
	s_add_i32 s19, s30, 0xffffffa0
	v_fma_f64 v[40:41], -v[52:53], v[80:81], v[40:41]
	v_mov_b32_e32 v70, s24
	ds_read2_b64 v[88:91], v88 offset1:1
	ds_read2_b64 v[74:77], v70 offset1:1
	s_waitcnt lgkmcnt(2)
	v_fma_f64 v[30:31], -v[20:21], v[68:69], v[30:31]
	v_mov_b32_e32 v68, s19
	ds_read2_b64 v[68:71], v68 offset1:1
	s_add_i32 s19, s30, 0xffffff90
	v_mov_b32_e32 v78, s19
	s_waitcnt lgkmcnt(2)
	v_fma_f64 v[40:41], -v[56:57], v[90:91], v[40:41]
	ds_read2_b64 v[78:81], v78 offset1:1
	s_waitcnt lgkmcnt(1)
	v_fma_f64 v[70:71], -v[38:39], v[70:71], v[86:87]
	v_fma_f64 v[66:67], -v[22:23], v[66:67], v[30:31]
	v_add_co_u32_e32 v98, vcc, s18, v64
	s_add_i32 s18, s21, 0xffffff68
	v_mul_f64 v[30:31], v[72:73], v[82:83]
	v_mov_b32_e32 v72, s18
	s_add_i32 s18, s21, 0xffffff58
	v_fma_f64 v[40:41], -v[58:59], v[88:89], v[40:41]
	v_fma_f64 v[76:77], -v[24:25], v[76:77], v[66:67]
	v_fma_f64 v[82:83], -v[42:43], v[68:69], v[70:71]
	v_mov_b32_e32 v70, s18
	s_add_i32 s18, s23, 0xffffffb8
	s_lshl_b32 s25, s2, 3
	ds_read2_b64 v[66:69], v72 offset1:1
	v_fma_f64 v[62:63], -v[44:45], v[84:85], v[62:63]
	ds_read2_b64 v[70:73], v70 offset1:1
	v_fma_f64 v[88:89], -v[26:27], v[74:75], v[76:77]
	v_mov_b32_e32 v74, s18
	s_lshl_b64 s[18:19], s[2:3], 3
	s_sub_i32 s2, s4, 28
	s_lshl_b32 s29, s2, 9
	s_add_i32 s24, s29, s5
	v_mov_b32_e32 v75, s24
	ds_read_b64 v[84:85], v75
	ds_read2_b64 v[74:77], v74 offset1:1
	s_waitcnt lgkmcnt(3)
	v_fma_f64 v[40:41], -v[54:55], v[68:69], v[40:41]
	v_fma_f64 v[68:69], -v[46:47], v[80:81], v[82:83]
	s_add_i32 s31, s24, -16
	s_waitcnt lgkmcnt(1)
	v_fma_f64 v[4:5], -v[10:11], v[84:85], v[4:5]
	v_mov_b32_e32 v80, s31
	ds_read2_b64 v[80:83], v80 offset1:1
	s_add_i32 s31, s23, 0xffffffa8
	s_waitcnt lgkmcnt(1)
	v_fma_f64 v[76:77], -v[28:29], v[76:77], v[88:89]
	v_mov_b32_e32 v84, s31
	v_fma_f64 v[78:79], -v[50:51], v[78:79], v[68:69]
	ds_read2_b64 v[84:87], v84 offset1:1
	s_add_i32 s31, s30, 0xffffff80
	s_waitcnt lgkmcnt(1)
	v_fma_f64 v[4:5], -v[12:13], v[82:83], v[4:5]
	v_fma_f64 v[40:41], -v[48:49], v[66:67], v[40:41]
	v_mov_b32_e32 v66, s31
	ds_read2_b64 v[66:69], v66 offset1:1
	s_add_i32 s31, s30, 0xffffff70
	v_fma_f64 v[82:83], -v[32:33], v[74:75], v[76:77]
	v_mov_b32_e32 v74, s31
	ds_read2_b64 v[74:77], v74 offset1:1
	s_waitcnt lgkmcnt(1)
	v_fma_f64 v[68:69], -v[52:53], v[68:69], v[78:79]
	v_fma_f64 v[4:5], -v[16:17], v[80:81], v[4:5]
	s_sub_i32 s31, s24, 32
	v_mov_b32_e32 v78, s31
	ds_read2_b64 v[78:81], v78 offset1:1
	s_sub_i32 s31, s24, 48
	v_fma_f64 v[82:83], -v[36:37], v[86:87], v[82:83]
	v_mov_b32_e32 v86, s31
	s_add_i32 s31, s23, 0xffffff98
	v_fma_f64 v[40:41], -v[44:45], v[72:73], v[40:41]
	v_fma_f64 v[72:73], -v[56:57], v[66:67], v[68:69]
	v_mov_b32_e32 v66, s31
	ds_read2_b64 v[66:69], v66 offset1:1
	s_waitcnt lgkmcnt(1)
	v_fma_f64 v[4:5], -v[18:19], v[80:81], v[4:5]
	v_fma_f64 v[62:63], -v[60:61], v[94:95], v[62:63]
	;; [unrolled: 1-line block ×3, first 2 shown]
	ds_read2_b64 v[86:89], v86 offset1:1
	s_add_i32 s31, s23, 0xffffff88
	v_fma_f64 v[40:41], -v[60:61], v[70:71], v[40:41]
	s_addk_i32 s21, 0xff48
	v_mov_b32_e32 v90, s21
	v_fma_f64 v[4:5], -v[20:21], v[78:79], v[4:5]
	v_fma_f64 v[62:63], -v[34:35], v[92:93], v[62:63]
	v_mov_b32_e32 v78, s31
	s_waitcnt lgkmcnt(1)
	v_fma_f64 v[68:69], -v[42:43], v[68:69], v[82:83]
	ds_read2_b64 v[78:81], v78 offset1:1
	s_sub_i32 s21, s24, 64
	s_add_i32 s20, s20, s34
	v_mov_b32_e32 v94, s20
	s_waitcnt lgkmcnt(1)
	v_fma_f64 v[4:5], -v[22:23], v[88:89], v[4:5]
	v_fma_f64 v[62:63], -v[30:31], v[2:3], v[62:63]
	v_fma_f64 v[2:3], -v[58:59], v[76:77], v[72:73]
	v_fma_f64 v[66:67], -v[46:47], v[66:67], v[68:69]
	s_add_i32 s20, s30, 0xffffff60
	s_add_i32 s13, s30, 0xffffff40
	v_addc_co_u32_e32 v99, vcc, v65, v99, vcc
	v_fma_f64 v[70:71], -v[24:25], v[86:87], v[4:5]
	v_mul_f64 v[0:1], v[0:1], v[62:63]
	v_fma_f64 v[82:83], -v[54:55], v[74:75], v[2:3]
	v_mov_b32_e32 v2, s21
	ds_read2_b64 v[2:5], v2 offset1:1
	s_add_i32 s21, s24, 0xffffffb0
	s_waitcnt lgkmcnt(1)
	v_fma_f64 v[80:81], -v[50:51], v[80:81], v[66:67]
	v_mov_b32_e32 v66, s21
	ds_read2_b64 v[66:69], v66 offset1:1
	s_waitcnt lgkmcnt(1)
	v_fma_f64 v[4:5], -v[26:27], v[4:5], v[70:71]
	v_mov_b32_e32 v70, s20
	s_add_i32 s20, s30, 0xffffff50
	v_mov_b32_e32 v74, s20
	s_add_i32 s20, s23, 0xffffff78
	v_fma_f64 v[86:87], -v[52:53], v[78:79], v[80:81]
	ds_read2_b64 v[70:73], v70 offset1:1
	ds_read2_b64 v[74:77], v74 offset1:1
	s_add_i32 s36, s24, 0xffffff50
	v_fma_f64 v[2:3], -v[28:29], v[2:3], v[4:5]
	v_mov_b32_e32 v4, s20
	s_add_i32 s20, s23, 0xffffff68
	ds_read2_b64 v[78:81], v4 offset1:1
	v_mov_b32_e32 v4, s20
	s_lshl_b32 s20, s2, 3
	s_add_i32 s20, s29, s20
	s_waitcnt lgkmcnt(2)
	v_fma_f64 v[72:73], -v[48:49], v[72:73], v[82:83]
	v_fma_f64 v[68:69], -v[32:33], v[68:69], v[2:3]
	v_mov_b32_e32 v2, s20
	s_lshl_b64 s[20:21], s[2:3], 3
	s_sub_i32 s2, s4, 29
	s_lshl_b32 s29, s2, 9
	s_add_i32 s31, s29, s5
	s_add_i32 s34, s31, -8
	s_waitcnt lgkmcnt(0)
	v_fma_f64 v[80:81], -v[56:57], v[80:81], v[86:87]
	v_mov_b32_e32 v86, s34
	ds_read2_b64 v[82:85], v4 offset1:1
	ds_read2_b64 v[2:5], v2 offset1:1
	;; [unrolled: 1-line block ×5, first 2 shown]
	s_add_i32 s34, s24, 0xffffffa0
	v_fma_f64 v[100:101], -v[44:45], v[70:71], v[72:73]
	s_waitcnt lgkmcnt(2)
	v_fma_f64 v[14:15], -v[10:11], v[88:89], v[14:15]
	v_fma_f64 v[88:89], -v[36:37], v[66:67], v[68:69]
	v_mov_b32_e32 v66, s34
	s_add_i32 s34, s24, 0xffffff90
	v_mov_b32_e32 v70, s34
	s_sub_i32 s34, s31, 24
	v_fma_f64 v[102:103], -v[58:59], v[78:79], v[80:81]
	v_mov_b32_e32 v78, s34
	v_fma_f64 v[14:15], -v[12:13], v[86:87], v[14:15]
	ds_read2_b64 v[66:69], v66 offset1:1
	ds_read2_b64 v[70:73], v70 offset1:1
	;; [unrolled: 1-line block ×3, first 2 shown]
	s_sub_i32 s34, s31, 40
	v_mov_b32_e32 v86, s34
	s_waitcnt lgkmcnt(2)
	v_fma_f64 v[68:69], -v[38:39], v[68:69], v[88:89]
	ds_read2_b64 v[86:89], v86 offset1:1
	v_fma_f64 v[76:77], -v[60:61], v[76:77], v[100:101]
	s_waitcnt lgkmcnt(1)
	v_fma_f64 v[14:15], -v[16:17], v[80:81], v[14:15]
	v_fma_f64 v[62:63], -v[54:55], v[84:85], v[102:103]
	;; [unrolled: 1-line block ×3, first 2 shown]
	global_store_dwordx2 v[98:99], v[60:61], off
	s_add_i32 s30, s31, 0xffffffb8
	v_fma_f64 v[80:81], -v[42:43], v[66:67], v[68:69]
	v_mov_b32_e32 v66, s13
	ds_read2_b64 v[66:69], v66 offset1:1
	v_fma_f64 v[14:15], -v[18:19], v[78:79], v[14:15]
	s_add_i32 s13, s23, 0xffffff58
	v_fma_f64 v[92:93], -v[34:35], v[74:75], v[76:77]
	v_fma_f64 v[62:63], -v[48:49], v[82:83], v[62:63]
	;; [unrolled: 1-line block ×4, first 2 shown]
	v_mov_b32_e32 v72, s13
	s_add_i32 s13, s23, 0xffffff48
	s_waitcnt lgkmcnt(1)
	v_fma_f64 v[14:15], -v[20:21], v[88:89], v[14:15]
	v_mov_b32_e32 v76, s13
	s_sub_i32 s13, s31, 56
	ds_read2_b64 v[72:75], v72 offset1:1
	ds_read2_b64 v[76:79], v76 offset1:1
	v_mov_b32_e32 v84, s30
	v_fma_f64 v[70:71], -v[50:51], v[70:71], v[80:81]
	v_mov_b32_e32 v80, s13
	ds_read2_b64 v[80:83], v80 offset1:1
	v_fma_f64 v[14:15], -v[22:23], v[86:87], v[14:15]
	s_add_i32 s13, s24, 0xffffff80
	s_waitcnt lgkmcnt(2)
	v_fma_f64 v[62:63], -v[44:45], v[74:75], v[62:63]
	ds_read2_b64 v[84:87], v84 offset1:1
	v_fma_f64 v[40:41], -v[0:1], v[96:97], v[40:41]
	v_fma_f64 v[68:69], -v[30:31], v[68:69], v[92:93]
	s_lshl_b32 s30, s2, 3
	s_add_i32 s22, s22, s25
	s_waitcnt lgkmcnt(1)
	v_fma_f64 v[14:15], -v[24:25], v[82:83], v[14:15]
	v_mov_b32_e32 v82, s13
	ds_read2_b64 v[88:91], v82 offset1:1
	s_add_i32 s13, s24, 0xffffff70
	v_mov_b32_e32 v74, s13
	ds_read2_b64 v[98:101], v74 offset1:1
	s_add_i32 s13, s28, s33
	s_waitcnt lgkmcnt(1)
	v_fma_f64 v[70:71], -v[52:53], v[90:91], v[70:71]
	v_fma_f64 v[14:15], -v[26:27], v[80:81], v[14:15]
	v_mov_b32_e32 v74, s13
	ds_read2_b64 v[80:83], v74 offset1:1
	v_fma_f64 v[62:63], -v[60:61], v[72:73], v[62:63]
	s_addk_i32 s23, 0xff38
	v_fma_f64 v[70:71], -v[56:57], v[88:89], v[70:71]
	v_fma_f64 v[72:73], -v[28:29], v[86:87], v[14:15]
	v_add_co_u32_e32 v14, vcc, s12, v64
	v_addc_co_u32_e32 v15, vcc, v65, v104, vcc
	s_add_i32 s12, s31, 0xffffffa8
	global_store_dwordx2 v[14:15], v[34:35], off
	v_mul_f64 v[14:15], v[94:95], v[40:41]
	v_fma_f64 v[40:41], -v[0:1], v[66:67], v[68:69]
	v_fma_f64 v[62:63], -v[34:35], v[78:79], v[62:63]
	;; [unrolled: 1-line block ×3, first 2 shown]
	v_mov_b32_e32 v66, s12
	s_lshl_b64 s[12:13], s[2:3], 3
	s_sub_i32 s2, s4, 30
	s_lshl_b32 s28, s2, 9
	s_add_i32 s33, s28, s5
	s_waitcnt lgkmcnt(1)
	v_fma_f64 v[74:75], -v[58:59], v[100:101], v[70:71]
	ds_read2_b64 v[66:69], v66 offset1:1
	v_mov_b32_e32 v70, s33
	ds_read_b64 v[84:85], v70
	v_mov_b32_e32 v88, s15
	s_add_i32 s15, s31, 0xffffff98
	s_waitcnt lgkmcnt(1)
	v_fma_f64 v[68:69], -v[36:37], v[68:69], v[78:79]
	v_mov_b32_e32 v86, s15
	s_waitcnt lgkmcnt(0)
	v_fma_f64 v[8:9], -v[10:11], v[84:85], v[8:9]
	s_add_i32 s15, s33, -16
	v_mov_b32_e32 v70, s15
	ds_read2_b64 v[70:73], v70 offset1:1
	v_add_co_u32_e32 v90, vcc, s14, v64
	s_add_i32 s14, s24, 0xffffff60
	v_fma_f64 v[92:93], -v[54:55], v[98:99], v[74:75]
	v_fma_f64 v[74:75], -v[38:39], v[66:67], v[68:69]
	v_mov_b32_e32 v66, s14
	ds_read2_b64 v[66:69], v66 offset1:1
	s_waitcnt lgkmcnt(1)
	v_fma_f64 v[8:9], -v[12:13], v[72:73], v[8:9]
	s_sub_i32 s14, s33, 32
	ds_read2_b64 v[84:87], v86 offset1:1
	s_lshl_b32 s35, s2, 3
	v_fma_f64 v[62:63], -v[30:31], v[76:77], v[62:63]
	v_addc_co_u32_e32 v91, vcc, v65, v88, vcc
	s_waitcnt lgkmcnt(0)
	v_fma_f64 v[78:79], -v[42:43], v[86:87], v[74:75]
	v_fma_f64 v[8:9], -v[16:17], v[70:71], v[8:9]
	v_mov_b32_e32 v70, s14
	ds_read2_b64 v[70:73], v70 offset1:1
	s_sub_i32 s14, s33, 48
	v_mov_b32_e32 v74, s14
	s_lshl_b64 s[14:15], s[2:3], 3
	s_sub_i32 s2, s4, 31
	ds_read2_b64 v[74:77], v74 offset1:1
	s_waitcnt lgkmcnt(1)
	v_fma_f64 v[8:9], -v[18:19], v[72:73], v[8:9]
	s_lshl_b32 s34, s2, 9
	s_add_i32 s5, s34, s5
	s_add_i32 s37, s5, -8
	v_mov_b32_e32 v72, s37
	ds_read2_b64 v[86:89], v72 offset1:1
	v_fma_f64 v[78:79], -v[46:47], v[84:85], v[78:79]
	v_fma_f64 v[40:41], -v[14:15], v[82:83], v[40:41]
	;; [unrolled: 1-line block ×3, first 2 shown]
	s_sub_i32 s37, s5, 24
	s_waitcnt lgkmcnt(0)
	v_fma_f64 v[10:11], -v[10:11], v[88:89], v[6:7]
	v_mov_b32_e32 v88, s36
	s_add_i32 s36, s31, 0xffffff88
	v_mov_b32_e32 v6, s36
	v_mov_b32_e32 v70, s37
	ds_read2_b64 v[70:73], v70 offset1:1
	v_fma_f64 v[76:77], -v[22:23], v[76:77], v[8:9]
	ds_read2_b64 v[6:9], v6 offset1:1
	v_fma_f64 v[82:83], -v[12:13], v[86:87], v[10:11]
	s_add_i32 s36, s31, 0xffffff78
	v_mov_b32_e32 v10, s36
	s_sub_i32 s36, s33, 64
	ds_read2_b64 v[10:13], v10 offset1:1
	s_waitcnt lgkmcnt(1)
	v_fma_f64 v[8:9], -v[50:51], v[8:9], v[78:79]
	v_fma_f64 v[78:79], -v[24:25], v[74:75], v[76:77]
	v_mov_b32_e32 v74, s36
	ds_read2_b64 v[74:77], v74 offset1:1
	v_fma_f64 v[16:17], -v[16:17], v[72:73], v[82:83]
	s_add_i32 s36, s33, 0xffffffb0
	v_mov_b32_e32 v72, s36
	ds_read2_b64 v[82:85], v72 offset1:1
	s_sub_i32 s36, s5, 40
	s_waitcnt lgkmcnt(1)
	v_fma_f64 v[72:73], -v[26:27], v[76:77], v[78:79]
	v_fma_f64 v[86:87], -v[52:53], v[6:7], v[8:9]
	v_mov_b32_e32 v6, s36
	v_fma_f64 v[70:71], -v[18:19], v[70:71], v[16:17]
	ds_read2_b64 v[6:9], v6 offset1:1
	s_sub_i32 s36, s5, 56
	v_fma_f64 v[68:69], -v[48:49], v[68:69], v[92:93]
	v_mov_b32_e32 v16, s36
	v_fma_f64 v[72:73], -v[28:29], v[74:75], v[72:73]
	ds_read2_b64 v[16:19], v16 offset1:1
	ds_read2_b64 v[76:79], v88 offset1:1
	s_waitcnt lgkmcnt(2)
	v_fma_f64 v[8:9], -v[20:21], v[8:9], v[70:71]
	v_fma_f64 v[12:13], -v[56:57], v[12:13], v[86:87]
	s_add_i32 s25, s33, 0xffffffa0
	v_fma_f64 v[20:21], -v[44:45], v[66:67], v[68:69]
	v_mov_b32_e32 v66, s23
	v_fma_f64 v[70:71], -v[32:33], v[84:85], v[72:73]
	s_add_i32 s23, s31, 0xffffff68
	ds_read2_b64 v[66:69], v66 offset1:1
	v_fma_f64 v[22:23], -v[22:23], v[6:7], v[8:9]
	v_mov_b32_e32 v6, s25
	ds_read2_b64 v[6:9], v6 offset1:1
	s_waitcnt lgkmcnt(2)
	v_fma_f64 v[74:75], -v[60:61], v[78:79], v[20:21]
	s_add_i32 s25, s33, 0xffffff90
	v_fma_f64 v[20:21], -v[36:37], v[82:83], v[70:71]
	v_fma_f64 v[72:73], -v[58:59], v[10:11], v[12:13]
	v_mov_b32_e32 v10, s25
	v_fma_f64 v[22:23], -v[24:25], v[18:19], v[22:23]
	ds_read2_b64 v[10:13], v10 offset1:1
	s_add_i32 s25, s5, 0xffffffb8
	v_mov_b32_e32 v18, s23
	s_add_i32 s23, s31, 0xffffff58
	s_waitcnt lgkmcnt(1)
	v_fma_f64 v[8:9], -v[38:39], v[8:9], v[20:21]
	ds_read2_b64 v[18:21], v18 offset1:1
	v_mul_f64 v[40:41], v[80:81], v[40:41]
	v_fma_f64 v[16:17], -v[26:27], v[16:17], v[22:23]
	v_mov_b32_e32 v22, s25
	ds_read2_b64 v[22:25], v22 offset1:1
	s_waitcnt lgkmcnt(1)
	v_fma_f64 v[20:21], -v[54:55], v[20:21], v[72:73]
	s_add_i32 s25, s5, 0xffffffa8
	v_fma_f64 v[70:71], -v[42:43], v[6:7], v[8:9]
	v_mov_b32_e32 v6, s25
	ds_read2_b64 v[6:9], v6 offset1:1
	s_waitcnt lgkmcnt(1)
	v_fma_f64 v[16:17], -v[28:29], v[24:25], v[16:17]
	v_mov_b32_e32 v24, s23
	v_mov_b32_e32 v28, s22
	s_add_i32 s23, s33, 0xffffff80
	ds_read2_b64 v[24:27], v24 offset1:1
	v_fma_f64 v[12:13], -v[46:47], v[12:13], v[70:71]
	ds_read2_b64 v[70:73], v28 offset1:1
	v_fma_f64 v[28:29], -v[48:49], v[18:19], v[20:21]
	v_fma_f64 v[16:17], -v[32:33], v[22:23], v[16:17]
	s_add_i32 s22, s24, 0xffffff40
	v_fma_f64 v[32:33], -v[34:35], v[76:77], v[74:75]
	v_fma_f64 v[62:63], -v[0:1], v[68:69], v[62:63]
	global_store_dwordx2 v[90:91], v[30:31], off
	v_fma_f64 v[20:21], -v[50:51], v[10:11], v[12:13]
	v_mov_b32_e32 v10, s23
	ds_read2_b64 v[10:13], v10 offset1:1
	s_waitcnt lgkmcnt(3)
	v_fma_f64 v[8:9], -v[36:37], v[8:9], v[16:17]
	s_add_i32 s23, s33, 0xffffff70
	v_mov_b32_e32 v16, s23
	ds_read2_b64 v[16:19], v16 offset1:1
	s_add_i32 s23, s33, 0xffffff60
	s_waitcnt lgkmcnt(1)
	v_fma_f64 v[12:13], -v[52:53], v[12:13], v[20:21]
	v_mov_b32_e32 v20, s22
	ds_read2_b64 v[20:23], v20 offset1:1
	v_fma_f64 v[36:37], -v[44:45], v[26:27], v[28:29]
	v_fma_f64 v[26:27], -v[38:39], v[6:7], v[8:9]
	s_add_i32 s22, s5, 0xffffff98
	v_mov_b32_e32 v6, s22
	ds_read2_b64 v[6:9], v6 offset1:1
	s_add_i32 s22, s5, 0xffffff88
	v_fma_f64 v[38:39], -v[56:57], v[10:11], v[12:13]
	v_mov_b32_e32 v10, s22
	ds_read2_b64 v[10:13], v10 offset1:1
	s_waitcnt lgkmcnt(1)
	v_fma_f64 v[8:9], -v[42:43], v[8:9], v[26:27]
	s_add_i32 s22, s24, 0xffffff30
	v_mov_b32_e32 v26, s22
	s_add_i32 s22, s31, 0xffffff48
	v_fma_f64 v[32:33], -v[30:31], v[22:23], v[32:33]
	v_fma_f64 v[42:43], -v[60:61], v[24:25], v[36:37]
	ds_read2_b64 v[26:29], v26 offset1:1
	v_fma_f64 v[22:23], -v[46:47], v[6:7], v[8:9]
	v_mov_b32_e32 v6, s22
	ds_read2_b64 v[6:9], v6 offset1:1
	v_fma_f64 v[18:19], -v[58:59], v[18:19], v[38:39]
	s_add_i32 s22, s31, 0xffffff38
	v_fma_f64 v[20:21], -v[0:1], v[20:21], v[32:33]
	s_waitcnt lgkmcnt(0)
	v_fma_f64 v[42:43], -v[34:35], v[8:9], v[42:43]
	v_fma_f64 v[12:13], -v[50:51], v[12:13], v[22:23]
	v_mov_b32_e32 v50, s7
	s_add_i32 s7, s5, 0xffffff28
	v_fma_f64 v[36:37], -v[54:55], v[16:17], v[18:19]
	v_mov_b32_e32 v16, s23
	ds_read2_b64 v[16:19], v16 offset1:1
	s_add_i32 s23, s33, 0xffffff50
	v_mov_b32_e32 v22, s23
	ds_read2_b64 v[22:25], v22 offset1:1
	v_fma_f64 v[12:13], -v[52:53], v[10:11], v[12:13]
	v_fma_f64 v[6:7], -v[30:31], v[6:7], v[42:43]
	s_waitcnt lgkmcnt(1)
	v_fma_f64 v[18:19], -v[48:49], v[18:19], v[36:37]
	v_mov_b32_e32 v36, s22
	s_add_i32 s22, s5, 0xffffff78
	v_mov_b32_e32 v8, s22
	ds_read2_b64 v[8:11], v8 offset1:1
	s_add_i32 s22, s5, 0xffffff68
	ds_read2_b64 v[36:39], v36 offset1:1
	v_fma_f64 v[28:29], -v[14:15], v[28:29], v[20:21]
	v_fma_f64 v[46:47], -v[44:45], v[16:17], v[18:19]
	v_mov_b32_e32 v16, s22
	ds_read2_b64 v[16:19], v16 offset1:1
	s_waitcnt lgkmcnt(2)
	v_fma_f64 v[10:11], -v[56:57], v[10:11], v[12:13]
	v_fma_f64 v[12:13], -v[14:15], v[66:67], v[62:63]
	s_waitcnt lgkmcnt(1)
	v_fma_f64 v[38:39], -v[0:1], v[38:39], v[6:7]
	v_mov_b32_e32 v42, s9
	v_fma_f64 v[26:27], -v[40:41], v[26:27], v[28:29]
	v_fma_f64 v[24:25], -v[60:61], v[24:25], v[46:47]
	;; [unrolled: 1-line block ×3, first 2 shown]
	v_add_co_u32_e32 v10, vcc, s6, v64
	s_add_i32 s6, s33, 0xffffff40
	v_addc_co_u32_e32 v11, vcc, v65, v50, vcc
	v_fma_f64 v[20:21], -v[34:35], v[22:23], v[24:25]
	v_mov_b32_e32 v6, s6
	s_waitcnt lgkmcnt(0)
	v_fma_f64 v[18:19], -v[54:55], v[18:19], v[8:9]
	s_add_i32 s6, s33, 0xffffff30
	global_store_dwordx2 v[10:11], v[0:1], off
	v_mov_b32_e32 v10, s6
	s_add_i32 s6, s5, 0xffffff58
	v_fma_f64 v[32:33], -v[40:41], v[72:73], v[12:13]
	ds_read2_b64 v[6:9], v6 offset1:1
	ds_read2_b64 v[10:13], v10 offset1:1
	v_fma_f64 v[28:29], -v[14:15], v[36:37], v[38:39]
	v_fma_f64 v[24:25], -v[48:49], v[16:17], v[18:19]
	v_mov_b32_e32 v16, s6
	ds_read2_b64 v[16:19], v16 offset1:1
	s_add_i32 s6, s5, 0xffffff48
	s_waitcnt lgkmcnt(2)
	v_fma_f64 v[8:9], -v[30:31], v[8:9], v[20:21]
	v_mov_b32_e32 v20, s6
	ds_read2_b64 v[20:23], v20 offset1:1
	s_add_i32 s6, s31, 0xffffff28
	s_waitcnt lgkmcnt(1)
	v_fma_f64 v[18:19], -v[44:45], v[18:19], v[24:25]
	v_mul_f64 v[24:25], v[70:71], v[32:33]
	v_mov_b32_e32 v38, s6
	s_add_i32 s6, s29, s30
	v_fma_f64 v[32:33], -v[0:1], v[6:7], v[8:9]
	ds_read2_b64 v[6:9], v38 offset1:1
	v_fma_f64 v[36:37], -v[60:61], v[16:17], v[18:19]
	v_fma_f64 v[4:5], -v[24:25], v[4:5], v[26:27]
	s_waitcnt lgkmcnt(0)
	v_fma_f64 v[8:9], -v[40:41], v[8:9], v[28:29]
	v_add_co_u32_e32 v26, vcc, s8, v64
	v_fma_f64 v[12:13], -v[14:15], v[12:13], v[32:33]
	v_mov_b32_e32 v16, s6
	v_addc_co_u32_e32 v27, vcc, v65, v42, vcc
	v_fma_f64 v[22:23], -v[34:35], v[22:23], v[36:37]
	s_add_i32 s6, s5, 0xffffff38
	global_store_dwordx2 v[26:27], v[14:15], off
	v_mul_f64 v[26:27], v[2:3], v[4:5]
	v_fma_f64 v[32:33], -v[40:41], v[10:11], v[12:13]
	v_mov_b32_e32 v2, s6
	ds_read2_b64 v[2:5], v2 offset1:1
	v_fma_f64 v[28:29], -v[24:25], v[6:7], v[8:9]
	v_fma_f64 v[10:11], -v[30:31], v[20:21], v[22:23]
	v_mov_b32_e32 v6, s7
	ds_read2_b64 v[6:9], v6 offset1:1
	s_add_i32 s6, s33, 0xffffff20
	ds_read2_b64 v[16:19], v16 offset1:1
	s_addk_i32 s5, 0xff18
	s_waitcnt lgkmcnt(2)
	v_fma_f64 v[0:1], -v[0:1], v[4:5], v[10:11]
	v_mov_b32_e32 v4, s6
	ds_read2_b64 v[10:13], v4 offset1:1
	s_waitcnt lgkmcnt(1)
	v_fma_f64 v[4:5], -v[26:27], v[18:19], v[28:29]
	s_add_i32 s6, s28, s35
	v_mov_b32_e32 v18, s6
	ds_read2_b64 v[18:21], v18 offset1:1
	s_waitcnt lgkmcnt(1)
	v_fma_f64 v[12:13], -v[24:25], v[12:13], v[32:33]
	v_fma_f64 v[0:1], -v[14:15], v[2:3], v[0:1]
	v_mov_b32_e32 v3, s17
	v_add_co_u32_e32 v2, vcc, s16, v64
	v_mul_f64 v[14:15], v[16:17], v[4:5]
	v_addc_co_u32_e32 v3, vcc, v65, v3, vcc
	v_fma_f64 v[4:5], -v[26:27], v[10:11], v[12:13]
	v_fma_f64 v[0:1], -v[40:41], v[8:9], v[0:1]
	global_store_dwordx2 v[2:3], v[40:41], off
	v_mov_b32_e32 v2, s19
	v_add_co_u32_e32 v8, vcc, s18, v64
	v_addc_co_u32_e32 v9, vcc, v65, v2, vcc
	s_waitcnt lgkmcnt(0)
	v_fma_f64 v[10:11], -v[14:15], v[20:21], v[4:5]
	v_fma_f64 v[12:13], -v[24:25], v[6:7], v[0:1]
	v_mov_b32_e32 v0, s5
	ds_read2_b64 v[0:3], v0 offset1:1
	s_lshl_b32 s5, s2, 3
	s_add_i32 s5, s34, s5
	v_mov_b32_e32 v4, s5
	ds_read2_b64 v[4:7], v4 offset1:1
	v_mul_f64 v[10:11], v[18:19], v[10:11]
	s_waitcnt lgkmcnt(1)
	v_fma_f64 v[2:3], -v[26:27], v[2:3], v[12:13]
	global_store_dwordx2 v[8:9], v[24:25], off
	v_mov_b32_e32 v9, s21
	v_add_co_u32_e32 v8, vcc, s20, v64
	v_addc_co_u32_e32 v9, vcc, v65, v9, vcc
	s_lshl_b64 s[6:7], s[2:3], 3
	v_fma_f64 v[0:1], -v[14:15], v[0:1], v[2:3]
	v_mov_b32_e32 v3, s13
	v_add_co_u32_e32 v2, vcc, s12, v64
	v_addc_co_u32_e32 v3, vcc, v65, v3, vcc
	global_store_dwordx2 v[2:3], v[14:15], off
	v_mov_b32_e32 v3, s15
	s_waitcnt lgkmcnt(0)
	v_fma_f64 v[0:1], -v[10:11], v[6:7], v[0:1]
	v_add_co_u32_e32 v2, vcc, s14, v64
	v_addc_co_u32_e32 v3, vcc, v65, v3, vcc
	global_store_dwordx2 v[2:3], v[10:11], off
	v_mov_b32_e32 v3, s7
	v_add_co_u32_e32 v2, vcc, s6, v64
	v_mul_f64 v[0:1], v[4:5], v[0:1]
	s_mov_b32 s5, 31
	v_addc_co_u32_e32 v3, vcc, v65, v3, vcc
	s_cmp_gt_i32 s4, 62
	global_store_dwordx2 v[8:9], v[26:27], off
	global_store_dwordx2 v[2:3], v[0:1], off
	s_cbranch_scc0 .LBB110_14
.LBB110_11:                             ; =>This Loop Header: Depth=1
                                        ;     Child Loop BB110_13 Depth 2
	s_mov_b32 s4, s5
	s_mov_b32 s5, s3
	s_lshl_b64 s[6:7], s[4:5], 3
	v_mov_b32_e32 v0, s7
	v_add_co_u32_e32 v26, vcc, s6, v64
	s_ashr_i32 s5, s4, 31
	v_addc_co_u32_e32 v27, vcc, v65, v0, vcc
	s_lshl_b64 s[6:7], s[4:5], 3
	v_mov_b32_e32 v0, s7
	v_add_co_u32_e32 v10, vcc, s6, v64
	v_addc_co_u32_e32 v11, vcc, v65, v0, vcc
	global_load_dwordx2 v[8:9], v[26:27], off
	global_load_dwordx2 v[12:13], v[10:11], off offset:-8
	global_load_dwordx4 v[0:3], v[10:11], off offset:-24
	global_load_dwordx4 v[4:7], v[10:11], off offset:-40
	;; [unrolled: 1-line block ×15, first 2 shown]
	s_cmp_le_i32 s11, s4
	s_waitcnt vmcnt(15)
	v_mul_f64 v[66:67], s[0:1], v[12:13]
	s_waitcnt vmcnt(14)
	v_mul_f64 v[12:13], s[0:1], v[2:3]
	v_mul_f64 v[16:17], s[0:1], v[0:1]
	s_waitcnt vmcnt(13)
	v_mul_f64 v[62:63], s[0:1], v[6:7]
	;; [unrolled: 3-line block ×7, first 2 shown]
	v_mul_f64 v[10:11], s[0:1], v[8:9]
	v_mul_f64 v[38:39], s[0:1], v[40:41]
	s_waitcnt vmcnt(7)
	v_mul_f64 v[42:43], s[0:1], v[46:47]
	v_mul_f64 v[46:47], s[0:1], v[44:45]
	s_waitcnt vmcnt(6)
	;; [unrolled: 3-line block ×8, first 2 shown]
	v_mul_f64 v[8:9], s[0:1], v[90:91]
	v_mul_f64 v[6:7], s[0:1], v[88:89]
	s_cbranch_scc1 .LBB110_10
; %bb.12:                               ;   in Loop: Header=BB110_11 Depth=1
	s_lshl_b32 s2, s4, 9
	s_add_i32 s5, s27, s2
	s_mov_b32 s2, s11
.LBB110_13:                             ;   Parent Loop BB110_11 Depth=1
                                        ; =>  This Inner Loop Header: Depth=2
	s_lshl_b64 s[6:7], s[2:3], 3
	v_mov_b32_e32 v69, s7
	v_add_co_u32_e32 v68, vcc, s6, v64
	v_addc_co_u32_e32 v69, vcc, v65, v69, vcc
	global_load_dwordx2 v[132:133], v[68:69], off
	v_mov_b32_e32 v128, s5
	ds_read2st64_b64 v[68:71], v128 offset0:30 offset1:31
	ds_read2st64_b64 v[72:75], v128 offset0:28 offset1:29
	;; [unrolled: 1-line block ×15, first 2 shown]
	ds_read2st64_b64 v[128:131], v128 offset1:1
	s_add_i32 s2, s2, -1
	s_add_i32 s5, s5, -8
	s_cmp_gt_i32 s2, s4
	s_waitcnt vmcnt(0) lgkmcnt(14)
	v_fma_f64 v[10:11], -v[132:133], v[70:71], v[10:11]
	v_fma_f64 v[66:67], -v[132:133], v[68:69], v[66:67]
	;; [unrolled: 1-line block ×4, first 2 shown]
	s_waitcnt lgkmcnt(13)
	v_fma_f64 v[62:63], -v[132:133], v[78:79], v[62:63]
	v_fma_f64 v[18:19], -v[132:133], v[76:77], v[18:19]
	s_waitcnt lgkmcnt(12)
	v_fma_f64 v[20:21], -v[132:133], v[82:83], v[20:21]
	v_fma_f64 v[24:25], -v[132:133], v[80:81], v[24:25]
	;; [unrolled: 3-line block ×14, first 2 shown]
	s_cbranch_scc1 .LBB110_13
	s_branch .LBB110_10
.LBB110_14:
	s_sub_i32 s2, s4, 32
.LBB110_15:
	s_cmp_gt_i32 s2, -1
	s_cbranch_scc0 .LBB110_36
; %bb.16:
	s_cmp_lt_u32 s2, 3
	s_cbranch_scc1 .LBB110_22
; %bb.17:
	s_lshl_b32 s3, s2, 9
	s_lshl_b32 s4, s26, 3
	s_add_i32 s3, s3, s4
	s_add_i32 s6, s3, 0xfffff9f8
	s_mov_b32 s5, 0
.LBB110_18:                             ; =>This Loop Header: Depth=1
                                        ;     Child Loop BB110_19 Depth 2
	s_mov_b32 s3, s5
	s_lshl_b64 s[8:9], s[2:3], 3
	v_mov_b32_e32 v1, s9
	v_add_co_u32_e32 v0, vcc, s8, v64
	v_addc_co_u32_e32 v1, vcc, v65, v1, vcc
	global_load_dwordx4 v[2:5], v[0:1], off offset:-8
	global_load_dwordx4 v[10:13], v[0:1], off offset:-24
	s_cmp_le_i32 s11, s2
	s_mov_b32 s3, s6
	s_mov_b32 s4, s11
	s_waitcnt vmcnt(1)
	v_mul_f64 v[8:9], s[0:1], v[4:5]
	v_mul_f64 v[6:7], s[0:1], v[2:3]
	s_waitcnt vmcnt(0)
	v_mul_f64 v[4:5], s[0:1], v[12:13]
	v_mul_f64 v[2:3], s[0:1], v[10:11]
	s_cbranch_scc1 .LBB110_20
.LBB110_19:                             ;   Parent Loop BB110_18 Depth=1
                                        ; =>  This Inner Loop Header: Depth=2
	s_lshl_b64 s[8:9], s[4:5], 3
	v_mov_b32_e32 v11, s9
	v_add_co_u32_e32 v10, vcc, s8, v64
	v_addc_co_u32_e32 v11, vcc, v65, v11, vcc
	global_load_dwordx2 v[18:19], v[10:11], off
	v_mov_b32_e32 v14, s3
	ds_read2st64_b64 v[10:13], v14 offset0:2 offset1:3
	ds_read2st64_b64 v[14:17], v14 offset1:1
	s_add_i32 s4, s4, -1
	s_add_i32 s3, s3, -8
	s_cmp_gt_i32 s4, s2
	s_waitcnt vmcnt(0) lgkmcnt(1)
	v_fma_f64 v[8:9], -v[18:19], v[12:13], v[8:9]
	v_fma_f64 v[6:7], -v[18:19], v[10:11], v[6:7]
	s_waitcnt lgkmcnt(0)
	v_fma_f64 v[4:5], -v[18:19], v[16:17], v[4:5]
	v_fma_f64 v[2:3], -v[18:19], v[14:15], v[2:3]
	s_cbranch_scc1 .LBB110_19
.LBB110_20:                             ;   in Loop: Header=BB110_18 Depth=1
	s_mul_i32 s3, s2, 0x208
	v_mov_b32_e32 v10, s3
	ds_read_b64 v[14:15], v10
	s_add_i32 s4, s2, -1
	s_lshl_b32 s3, s4, 9
	s_lshl_b32 s7, s4, 3
	s_add_i32 s3, s3, s7
	s_waitcnt lgkmcnt(0)
	v_mul_f64 v[18:19], v[14:15], v[8:9]
	v_mov_b32_e32 v10, s3
	ds_read2_b64 v[10:13], v10 offset1:1
	s_lshl_b64 s[8:9], s[4:5], 3
	s_add_i32 s4, s2, -2
	s_lshl_b32 s3, s2, 3
	s_lshl_b32 s7, s4, 9
	s_add_i32 s12, s7, s3
	s_waitcnt lgkmcnt(0)
	v_fma_f64 v[12:13], -v[18:19], v[12:13], v[6:7]
	v_mov_b32_e32 v6, s12
	ds_read_b64 v[14:15], v6
	s_lshl_b32 s12, s4, 3
	s_add_i32 s7, s7, s12
	s_lshl_b64 s[12:13], s[4:5], 3
	s_add_i32 s4, s2, -3
	v_mov_b32_e32 v6, s7
	s_lshl_b32 s7, s4, 9
	s_waitcnt lgkmcnt(0)
	v_fma_f64 v[4:5], -v[18:19], v[14:15], v[4:5]
	v_mul_f64 v[20:21], v[10:11], v[12:13]
	s_add_i32 s3, s7, s3
	s_add_i32 s3, s3, -8
	v_mov_b32_e32 v10, s3
	ds_read2_b64 v[6:9], v6 offset1:1
	ds_read2_b64 v[10:13], v10 offset1:1
	s_lshl_b32 s3, s4, 3
	s_add_i32 s3, s7, s3
	v_mov_b32_e32 v14, s3
	s_waitcnt lgkmcnt(1)
	v_fma_f64 v[4:5], -v[20:21], v[8:9], v[4:5]
	s_waitcnt lgkmcnt(0)
	v_fma_f64 v[2:3], -v[18:19], v[12:13], v[2:3]
	ds_read2_b64 v[14:17], v14 offset1:1
	v_mov_b32_e32 v9, s13
	s_addk_i32 s6, 0xf800
	v_mul_f64 v[4:5], v[6:7], v[4:5]
	v_fma_f64 v[2:3], -v[20:21], v[10:11], v[2:3]
	v_mov_b32_e32 v7, s9
	v_add_co_u32_e32 v6, vcc, s8, v64
	v_addc_co_u32_e32 v7, vcc, v65, v7, vcc
	v_add_co_u32_e32 v8, vcc, s12, v64
	s_waitcnt lgkmcnt(0)
	v_fma_f64 v[2:3], -v[4:5], v[16:17], v[2:3]
	v_addc_co_u32_e32 v9, vcc, v65, v9, vcc
	global_store_dwordx2 v[0:1], v[18:19], off
	global_store_dwordx2 v[6:7], v[20:21], off
	;; [unrolled: 1-line block ×3, first 2 shown]
	s_lshl_b64 s[8:9], s[4:5], 3
	s_add_i32 s4, s2, -4
	s_cmp_gt_i32 s2, 6
	v_mul_f64 v[0:1], v[14:15], v[2:3]
	v_mov_b32_e32 v3, s9
	v_add_co_u32_e32 v2, vcc, s8, v64
	v_addc_co_u32_e32 v3, vcc, v65, v3, vcc
	global_store_dwordx2 v[2:3], v[0:1], off
	s_cbranch_scc0 .LBB110_23
; %bb.21:                               ;   in Loop: Header=BB110_18 Depth=1
	s_mov_b32 s2, s4
	s_branch .LBB110_18
.LBB110_22:
	s_mov_b32 s4, s2
.LBB110_23:
	s_cmp_lt_i32 s4, 0
	s_cbranch_scc1 .LBB110_36
; %bb.24:
	s_bitcmp1_b32 s4, 0
	s_cselect_b64 s[2:3], -1, 0
	s_and_b64 vcc, exec, s[2:3]
	s_mov_b32 s2, s4
	s_cbranch_vccnz .LBB110_29
; %bb.25:
	s_mov_b32 s3, 0
	s_mov_b32 s5, s3
	s_lshl_b64 s[6:7], s[4:5], 3
	v_mov_b32_e32 v1, s7
	v_add_co_u32_e32 v0, vcc, s6, v64
	v_addc_co_u32_e32 v1, vcc, v65, v1, vcc
	global_load_dwordx2 v[2:3], v[0:1], off
	s_cmp_le_i32 s11, s4
	s_waitcnt vmcnt(0)
	v_mul_f64 v[2:3], s[0:1], v[2:3]
	s_cbranch_scc1 .LBB110_28
; %bb.26:
	s_lshl_b32 s2, s4, 9
	s_lshl_b32 s5, s26, 3
	s_add_i32 s2, s2, s5
	s_add_i32 s5, s2, -8
	s_mov_b32 s2, s11
.LBB110_27:                             ; =>This Inner Loop Header: Depth=1
	s_lshl_b64 s[6:7], s[2:3], 3
	v_mov_b32_e32 v5, s7
	v_add_co_u32_e32 v4, vcc, s6, v64
	v_addc_co_u32_e32 v5, vcc, v65, v5, vcc
	global_load_dwordx2 v[4:5], v[4:5], off
	v_mov_b32_e32 v6, s5
	ds_read_b64 v[6:7], v6
	s_add_i32 s2, s2, -1
	s_add_i32 s5, s5, -8
	s_cmp_gt_i32 s2, s4
	s_waitcnt vmcnt(0) lgkmcnt(0)
	v_fma_f64 v[2:3], -v[4:5], v[6:7], v[2:3]
	s_cbranch_scc1 .LBB110_27
.LBB110_28:
	s_mul_i32 s2, s4, 0x208
	v_mov_b32_e32 v4, s2
	ds_read_b64 v[4:5], v4
	s_add_i32 s2, s4, -1
	s_waitcnt lgkmcnt(0)
	v_mul_f64 v[2:3], v[4:5], v[2:3]
	global_store_dwordx2 v[0:1], v[2:3], off
.LBB110_29:
	s_cmp_eq_u32 s4, 0
	s_mov_b32 s5, 0
	s_cbranch_scc1 .LBB110_36
; %bb.30:
	s_lshl_b32 s3, s2, 9
	s_lshl_b32 s4, s26, 3
	s_add_i32 s3, s3, s4
	s_add_i32 s6, s3, -8
	s_add_i32 s7, s3, 0xfffffdf8
	s_branch .LBB110_32
.LBB110_31:                             ;   in Loop: Header=BB110_32 Depth=1
	s_addk_i32 s3, 0xfdf8
	v_mov_b32_e32 v0, s3
	ds_read_b64 v[0:1], v0
	s_add_i32 s3, s2, -2
	s_addk_i32 s6, 0xfc00
	s_addk_i32 s7, 0xfc00
	s_cmp_lt_i32 s2, 2
	s_waitcnt lgkmcnt(0)
	v_mul_f64 v[0:1], v[0:1], v[4:5]
	s_mov_b32 s2, s3
	global_store_dwordx2 v[2:3], v[0:1], off
	s_cbranch_scc1 .LBB110_36
.LBB110_32:                             ; =>This Loop Header: Depth=1
                                        ;     Child Loop BB110_33 Depth 2
                                        ;     Child Loop BB110_35 Depth 2
	s_mov_b32 s3, s5
	s_lshl_b64 s[8:9], s[2:3], 3
	v_mov_b32_e32 v1, s9
	v_add_co_u32_e32 v0, vcc, s8, v64
	v_addc_co_u32_e32 v1, vcc, v65, v1, vcc
	global_load_dwordx2 v[2:3], v[0:1], off
	s_cmp_le_i32 s11, s2
	s_mov_b32 s3, s6
	s_mov_b32 s4, s11
	s_waitcnt vmcnt(0)
	v_mul_f64 v[4:5], s[0:1], v[2:3]
	s_cbranch_scc1 .LBB110_34
.LBB110_33:                             ;   Parent Loop BB110_32 Depth=1
                                        ; =>  This Inner Loop Header: Depth=2
	s_lshl_b64 s[8:9], s[4:5], 3
	v_mov_b32_e32 v3, s9
	v_add_co_u32_e32 v2, vcc, s8, v64
	v_addc_co_u32_e32 v3, vcc, v65, v3, vcc
	global_load_dwordx2 v[2:3], v[2:3], off
	v_mov_b32_e32 v6, s3
	ds_read_b64 v[6:7], v6
	s_add_i32 s4, s4, -1
	s_add_i32 s3, s3, -8
	s_cmp_gt_i32 s4, s2
	s_waitcnt vmcnt(0) lgkmcnt(0)
	v_fma_f64 v[4:5], -v[2:3], v[6:7], v[4:5]
	s_cbranch_scc1 .LBB110_33
.LBB110_34:                             ;   in Loop: Header=BB110_32 Depth=1
	s_add_i32 s4, s2, -1
	s_lshl_b64 s[8:9], s[4:5], 3
	v_mov_b32_e32 v3, s9
	v_add_co_u32_e32 v2, vcc, s8, v64
	v_addc_co_u32_e32 v3, vcc, v65, v3, vcc
	global_load_dwordx2 v[6:7], v[2:3], off
	s_mul_i32 s3, s2, 0x208
	v_mov_b32_e32 v8, s3
	ds_read_b64 v[8:9], v8
	s_cmp_le_i32 s26, s2
	s_mov_b32 s8, s7
	s_mov_b32 s4, s26
	s_waitcnt lgkmcnt(0)
	v_mul_f64 v[8:9], v[8:9], v[4:5]
	global_store_dwordx2 v[0:1], v[8:9], off
	s_waitcnt vmcnt(1)
	v_mul_f64 v[4:5], s[0:1], v[6:7]
	s_cbranch_scc1 .LBB110_31
.LBB110_35:                             ;   Parent Loop BB110_32 Depth=1
                                        ; =>  This Inner Loop Header: Depth=2
	s_add_i32 s4, s4, -1
	s_lshl_b64 s[12:13], s[4:5], 3
	v_mov_b32_e32 v1, s13
	v_add_co_u32_e32 v0, vcc, s12, v64
	v_addc_co_u32_e32 v1, vcc, v65, v1, vcc
	global_load_dwordx2 v[0:1], v[0:1], off
	v_mov_b32_e32 v6, s8
	ds_read_b64 v[6:7], v6
	s_add_i32 s8, s8, -8
	s_cmp_gt_i32 s4, s2
	s_waitcnt vmcnt(0) lgkmcnt(0)
	v_fma_f64 v[4:5], -v[0:1], v[6:7], v[4:5]
	s_cbranch_scc1 .LBB110_35
	s_branch .LBB110_31
.LBB110_36:
	s_mov_b64 s[2:3], 0
.LBB110_37:
	s_and_b64 vcc, exec, s[2:3]
	s_cbranch_vccz .LBB110_57
; %bb.38:
	s_cmp_lt_i32 s10, 32
	s_mov_b32 s4, 0
	s_cbranch_scc1 .LBB110_44
; %bb.39:
	s_mov_b32 s3, 0
	s_mov_b32 s5, 0
	s_mov_b32 s2, s3
.LBB110_40:                             ; =>This Loop Header: Depth=1
                                        ;     Child Loop BB110_41 Depth 2
	s_lshl_b64 s[6:7], s[2:3], 3
	v_mov_b32_e32 v0, s7
	v_add_co_u32_e32 v66, vcc, s6, v64
	v_addc_co_u32_e32 v67, vcc, v65, v0, vcc
	global_load_dwordx4 v[0:3], v[66:67], off
	global_load_dwordx4 v[6:9], v[66:67], off offset:16
	global_load_dwordx4 v[10:13], v[66:67], off offset:32
	;; [unrolled: 1-line block ×15, first 2 shown]
	s_cmp_eq_u32 s2, 0
	s_mov_b32 s4, s5
	s_mov_b32 s6, s2
	s_waitcnt vmcnt(15)
	v_mul_f64 v[0:1], s[0:1], v[0:1]
	v_mul_f64 v[4:5], s[0:1], v[2:3]
	s_waitcnt vmcnt(14)
	v_mul_f64 v[2:3], s[0:1], v[6:7]
	v_mul_f64 v[20:21], s[0:1], v[8:9]
	;; [unrolled: 3-line block ×16, first 2 shown]
	v_mov_b32_e32 v6, v64
	v_mov_b32_e32 v7, v65
	s_cbranch_scc1 .LBB110_42
.LBB110_41:                             ;   Parent Loop BB110_40 Depth=1
                                        ; =>  This Inner Loop Header: Depth=2
	global_load_dwordx2 v[54:55], v[6:7], off
	v_mov_b32_e32 v132, s4
	ds_read_b128 v[8:11], v132
	ds_read_b128 v[12:15], v132 offset:16
	ds_read_b128 v[16:19], v132 offset:32
	;; [unrolled: 1-line block ×15, first 2 shown]
	s_add_i32 s6, s6, -1
	v_add_co_u32_e32 v6, vcc, 8, v6
	s_addk_i32 s4, 0x200
	s_cmp_eq_u32 s6, 0
	v_addc_co_u32_e32 v7, vcc, 0, v7, vcc
	s_waitcnt vmcnt(0) lgkmcnt(14)
	v_fma_f64 v[0:1], -v[54:55], v[8:9], v[0:1]
	v_fma_f64 v[4:5], -v[54:55], v[10:11], v[4:5]
	;; [unrolled: 1-line block ×4, first 2 shown]
	s_waitcnt lgkmcnt(13)
	v_fma_f64 v[114:115], -v[54:55], v[16:17], v[114:115]
	v_fma_f64 v[112:113], -v[54:55], v[18:19], v[112:113]
	s_waitcnt lgkmcnt(12)
	v_fma_f64 v[110:111], -v[54:55], v[22:23], v[110:111]
	v_fma_f64 v[108:109], -v[54:55], v[24:25], v[108:109]
	;; [unrolled: 3-line block ×14, first 2 shown]
	s_cbranch_scc0 .LBB110_41
.LBB110_42:                             ;   in Loop: Header=BB110_40 Depth=1
	s_lshl_b32 s4, s2, 3
	s_lshl_b32 s6, s2, 9
	s_add_i32 s6, s4, s6
	v_mov_b32_e32 v120, s6
	ds_read_b128 v[6:9], v120
	ds_read_b128 v[34:37], v120 offset:16
	ds_read2_b64 v[52:55], v120 offset0:65 offset1:66
	ds_read_b128 v[40:43], v120 offset:32
	ds_read_b128 v[24:27], v120 offset:48
	;; [unrolled: 1-line block ×3, first 2 shown]
	ds_read2_b64 v[48:51], v120 offset0:67 offset1:68
	s_add_i32 s12, s6, 0xa28
	s_add_i32 s13, s6, 0xa38
	s_waitcnt lgkmcnt(6)
	v_mul_f64 v[0:1], v[6:7], v[0:1]
	v_mov_b32_e32 v122, s12
	v_mov_b32_e32 v123, s13
	s_add_i32 s14, s6, 0xe38
	s_add_i32 s8, s6, 0xa48
	v_mov_b32_e32 v121, s14
	v_mov_b32_e32 v156, s8
	s_add_i32 s10, s6, 0xa58
	v_fma_f64 v[4:5], -v[0:1], v[8:9], v[4:5]
	s_waitcnt lgkmcnt(5)
	v_fma_f64 v[22:23], -v[0:1], v[34:35], v[2:3]
	v_fma_f64 v[118:119], -v[0:1], v[36:37], v[20:21]
	s_waitcnt lgkmcnt(3)
	v_fma_f64 v[144:145], -v[0:1], v[40:41], v[114:115]
	v_fma_f64 v[42:43], -v[0:1], v[42:43], v[112:113]
	ds_read2_b64 v[28:31], v120 offset0:195 offset1:196
	ds_read2_b64 v[8:11], v120 offset0:197 offset1:198
	s_waitcnt lgkmcnt(4)
	v_fma_f64 v[24:25], -v[0:1], v[24:25], v[110:111]
	s_add_i32 s9, s6, 0xe48
	v_mul_f64 v[2:3], v[52:53], v[4:5]
	ds_read_b128 v[32:35], v120 offset:1056
	ds_read_b128 v[16:19], v120 offset:1072
	;; [unrolled: 1-line block ×4, first 2 shown]
	v_mov_b32_e32 v158, s10
	s_add_i32 s11, s6, 0xe58
	v_mov_b32_e32 v157, s9
	v_mov_b32_e32 v159, s11
	s_add_i32 s7, s6, 0x1248
	s_add_i32 s8, s6, 0xa68
	v_fma_f64 v[116:117], -v[2:3], v[54:55], v[22:23]
	s_waitcnt lgkmcnt(6)
	v_fma_f64 v[48:49], -v[2:3], v[48:49], v[118:119]
	v_fma_f64 v[112:113], -v[2:3], v[50:51], v[144:145]
	ds_read2_b64 v[36:39], v120 offset0:69 offset1:70
	ds_read2_b64 v[20:23], v120 offset0:71 offset1:72
	;; [unrolled: 1-line block ×3, first 2 shown]
	s_add_i32 s9, s6, 0x2ac8
	s_add_i32 s10, s6, 0x1ed8
	s_waitcnt lgkmcnt(2)
	v_fma_f64 v[36:37], -v[2:3], v[36:37], v[42:43]
	v_mul_f64 v[40:41], v[44:45], v[116:117]
	v_fma_f64 v[38:39], -v[2:3], v[38:39], v[24:25]
	ds_read_b128 v[114:117], v120 offset:64
	ds_read_b128 v[124:127], v120 offset:80
	;; [unrolled: 1-line block ×4, first 2 shown]
	ds_read2_b64 v[136:139], v120 offset0:199 offset1:200
	ds_read2_b64 v[140:143], v120 offset0:201 offset1:202
	s_waitcnt lgkmcnt(5)
	v_fma_f64 v[114:115], -v[0:1], v[114:115], v[106:107]
	s_addk_i32 s5, 0x100
	v_fma_f64 v[118:119], -v[40:41], v[46:47], v[48:49]
	v_fma_f64 v[32:33], -v[40:41], v[32:33], v[112:113]
	;; [unrolled: 1-line block ×5, first 2 shown]
	ds_read_b128 v[44:47], v120 offset:1088
	ds_read_b128 v[48:51], v120 offset:1104
	;; [unrolled: 1-line block ×4, first 2 shown]
	ds_read2_b64 v[148:151], v120 offset0:73 offset1:74
	ds_read2_b64 v[152:155], v120 offset0:75 offset1:76
	s_waitcnt lgkmcnt(10)
	v_fma_f64 v[114:115], -v[0:1], v[124:125], v[102:103]
	v_mul_f64 v[42:43], v[28:29], v[118:119]
	v_fma_f64 v[28:29], -v[0:1], v[26:27], v[108:109]
	ds_read_b128 v[24:27], v120 offset:2144
	s_waitcnt lgkmcnt(6)
	v_fma_f64 v[22:23], -v[40:41], v[44:45], v[22:23]
	v_fma_f64 v[30:31], -v[42:43], v[30:31], v[32:33]
	;; [unrolled: 1-line block ×4, first 2 shown]
	ds_read_b128 v[32:35], v120 offset:3152
	ds_read_b128 v[36:39], v120 offset:3168
	ds_read2_b64 v[106:109], v120 offset0:77 offset1:78
	v_fma_f64 v[22:23], -v[42:43], v[138:139], v[22:23]
	v_mul_f64 v[8:9], v[12:13], v[30:31]
	v_fma_f64 v[30:31], -v[0:1], v[116:117], v[104:105]
	v_fma_f64 v[18:19], -v[40:41], v[18:19], v[20:21]
	;; [unrolled: 1-line block ×4, first 2 shown]
	ds_read2_b64 v[10:13], v122 offset1:1
	ds_read2_b64 v[14:17], v123 offset1:1
	s_waitcnt lgkmcnt(7)
	v_fma_f64 v[30:31], -v[2:3], v[148:149], v[30:31]
	v_fma_f64 v[44:45], -v[42:43], v[136:137], v[18:19]
	;; [unrolled: 1-line block ×4, first 2 shown]
	ds_read2_b64 v[18:21], v120 offset0:203 offset1:204
	ds_read2_b64 v[102:105], v120 offset0:205 offset1:206
	s_waitcnt lgkmcnt(3)
	v_mul_f64 v[10:11], v[10:11], v[28:29]
	v_fma_f64 v[28:29], -v[0:1], v[126:127], v[100:101]
	v_fma_f64 v[100:101], -v[2:3], v[150:151], v[114:115]
	;; [unrolled: 1-line block ×4, first 2 shown]
	ds_read_b128 v[44:47], v120 offset:96
	ds_read_b128 v[114:117], v120 offset:112
	v_fma_f64 v[4:5], -v[10:11], v[12:13], v[4:5]
	v_fma_f64 v[28:29], -v[2:3], v[152:153], v[28:29]
	;; [unrolled: 1-line block ×4, first 2 shown]
	s_waitcnt lgkmcnt(4)
	v_fma_f64 v[6:7], -v[10:11], v[14:15], v[6:7]
	s_waitcnt lgkmcnt(1)
	v_fma_f64 v[44:45], -v[0:1], v[44:45], v[98:99]
	v_fma_f64 v[16:17], -v[10:11], v[16:17], v[22:23]
	ds_read2_b64 v[12:15], v121 offset1:1
	ds_read2_b64 v[121:124], v156 offset1:1
	v_mul_f64 v[4:5], v[128:129], v[4:5]
	v_fma_f64 v[28:29], -v[40:41], v[50:51], v[28:29]
	v_fma_f64 v[110:111], -v[42:43], v[142:143], v[48:49]
	;; [unrolled: 1-line block ×3, first 2 shown]
	ds_read_b128 v[48:51], v120 offset:1120
	ds_read_b128 v[98:101], v120 offset:1136
	v_fma_f64 v[22:23], -v[2:3], v[154:155], v[44:45]
	v_fma_f64 v[96:97], -v[0:1], v[46:47], v[96:97]
	s_waitcnt lgkmcnt(4)
	v_fma_f64 v[94:95], -v[0:1], v[114:115], v[94:95]
	v_fma_f64 v[6:7], -v[4:5], v[130:131], v[6:7]
	;; [unrolled: 1-line block ×4, first 2 shown]
	s_waitcnt lgkmcnt(2)
	v_fma_f64 v[121:122], -v[10:11], v[121:122], v[30:31]
	v_fma_f64 v[125:126], -v[4:5], v[132:133], v[16:17]
	s_waitcnt lgkmcnt(1)
	v_fma_f64 v[22:23], -v[40:41], v[48:49], v[22:23]
	ds_read_b128 v[16:19], v120 offset:4160
	ds_read_b128 v[28:31], v120 offset:3312
	ds_read2_b64 v[110:113], v158 offset1:1
	v_mul_f64 v[6:7], v[12:13], v[6:7]
	v_fma_f64 v[44:45], -v[8:9], v[146:147], v[44:45]
	v_fma_f64 v[48:49], -v[10:11], v[123:124], v[118:119]
	;; [unrolled: 1-line block ×7, first 2 shown]
	ds_read2_b64 v[12:15], v157 offset1:1
	ds_read2_b64 v[121:124], v159 offset1:1
	s_waitcnt lgkmcnt(2)
	v_fma_f64 v[110:111], -v[10:11], v[110:111], v[44:45]
	v_fma_f64 v[32:33], -v[4:5], v[32:33], v[48:49]
	ds_read_b128 v[20:23], v120 offset:2160
	ds_read2_b64 v[44:47], v120 offset0:79 offset1:80
	s_waitcnt lgkmcnt(3)
	v_fma_f64 v[48:49], -v[6:7], v[12:13], v[118:119]
	v_fma_f64 v[24:25], -v[8:9], v[24:25], v[127:128]
	v_mul_f64 v[12:13], v[16:17], v[125:126]
	v_mov_b32_e32 v125, s7
	v_fma_f64 v[106:107], -v[4:5], v[34:35], v[110:111]
	v_fma_f64 v[118:119], -v[6:7], v[14:15], v[32:33]
	ds_read_b128 v[14:17], v120 offset:4176
	ds_read2_b64 v[32:35], v125 offset1:1
	v_fma_f64 v[96:97], -v[40:41], v[50:51], v[96:97]
	s_add_i32 s7, s6, 0x1258
	v_fma_f64 v[24:25], -v[10:11], v[112:113], v[24:25]
	v_fma_f64 v[18:19], -v[12:13], v[18:19], v[48:49]
	ds_read_b128 v[48:51], v120 offset:5200
	s_waitcnt lgkmcnt(5)
	v_fma_f64 v[106:107], -v[6:7], v[121:122], v[106:107]
	s_waitcnt lgkmcnt(2)
	v_fma_f64 v[118:119], -v[12:13], v[14:15], v[118:119]
	ds_read_b128 v[110:113], v120 offset:4192
	v_fma_f64 v[44:45], -v[2:3], v[44:45], v[92:93]
	v_fma_f64 v[24:25], -v[4:5], v[36:37], v[24:25]
	s_waitcnt lgkmcnt(2)
	v_mul_f64 v[14:15], v[32:33], v[18:19]
	v_fma_f64 v[36:37], -v[42:43], v[102:103], v[96:97]
	v_fma_f64 v[96:97], -v[12:13], v[16:17], v[106:107]
	v_mov_b32_e32 v18, s7
	ds_read2_b64 v[16:19], v18 offset1:1
	s_add_i32 s7, s6, 0xe68
	v_fma_f64 v[44:45], -v[40:41], v[100:101], v[44:45]
	v_fma_f64 v[106:107], -v[6:7], v[123:124], v[24:25]
	;; [unrolled: 1-line block ×3, first 2 shown]
	v_mov_b32_e32 v24, s8
	ds_read_b128 v[32:35], v120 offset:4336
	v_fma_f64 v[36:37], -v[8:9], v[26:27], v[36:37]
	ds_read2_b64 v[24:27], v24 offset1:1
	s_waitcnt lgkmcnt(2)
	v_fma_f64 v[114:115], -v[14:15], v[16:17], v[96:97]
	s_add_i32 s8, s6, 0x1278
	v_mul_f64 v[16:17], v[48:49], v[102:103]
	v_fma_f64 v[48:49], -v[2:3], v[108:109], v[94:95]
	v_mov_b32_e32 v94, s7
	ds_read2_b64 v[94:97], v94 offset1:1
	v_fma_f64 v[102:103], -v[12:13], v[110:111], v[106:107]
	s_waitcnt lgkmcnt(1)
	v_fma_f64 v[24:25], -v[10:11], v[24:25], v[36:37]
	s_add_i32 s7, s6, 0x1658
	v_mov_b32_e32 v36, s7
	v_fma_f64 v[106:107], -v[16:17], v[50:51], v[114:115]
	v_fma_f64 v[98:99], -v[40:41], v[98:99], v[48:49]
	ds_read2_b64 v[48:51], v36 offset1:1
	s_add_i32 s7, s6, 0x1268
	v_fma_f64 v[108:109], -v[14:15], v[18:19], v[102:103]
	v_fma_f64 v[24:25], -v[4:5], v[38:39], v[24:25]
	ds_read_b128 v[36:39], v120 offset:5216
	s_waitcnt lgkmcnt(1)
	v_mul_f64 v[18:19], v[48:49], v[106:107]
	v_fma_f64 v[98:99], -v[42:43], v[104:105], v[98:99]
	ds_read_b128 v[102:105], v120 offset:5232
	v_mov_b32_e32 v48, s7
	s_waitcnt lgkmcnt(1)
	v_fma_f64 v[36:37], -v[16:17], v[36:37], v[108:109]
	v_fma_f64 v[24:25], -v[6:7], v[94:95], v[24:25]
	s_add_i32 s7, s6, 0x1668
	v_fma_f64 v[20:21], -v[8:9], v[20:21], v[98:99]
	v_fma_f64 v[118:119], -v[18:19], v[50:51], v[36:37]
	;; [unrolled: 1-line block ×4, first 2 shown]
	ds_read_b128 v[24:27], v120 offset:3184
	ds_read2_b64 v[48:51], v48 offset1:1
	ds_read2_b64 v[92:95], v120 offset0:207 offset1:208
	ds_read2_b64 v[106:109], v120 offset0:209 offset1:210
	ds_read_b128 v[110:113], v120 offset:128
	ds_read_b128 v[98:101], v120 offset:3200
	s_waitcnt lgkmcnt(4)
	v_fma_f64 v[36:37], -v[14:15], v[48:49], v[36:37]
	ds_read_b128 v[121:124], v120 offset:144
	v_fma_f64 v[20:21], -v[4:5], v[24:25], v[20:21]
	s_waitcnt lgkmcnt(4)
	v_fma_f64 v[24:25], -v[42:43], v[92:93], v[44:45]
	v_mov_b32_e32 v44, s7
	s_add_i32 s7, s6, 0xa78
	ds_read2_b64 v[114:117], v44 offset1:1
	v_fma_f64 v[48:49], -v[6:7], v[96:97], v[20:21]
	v_mov_b32_e32 v20, s7
	v_fma_f64 v[24:25], -v[8:9], v[22:23], v[24:25]
	ds_read2_b64 v[20:23], v20 offset1:1
	s_waitcnt lgkmcnt(4)
	v_fma_f64 v[44:45], -v[0:1], v[110:111], v[90:91]
	s_add_i32 s7, s6, 0xe78
	v_mov_b32_e32 v90, s7
	v_fma_f64 v[110:111], -v[16:17], v[38:39], v[36:37]
	s_add_i32 s7, s6, 0x1a68
	s_waitcnt lgkmcnt(0)
	v_fma_f64 v[20:21], -v[10:11], v[20:21], v[24:25]
	v_fma_f64 v[96:97], -v[2:3], v[46:47], v[44:45]
	ds_read2_b64 v[44:47], v90 offset1:1
	ds_read_b128 v[90:93], v120 offset:1152
	ds_read_b128 v[125:128], v120 offset:6240
	;; [unrolled: 1-line block ×4, first 2 shown]
	v_fma_f64 v[110:111], -v[18:19], v[114:115], v[110:111]
	ds_read_b128 v[36:39], v120 offset:1168
	s_waitcnt lgkmcnt(2)
	v_fma_f64 v[48:49], -v[12:13], v[129:130], v[48:49]
	v_fma_f64 v[90:91], -v[40:41], v[90:91], v[96:97]
	;; [unrolled: 1-line block ×3, first 2 shown]
	v_mul_f64 v[20:21], v[125:126], v[118:119]
	ds_read_b128 v[24:27], v120 offset:6256
	v_fma_f64 v[114:115], -v[14:15], v[50:51], v[48:49]
	v_fma_f64 v[90:91], -v[42:43], v[94:95], v[90:91]
	ds_read_b128 v[48:51], v120 offset:2176
	v_fma_f64 v[44:45], -v[6:7], v[44:45], v[96:97]
	v_fma_f64 v[118:119], -v[20:21], v[127:128], v[110:111]
	v_mov_b32_e32 v110, s7
	ds_read_b128 v[94:97], v120 offset:2192
	s_add_i32 s7, s6, 0x1a78
	v_fma_f64 v[102:103], -v[16:17], v[102:103], v[114:115]
	s_waitcnt lgkmcnt(1)
	v_fma_f64 v[48:49], -v[8:9], v[48:49], v[90:91]
	v_mov_b32_e32 v90, s8
	v_fma_f64 v[44:45], -v[12:13], v[131:132], v[44:45]
	s_add_i32 s8, s6, 0x1678
	ds_read2_b64 v[125:128], v90 offset1:1
	v_mov_b32_e32 v90, s8
	ds_read2_b64 v[129:132], v90 offset1:1
	v_fma_f64 v[102:103], -v[18:19], v[116:117], v[102:103]
	v_fma_f64 v[22:23], -v[10:11], v[22:23], v[48:49]
	v_fma_f64 v[48:49], -v[0:1], v[112:113], v[88:89]
	ds_read2_b64 v[88:91], v120 offset0:81 offset1:82
	ds_read2_b64 v[110:113], v110 offset1:1
	s_waitcnt lgkmcnt(3)
	v_fma_f64 v[44:45], -v[14:15], v[125:126], v[44:45]
	ds_read2_b64 v[114:117], v120 offset0:83 offset1:84
	v_fma_f64 v[24:25], -v[20:21], v[24:25], v[102:103]
	v_fma_f64 v[98:99], -v[4:5], v[98:99], v[22:23]
	s_waitcnt lgkmcnt(2)
	v_fma_f64 v[48:49], -v[2:3], v[88:89], v[48:49]
	s_waitcnt lgkmcnt(1)
	v_mul_f64 v[22:23], v[110:111], v[118:119]
	v_fma_f64 v[44:45], -v[16:17], v[104:105], v[44:45]
	ds_read_b128 v[102:105], v120 offset:5248
	v_fma_f64 v[46:47], -v[6:7], v[46:47], v[98:99]
	v_fma_f64 v[48:49], -v[40:41], v[92:93], v[48:49]
	;; [unrolled: 1-line block ×9, first 2 shown]
	v_mov_b32_e32 v26, s7
	s_add_i32 s7, s6, 0xa88
	ds_read2_b64 v[86:89], v26 offset1:1
	ds_read_b128 v[44:47], v120 offset:7280
	v_fma_f64 v[118:119], -v[14:15], v[127:128], v[24:25]
	v_fma_f64 v[110:111], -v[8:9], v[50:51], v[48:49]
	v_mov_b32_e32 v24, s7
	ds_read2_b64 v[24:27], v24 offset1:1
	s_add_i32 s7, s6, 0xe88
	v_fma_f64 v[36:37], -v[40:41], v[36:37], v[112:113]
	v_mov_b32_e32 v48, s7
	ds_read2_b64 v[48:51], v48 offset1:1
	ds_read_b128 v[90:93], v120 offset:7296
	s_waitcnt lgkmcnt(2)
	v_fma_f64 v[121:122], -v[10:11], v[24:25], v[110:111]
	v_mul_f64 v[24:25], v[44:45], v[98:99]
	v_fma_f64 v[44:45], -v[22:23], v[86:87], v[106:107]
	s_add_i32 s7, s6, 0x1e78
	v_fma_f64 v[36:37], -v[42:43], v[108:109], v[36:37]
	ds_read_b128 v[106:109], v120 offset:6288
	v_fma_f64 v[86:87], -v[16:17], v[102:103], v[118:119]
	ds_read_b128 v[110:113], v120 offset:5264
	v_fma_f64 v[98:99], -v[4:5], v[100:101], v[121:122]
	v_fma_f64 v[102:103], -v[24:25], v[46:47], v[44:45]
	ds_read_b128 v[44:47], v120 offset:6272
	v_fma_f64 v[36:37], -v[8:9], v[94:95], v[36:37]
	v_fma_f64 v[94:95], -v[0:1], v[123:124], v[84:85]
	;; [unrolled: 1-line block ×3, first 2 shown]
	ds_read_b128 v[121:124], v120 offset:3216
	s_waitcnt lgkmcnt(5)
	v_fma_f64 v[48:49], -v[6:7], v[48:49], v[98:99]
	v_mov_b32_e32 v98, s7
	s_add_i32 s7, s6, 0x1288
	v_mov_b32_e32 v84, s7
	v_fma_f64 v[26:27], -v[10:11], v[26:27], v[36:37]
	v_fma_f64 v[36:37], -v[2:3], v[114:115], v[94:95]
	s_waitcnt lgkmcnt(1)
	v_fma_f64 v[44:45], -v[20:21], v[44:45], v[86:87]
	ds_read2_b64 v[84:87], v84 offset1:1
	v_fma_f64 v[48:49], -v[12:13], v[135:136], v[48:49]
	s_add_i32 s7, s6, 0x1688
	v_mov_b32_e32 v94, s7
	ds_read2_b64 v[125:128], v94 offset1:1
	ds_read2_b64 v[98:101], v98 offset1:1
	v_fma_f64 v[94:95], -v[40:41], v[38:39], v[36:37]
	ds_read2_b64 v[36:39], v120 offset0:211 offset1:212
	v_fma_f64 v[44:45], -v[22:23], v[88:89], v[44:45]
	s_waitcnt lgkmcnt(3)
	v_fma_f64 v[48:49], -v[14:15], v[84:85], v[48:49]
	v_fma_f64 v[84:85], -v[4:5], v[121:122], v[26:27]
	ds_read_b128 v[129:132], v120 offset:3232
	s_waitcnt lgkmcnt(2)
	v_mul_f64 v[26:27], v[98:99], v[102:103]
	s_add_i32 s7, s6, 0xa98
	s_waitcnt lgkmcnt(1)
	v_fma_f64 v[36:37], -v[42:43], v[36:37], v[94:95]
	v_mov_b32_e32 v94, s7
	v_fma_f64 v[118:119], -v[24:25], v[90:91], v[44:45]
	v_fma_f64 v[98:99], -v[16:17], v[104:105], v[48:49]
	;; [unrolled: 1-line block ×3, first 2 shown]
	ds_read_b128 v[102:105], v120 offset:160
	ds_read2_b64 v[133:136], v120 offset0:213 offset1:214
	ds_read_b128 v[48:51], v120 offset:4240
	ds_read_b128 v[88:91], v120 offset:176
	s_add_i32 s7, s6, 0xe98
	v_fma_f64 v[36:37], -v[8:9], v[96:97], v[36:37]
	s_waitcnt lgkmcnt(3)
	v_fma_f64 v[44:45], -v[0:1], v[102:103], v[82:83]
	ds_read_b128 v[82:85], v120 offset:4256
	ds_read2_b64 v[94:97], v94 offset1:1
	s_waitcnt lgkmcnt(3)
	v_fma_f64 v[48:49], -v[12:13], v[48:49], v[114:115]
	v_fma_f64 v[98:99], -v[18:19], v[125:126], v[98:99]
	v_fma_f64 v[80:81], -v[0:1], v[104:105], v[80:81]
	s_waitcnt lgkmcnt(2)
	v_fma_f64 v[58:59], -v[0:1], v[88:89], v[58:59]
	s_waitcnt lgkmcnt(0)
	v_fma_f64 v[36:37], -v[10:11], v[94:95], v[36:37]
	v_fma_f64 v[102:103], -v[2:3], v[116:117], v[44:45]
	v_mov_b32_e32 v44, s7
	s_add_i32 s7, s6, 0x1a88
	v_fma_f64 v[48:49], -v[14:15], v[86:87], v[48:49]
	v_mov_b32_e32 v86, s7
	ds_read_b128 v[114:117], v120 offset:1184
	ds_read2_b64 v[137:140], v44 offset1:1
	v_fma_f64 v[94:95], -v[20:21], v[46:47], v[98:99]
	ds_read_b128 v[44:47], v120 offset:1200
	ds_read2_b64 v[141:144], v86 offset1:1
	v_fma_f64 v[86:87], -v[4:5], v[123:124], v[36:37]
	s_waitcnt lgkmcnt(3)
	v_fma_f64 v[98:99], -v[40:41], v[114:115], v[102:103]
	v_fma_f64 v[48:49], -v[16:17], v[110:111], v[48:49]
	s_add_i32 s7, s6, 0x1e88
	v_mov_b32_e32 v36, s7
	s_waitcnt lgkmcnt(0)
	v_fma_f64 v[94:95], -v[22:23], v[141:142], v[94:95]
	s_add_i32 s7, s6, 0x1298
	ds_read_b128 v[145:148], v120 offset:2224
	v_fma_f64 v[86:87], -v[6:7], v[137:138], v[86:87]
	v_fma_f64 v[98:99], -v[42:43], v[38:39], v[98:99]
	;; [unrolled: 1-line block ×3, first 2 shown]
	ds_read2_b64 v[121:124], v36 offset1:1
	v_fma_f64 v[102:103], -v[26:27], v[100:101], v[118:119]
	v_fma_f64 v[110:111], -v[24:25], v[92:93], v[94:95]
	;; [unrolled: 1-line block ×4, first 2 shown]
	v_mov_b32_e32 v86, s7
	s_add_i32 s7, s6, 0x1698
	ds_read2_b64 v[92:95], v86 offset1:1
	v_fma_f64 v[86:87], -v[20:21], v[106:107], v[48:49]
	v_mov_b32_e32 v48, s7
	ds_read2_b64 v[125:128], v48 offset1:1
	ds_read_b128 v[36:39], v120 offset:2208
	s_waitcnt lgkmcnt(2)
	v_fma_f64 v[92:93], -v[14:15], v[92:93], v[50:51]
	ds_read_b128 v[48:51], v120 offset:7408
	v_fma_f64 v[114:115], -v[26:27], v[121:122], v[110:111]
	s_add_i32 s7, s6, 0x2288
	s_waitcnt lgkmcnt(1)
	v_fma_f64 v[36:37], -v[8:9], v[36:37], v[98:99]
	ds_read_b128 v[98:101], v120 offset:8320
	v_fma_f64 v[86:87], -v[22:23], v[143:144], v[86:87]
	v_fma_f64 v[92:93], -v[16:17], v[112:113], v[92:93]
	;; [unrolled: 1-line block ×5, first 2 shown]
	s_waitcnt lgkmcnt(0)
	v_mul_f64 v[36:37], v[98:99], v[102:103]
	ds_read2_b64 v[96:99], v120 offset0:85 offset1:86
	ds_read_b128 v[102:105], v120 offset:7312
	s_waitcnt lgkmcnt(1)
	v_fma_f64 v[80:81], -v[2:3], v[96:97], v[80:81]
	s_waitcnt lgkmcnt(0)
	v_fma_f64 v[86:87], -v[24:25], v[102:103], v[86:87]
	v_fma_f64 v[106:107], -v[6:7], v[139:140], v[106:107]
	;; [unrolled: 1-line block ×3, first 2 shown]
	v_mov_b32_e32 v100, s7
	s_add_i32 s7, s6, 0x1a98
	ds_read_b128 v[110:113], v120 offset:7328
	ds_read2_b64 v[137:140], v120 offset0:87 offset1:88
	ds_read2_b64 v[100:103], v100 offset1:1
	v_fma_f64 v[116:117], -v[40:41], v[116:117], v[80:81]
	v_fma_f64 v[118:119], -v[26:27], v[123:124], v[86:87]
	;; [unrolled: 1-line block ×4, first 2 shown]
	v_mov_b32_e32 v92, s7
	ds_read2_b64 v[106:109], v92 offset1:1
	s_add_i32 s7, s6, 0x1e98
	v_fma_f64 v[58:59], -v[2:3], v[98:99], v[58:59]
	v_fma_f64 v[129:130], -v[42:43], v[133:134], v[116:117]
	ds_read_b128 v[80:83], v120 offset:8336
	v_fma_f64 v[125:126], -v[14:15], v[94:95], v[114:115]
	v_mov_b32_e32 v114, s7
	s_add_i32 s7, s6, 0xaa8
	s_waitcnt lgkmcnt(1)
	v_fma_f64 v[86:87], -v[22:23], v[106:107], v[86:87]
	v_mov_b32_e32 v106, s7
	ds_read2_b64 v[114:117], v114 offset1:1
	ds_read2_b64 v[141:144], v106 offset1:1
	v_fma_f64 v[38:39], -v[8:9], v[38:39], v[129:130]
	s_add_i32 s7, s6, 0xea8
	v_mov_b32_e32 v106, s7
	ds_read_b128 v[92:95], v120 offset:5280
	ds_read2_b64 v[149:152], v106 offset1:1
	v_fma_f64 v[44:45], -v[40:41], v[44:45], v[58:59]
	ds_read_b128 v[121:124], v120 offset:5296
	s_add_i32 s7, s6, 0x2298
	s_waitcnt lgkmcnt(3)
	v_fma_f64 v[106:107], -v[10:11], v[141:142], v[38:39]
	s_waitcnt lgkmcnt(2)
	v_fma_f64 v[92:93], -v[16:17], v[92:93], v[125:126]
	v_mul_f64 v[38:39], v[100:101], v[96:97]
	v_fma_f64 v[100:101], -v[24:25], v[104:105], v[86:87]
	ds_read_b128 v[96:99], v120 offset:6304
	v_fma_f64 v[44:45], -v[42:43], v[135:136], v[44:45]
	ds_read_b128 v[86:89], v120 offset:8352
	v_fma_f64 v[104:105], -v[4:5], v[131:132], v[106:107]
	v_fma_f64 v[92:93], -v[18:19], v[127:128], v[92:93]
	;; [unrolled: 1-line block ×3, first 2 shown]
	s_waitcnt lgkmcnt(3)
	v_fma_f64 v[58:59], -v[6:7], v[149:150], v[104:105]
	ds_read_b128 v[104:107], v120 offset:9360
	v_fma_f64 v[80:81], -v[36:37], v[80:81], v[118:119]
	s_waitcnt lgkmcnt(2)
	v_fma_f64 v[92:93], -v[20:21], v[96:97], v[92:93]
	v_fma_f64 v[96:97], -v[36:37], v[82:83], v[114:115]
	;; [unrolled: 1-line block ×4, first 2 shown]
	v_mov_b32_e32 v80, s7
	s_add_i32 s7, s6, 0x12a8
	v_mov_b32_e32 v84, s7
	ds_read2_b64 v[80:83], v80 offset1:1
	ds_read2_b64 v[125:128], v84 offset1:1
	v_fma_f64 v[92:93], -v[22:23], v[108:109], v[92:93]
	s_add_i32 s7, s6, 0x16a8
	v_mov_b32_e32 v84, s7
	ds_read2_b64 v[129:132], v84 offset1:1
	s_waitcnt lgkmcnt(1)
	v_fma_f64 v[108:109], -v[14:15], v[125:126], v[58:59]
	v_fma_f64 v[80:81], -v[38:39], v[80:81], v[96:97]
	ds_read_b128 v[100:103], v120 offset:6320
	s_add_i32 s7, s6, 0x2698
	ds_read_b128 v[56:59], v120 offset:8432
	v_fma_f64 v[108:109], -v[16:17], v[94:95], v[108:109]
	ds_read_b128 v[94:97], v120 offset:3264
	v_fma_f64 v[84:85], -v[8:9], v[145:146], v[44:45]
	v_mul_f64 v[44:45], v[104:105], v[118:119]
	v_fma_f64 v[104:105], -v[24:25], v[110:111], v[92:93]
	v_fma_f64 v[110:111], -v[2:3], v[137:138], v[90:91]
	ds_read_b128 v[90:93], v120 offset:3248
	v_fma_f64 v[84:85], -v[10:11], v[143:144], v[84:85]
	v_fma_f64 v[118:119], -v[44:45], v[106:107], v[80:81]
	;; [unrolled: 1-line block ×4, first 2 shown]
	s_waitcnt lgkmcnt(4)
	v_fma_f64 v[80:81], -v[18:19], v[129:130], v[108:109]
	ds_read_b128 v[108:111], v120 offset:4272
	ds_read2_b64 v[104:107], v120 offset0:215 offset1:216
	v_mov_b32_e32 v129, s7
	s_waitcnt lgkmcnt(2)
	v_fma_f64 v[84:85], -v[4:5], v[90:91], v[84:85]
	s_add_i32 s7, s6, 0x1aa8
	v_fma_f64 v[125:126], -v[36:37], v[86:87], v[114:115]
	v_fma_f64 v[80:81], -v[20:21], v[98:99], v[80:81]
	v_mov_b32_e32 v98, s7
	s_add_i32 s7, s6, 0xab8
	v_fma_f64 v[90:91], -v[6:7], v[151:152], v[84:85]
	ds_read2_b64 v[84:87], v120 offset0:217 offset1:218
	s_waitcnt lgkmcnt(1)
	v_fma_f64 v[46:47], -v[42:43], v[104:105], v[46:47]
	ds_read2_b64 v[114:117], v98 offset1:1
	ds_read_b128 v[133:136], v120 offset:4288
	v_mov_b32_e32 v98, s7
	s_add_i32 s7, s6, 0xeb8
	v_fma_f64 v[90:91], -v[12:13], v[108:109], v[90:91]
	v_fma_f64 v[108:109], -v[38:39], v[82:83], v[125:126]
	;; [unrolled: 1-line block ×3, first 2 shown]
	ds_read_b128 v[141:144], v120 offset:192
	ds_read2_b64 v[145:148], v98 offset1:1
	v_mov_b32_e32 v98, s7
	s_add_i32 s7, s6, 0x1ea8
	ds_read_b128 v[149:152], v120 offset:208
	ds_read2_b64 v[153:156], v98 offset1:1
	s_waitcnt lgkmcnt(3)
	v_fma_f64 v[62:63], -v[0:1], v[141:142], v[62:63]
	v_mov_b32_e32 v98, s7
	s_waitcnt lgkmcnt(2)
	v_fma_f64 v[46:47], -v[10:11], v[145:146], v[46:47]
	ds_read2_b64 v[157:160], v98 offset1:1
	v_fma_f64 v[104:105], -v[14:15], v[127:128], v[90:91]
	ds_read2_b64 v[161:164], v129 offset1:1
	s_add_i32 s7, s6, 0x12b8
	ds_read_b128 v[125:128], v120 offset:9392
	v_fma_f64 v[62:63], -v[2:3], v[139:140], v[62:63]
	s_waitcnt lgkmcnt(4)
	v_fma_f64 v[76:77], -v[0:1], v[151:152], v[76:77]
	v_fma_f64 v[46:47], -v[4:5], v[92:93], v[46:47]
	ds_read_b128 v[90:93], v120 offset:1216
	v_fma_f64 v[98:99], -v[22:23], v[114:115], v[80:81]
	ds_read_b128 v[80:83], v120 offset:9376
	s_waitcnt lgkmcnt(1)
	v_fma_f64 v[62:63], -v[40:41], v[90:91], v[62:63]
	v_fma_f64 v[90:91], -v[16:17], v[121:122], v[104:105]
	v_fma_f64 v[104:105], -v[6:7], v[153:154], v[46:47]
	v_mul_f64 v[46:47], v[161:162], v[118:119]
	v_fma_f64 v[98:99], -v[24:25], v[112:113], v[98:99]
	ds_read_b128 v[112:115], v120 offset:1232
	s_waitcnt lgkmcnt(1)
	v_fma_f64 v[80:81], -v[44:45], v[80:81], v[108:109]
	v_fma_f64 v[62:63], -v[42:43], v[106:107], v[62:63]
	v_fma_f64 v[90:91], -v[18:19], v[131:132], v[90:91]
	v_fma_f64 v[121:122], -v[12:13], v[110:111], v[104:105]
	ds_read_b128 v[104:107], v120 offset:2240
	v_fma_f64 v[118:119], -v[26:27], v[157:158], v[98:99]
	v_mov_b32_e32 v98, s7
	ds_read2_b64 v[108:111], v98 offset1:1
	ds_read_b128 v[129:132], v120 offset:2256
	v_fma_f64 v[161:162], -v[46:47], v[163:164], v[80:81]
	s_waitcnt lgkmcnt(2)
	v_fma_f64 v[62:63], -v[8:9], v[104:105], v[62:63]
	v_fma_f64 v[90:91], -v[20:21], v[100:101], v[90:91]
	s_waitcnt lgkmcnt(1)
	v_fma_f64 v[104:105], -v[14:15], v[108:109], v[121:122]
	ds_read_b128 v[137:140], v120 offset:10400
	v_fma_f64 v[108:109], -v[36:37], v[88:89], v[118:119]
	s_add_i32 s7, s6, 0x16b8
	v_mov_b32_e32 v98, s7
	ds_read2_b64 v[98:101], v98 offset1:1
	v_fma_f64 v[62:63], -v[10:11], v[147:148], v[62:63]
	v_fma_f64 v[80:81], -v[22:23], v[116:117], v[90:91]
	ds_read_b128 v[88:91], v120 offset:7344
	v_fma_f64 v[104:105], -v[16:17], v[123:124], v[104:105]
	s_add_i32 s7, s6, 0x22a8
	v_mov_b32_e32 v121, s7
	s_add_i32 s7, s6, 0x26a8
	ds_read2_b64 v[121:124], v121 offset1:1
	v_fma_f64 v[62:63], -v[4:5], v[94:95], v[62:63]
	s_waitcnt lgkmcnt(1)
	v_fma_f64 v[80:81], -v[24:25], v[88:89], v[80:81]
	v_mov_b32_e32 v94, s7
	ds_read2_b64 v[145:148], v94 offset1:1
	v_fma_f64 v[88:89], -v[18:19], v[98:99], v[104:105]
	s_waitcnt lgkmcnt(1)
	v_fma_f64 v[98:99], -v[38:39], v[121:122], v[108:109]
	s_add_i32 s7, s6, 0x1ab8
	v_mov_b32_e32 v108, s7
	v_fma_f64 v[94:95], -v[6:7], v[155:156], v[62:63]
	v_fma_f64 v[121:122], -v[26:27], v[159:160], v[80:81]
	;; [unrolled: 1-line block ×3, first 2 shown]
	s_add_i32 s7, s6, 0x1eb8
	v_fma_f64 v[88:89], -v[20:21], v[102:103], v[88:89]
	ds_read2_b64 v[102:105], v120 offset0:89 offset1:90
	ds_read2_b64 v[141:144], v120 offset0:91 offset1:92
	ds_read2_b64 v[153:156], v108 offset1:1
	v_fma_f64 v[94:95], -v[12:13], v[133:134], v[94:95]
	ds_read_b128 v[60:63], v120 offset:8368
	s_waitcnt lgkmcnt(3)
	v_fma_f64 v[80:81], -v[2:3], v[102:103], v[80:81]
	v_mov_b32_e32 v102, s7
	ds_read2_b64 v[157:160], v102 offset1:1
	v_fma_f64 v[98:99], -v[44:45], v[82:83], v[98:99]
	s_waitcnt lgkmcnt(2)
	v_fma_f64 v[88:89], -v[22:23], v[153:154], v[88:89]
	ds_read_b128 v[116:119], v120 offset:7360
	v_fma_f64 v[102:103], -v[14:15], v[110:111], v[94:95]
	ds_read_b128 v[108:111], v120 offset:5312
	;; [unrolled: 2-line block ×3, first 2 shown]
	ds_read_b128 v[80:83], v120 offset:8384
	s_waitcnt lgkmcnt(5)
	v_fma_f64 v[121:122], -v[36:37], v[60:61], v[121:122]
	s_add_i32 s7, s6, 0xac8
	v_mul_f64 v[60:61], v[137:138], v[161:162]
	s_waitcnt lgkmcnt(2)
	v_fma_f64 v[102:103], -v[16:17], v[108:109], v[102:103]
	v_fma_f64 v[108:109], -v[24:25], v[90:91], v[88:89]
	;; [unrolled: 1-line block ×4, first 2 shown]
	ds_read_b128 v[88:91], v120 offset:10416
	v_fma_f64 v[145:146], -v[38:39], v[123:124], v[121:122]
	v_fma_f64 v[76:77], -v[2:3], v[141:142], v[76:77]
	;; [unrolled: 1-line block ×3, first 2 shown]
	ds_read_b128 v[98:101], v120 offset:6336
	v_fma_f64 v[84:85], -v[8:9], v[106:107], v[84:85]
	v_mov_b32_e32 v106, s7
	v_fma_f64 v[153:154], -v[26:27], v[157:158], v[108:109]
	ds_read2_b64 v[106:109], v106 offset1:1
	ds_read_b128 v[121:124], v120 offset:6352
	s_add_i32 s7, s6, 0x2aa8
	ds_read_b64 v[193:194], v120 offset:11000
	s_waitcnt lgkmcnt(3)
	v_fma_f64 v[98:99], -v[20:21], v[98:99], v[102:103]
	v_fma_f64 v[102:103], -v[60:61], v[139:140], v[133:134]
	s_waitcnt lgkmcnt(2)
	v_fma_f64 v[84:85], -v[10:11], v[106:107], v[84:85]
	v_fma_f64 v[106:107], -v[44:45], v[125:126], v[145:146]
	v_mov_b32_e32 v133, s7
	s_add_i32 s7, s6, 0x22b8
	v_fma_f64 v[62:63], -v[36:37], v[62:63], v[153:154]
	ds_read_b128 v[165:168], v120 offset:11456
	v_fma_f64 v[125:126], -v[22:23], v[155:156], v[98:99]
	v_mov_b32_e32 v98, s7
	v_fma_f64 v[84:85], -v[4:5], v[96:97], v[84:85]
	s_add_i32 s7, s6, 0xec8
	v_mov_b32_e32 v96, s7
	ds_read2_b64 v[153:156], v98 offset1:1
	ds_read2_b64 v[96:99], v96 offset1:1
	s_add_i32 s7, s6, 0x12c8
	v_fma_f64 v[116:117], -v[24:25], v[116:117], v[125:126]
	v_mov_b32_e32 v125, s7
	s_add_i32 s7, s6, 0x26b8
	ds_read2_b64 v[137:140], v133 offset1:1
	ds_read2_b64 v[161:164], v125 offset1:1
	v_fma_f64 v[76:77], -v[40:41], v[114:115], v[76:77]
	ds_read_b128 v[169:172], v120 offset:11472
	v_fma_f64 v[116:117], -v[26:27], v[159:160], v[116:117]
	ds_read2_b64 v[157:160], v120 offset0:221 offset1:222
	s_waitcnt lgkmcnt(4)
	v_fma_f64 v[84:85], -v[6:7], v[96:97], v[84:85]
	v_fma_f64 v[96:97], -v[46:47], v[147:148], v[106:107]
	v_mov_b32_e32 v106, s7
	ds_read2_b64 v[145:148], v106 offset1:1
	v_fma_f64 v[106:107], -v[38:39], v[153:154], v[62:63]
	s_waitcnt lgkmcnt(4)
	v_mul_f64 v[62:63], v[137:138], v[102:103]
	s_add_i32 s7, s6, 0x16c8
	v_fma_f64 v[84:85], -v[12:13], v[135:136], v[84:85]
	v_fma_f64 v[88:89], -v[60:61], v[88:89], v[96:97]
	;; [unrolled: 1-line block ×5, first 2 shown]
	ds_read_b128 v[78:81], v120 offset:11440
	s_waitcnt lgkmcnt(4)
	v_fma_f64 v[84:85], -v[14:15], v[161:162], v[84:85]
	v_fma_f64 v[88:89], -v[62:63], v[139:140], v[88:89]
	;; [unrolled: 1-line block ×3, first 2 shown]
	ds_read_b128 v[137:140], v120 offset:3280
	s_waitcnt lgkmcnt(2)
	v_fma_f64 v[116:117], -v[46:47], v[145:146], v[102:103]
	v_fma_f64 v[106:107], -v[38:39], v[155:156], v[106:107]
	ds_read_b128 v[102:105], v120 offset:9408
	ds_read_b128 v[153:156], v120 offset:4320
	v_fma_f64 v[84:85], -v[16:17], v[110:111], v[84:85]
	v_mov_b32_e32 v110, s7
	v_fma_f64 v[96:97], -v[40:41], v[112:113], v[96:97]
	ds_read2_b64 v[125:128], v110 offset1:1
	s_add_i32 s7, s6, 0x1ac8
	s_waitcnt lgkmcnt(2)
	v_fma_f64 v[102:103], -v[44:45], v[102:103], v[106:107]
	v_mov_b32_e32 v110, s7
	s_add_i32 s7, s6, 0x2ab8
	s_waitcnt lgkmcnt(0)
	v_fma_f64 v[125:126], -v[18:19], v[125:126], v[84:85]
	v_mul_f64 v[78:79], v[78:79], v[88:89]
	v_fma_f64 v[96:97], -v[42:43], v[86:87], v[96:97]
	v_mov_b32_e32 v88, s7
	s_or_b32 s7, s2, 23
	s_mul_i32 s8, s7, 0x208
	ds_read_b128 v[84:87], v120 offset:9424
	v_fma_f64 v[116:117], -v[60:61], v[90:91], v[116:117]
	v_fma_f64 v[106:107], -v[20:21], v[100:101], v[125:126]
	;; [unrolled: 1-line block ×4, first 2 shown]
	ds_read_b128 v[100:103], v120 offset:10432
	v_mov_b32_e32 v129, s8
	s_add_i32 s8, s6, 0x1ec8
	ds_read2_b64 v[133:136], v129 offset1:1
	ds_read2_b64 v[88:91], v88 offset1:1
	;; [unrolled: 1-line block ×3, first 2 shown]
	s_waitcnt lgkmcnt(3)
	v_fma_f64 v[100:101], -v[60:61], v[100:101], v[125:126]
	v_fma_f64 v[96:97], -v[10:11], v[108:109], v[96:97]
	v_mov_b32_e32 v125, s8
	s_add_i32 s8, s6, 0x22c8
	ds_read2_b64 v[145:148], v125 offset1:1
	v_mov_b32_e32 v125, s8
	ds_read2_b64 v[149:152], v125 offset1:1
	s_add_i32 s8, s6, 0xad8
	s_lshl_b32 s7, s7, 9
	v_fma_f64 v[96:97], -v[4:5], v[137:138], v[96:97]
	s_add_i32 s7, s4, s7
	v_fma_f64 v[125:126], -v[6:7], v[98:99], v[96:97]
	ds_read_b128 v[96:99], v120 offset:4304
	s_waitcnt lgkmcnt(0)
	v_fma_f64 v[96:97], -v[12:13], v[96:97], v[125:126]
	v_fma_f64 v[96:97], -v[14:15], v[163:164], v[96:97]
	;; [unrolled: 1-line block ×3, first 2 shown]
	v_mov_b32_e32 v96, s9
	ds_read2_b64 v[173:176], v96 offset1:1
	v_fma_f64 v[88:89], -v[62:63], v[88:89], v[116:117]
	v_fma_f64 v[100:101], -v[62:63], v[90:91], v[100:101]
	s_add_i32 s9, s6, 0xed8
	v_fma_f64 v[92:93], -v[18:19], v[127:128], v[92:93]
	v_fma_f64 v[80:81], -v[78:79], v[80:81], v[88:89]
	ds_read2_b64 v[88:91], v120 offset0:219 offset1:220
	v_fma_f64 v[92:93], -v[20:21], v[121:122], v[92:93]
	s_waitcnt lgkmcnt(0)
	v_fma_f64 v[76:77], -v[42:43], v[88:89], v[76:77]
	v_fma_f64 v[88:89], -v[78:79], v[165:166], v[100:101]
	v_mov_b32_e32 v100, s8
	s_add_i32 s8, s6, 0x26c8
	v_mul_f64 v[80:81], v[133:134], v[80:81]
	v_fma_f64 v[76:77], -v[8:9], v[131:132], v[76:77]
	ds_read2_b64 v[129:132], v100 offset1:1
	v_fma_f64 v[110:111], -v[22:23], v[110:111], v[106:107]
	v_mov_b32_e32 v100, s8
	ds_read_b128 v[106:109], v120 offset:10448
	ds_read2_b64 v[161:164], v100 offset1:1
	s_or_b32 s8, s2, 24
	v_fma_f64 v[88:89], -v[80:81], v[135:136], v[88:89]
	s_waitcnt lgkmcnt(2)
	v_fma_f64 v[76:77], -v[10:11], v[129:130], v[76:77]
	v_fma_f64 v[92:93], -v[22:23], v[112:113], v[92:93]
	;; [unrolled: 1-line block ×3, first 2 shown]
	ds_read_b128 v[116:119], v120 offset:3296
	v_fma_f64 v[96:97], -v[4:5], v[139:140], v[76:77]
	v_mov_b32_e32 v76, s9
	v_fma_f64 v[110:111], -v[26:27], v[145:146], v[110:111]
	ds_read_b128 v[125:128], v120 offset:224
	ds_read2_b64 v[137:140], v76 offset1:1
	ds_read_b128 v[177:180], v120 offset:240
	s_add_i32 s9, s6, 0x12d8
	v_mov_b32_e32 v76, s9
	s_mul_i32 s9, s8, 0x208
	s_waitcnt lgkmcnt(1)
	v_fma_f64 v[96:97], -v[6:7], v[137:138], v[96:97]
	v_mov_b32_e32 v100, s9
	v_fma_f64 v[82:83], -v[36:37], v[82:83], v[110:111]
	ds_read_b128 v[133:136], v120 offset:1264
	s_lshl_b32 s8, s8, 9
	s_add_i32 s8, s4, s8
	v_fma_f64 v[110:111], -v[12:13], v[98:99], v[96:97]
	ds_read_b128 v[96:99], v120 offset:1248
	v_fma_f64 v[82:83], -v[38:39], v[149:150], v[82:83]
	v_mov_b32_e32 v149, s7
	s_add_i32 s7, s6, 0x16d8
	s_waitcnt lgkmcnt(2)
	v_fma_f64 v[70:71], -v[0:1], v[177:178], v[70:71]
	v_fma_f64 v[82:83], -v[44:45], v[104:105], v[82:83]
	;; [unrolled: 1-line block ×3, first 2 shown]
	ds_read2_b64 v[74:77], v76 offset1:1
	v_fma_f64 v[82:83], -v[46:47], v[161:162], v[82:83]
	v_fma_f64 v[104:105], -v[2:3], v[143:144], v[104:105]
	ds_read2_b64 v[141:144], v149 offset0:25 offset1:26
	v_fma_f64 v[82:83], -v[60:61], v[102:103], v[82:83]
	s_waitcnt lgkmcnt(2)
	v_fma_f64 v[96:97], -v[40:41], v[96:97], v[104:105]
	ds_read_b128 v[100:103], v100
	s_waitcnt lgkmcnt(2)
	v_fma_f64 v[74:75], -v[14:15], v[74:75], v[110:111]
	ds_read_b128 v[110:113], v120 offset:7376
	v_fma_f64 v[114:115], -v[62:63], v[173:174], v[82:83]
	v_fma_f64 v[96:97], -v[42:43], v[90:91], v[96:97]
	s_waitcnt lgkmcnt(1)
	v_mul_f64 v[82:83], v[100:101], v[88:89]
	ds_read_b128 v[88:91], v120 offset:7392
	s_waitcnt lgkmcnt(1)
	v_fma_f64 v[104:105], -v[24:25], v[110:111], v[92:93]
	v_fma_f64 v[74:75], -v[16:17], v[94:95], v[74:75]
	ds_read_b128 v[92:95], v120 offset:2272
	v_mov_b32_e32 v110, s7
	v_fma_f64 v[100:101], -v[78:79], v[167:168], v[114:115]
	ds_read2_b64 v[165:168], v110 offset1:1
	ds_read_b128 v[181:184], v120 offset:2288
	s_add_i32 s7, s6, 0x1ad8
	s_waitcnt lgkmcnt(2)
	v_fma_f64 v[92:93], -v[8:9], v[92:93], v[96:97]
	v_fma_f64 v[96:97], -v[26:27], v[147:148], v[104:105]
	s_waitcnt lgkmcnt(1)
	v_fma_f64 v[74:75], -v[18:19], v[165:166], v[74:75]
	v_mov_b32_e32 v104, s7
	ds_read2_b64 v[145:148], v104 offset1:1
	v_fma_f64 v[104:105], -v[0:1], v[127:128], v[72:73]
	ds_read_b128 v[185:188], v120 offset:8400
	ds_read2_b64 v[189:192], v149 offset0:27 offset1:28
	v_fma_f64 v[100:101], -v[80:81], v[141:142], v[100:101]
	v_fma_f64 v[92:93], -v[10:11], v[131:132], v[92:93]
	ds_read_b128 v[129:132], v120 offset:8416
	v_fma_f64 v[110:111], -v[20:21], v[123:124], v[74:75]
	s_waitcnt lgkmcnt(2)
	v_fma_f64 v[96:97], -v[36:37], v[185:186], v[96:97]
	s_or_b32 s7, s2, 26
	v_fma_f64 v[52:53], -v[2:3], v[52:53], v[104:105]
	s_mul_i32 s9, s7, 0x208
	v_mov_b32_e32 v72, s9
	v_fma_f64 v[92:93], -v[4:5], v[116:117], v[92:93]
	v_fma_f64 v[116:117], -v[0:1], v[179:180], v[68:69]
	;; [unrolled: 1-line block ×4, first 2 shown]
	ds_read_b128 v[72:75], v72
	v_fma_f64 v[52:53], -v[40:41], v[98:99], v[52:53]
	v_fma_f64 v[137:138], -v[82:83], v[102:103], v[100:101]
	s_or_b32 s9, s2, 25
	v_fma_f64 v[92:93], -v[6:7], v[139:140], v[92:93]
	v_fma_f64 v[104:105], -v[24:25], v[112:113], v[104:105]
	;; [unrolled: 1-line block ×3, first 2 shown]
	v_mov_b32_e32 v96, s10
	ds_read2_b64 v[96:99], v96 offset1:1
	v_fma_f64 v[110:111], -v[42:43], v[157:158], v[52:53]
	s_add_i32 s10, s6, 0x22d8
	v_fma_f64 v[92:93], -v[12:13], v[153:154], v[92:93]
	v_mov_b32_e32 v52, s10
	s_waitcnt lgkmcnt(0)
	v_fma_f64 v[96:97], -v[26:27], v[96:97], v[104:105]
	v_fma_f64 v[104:105], -v[2:3], v[54:55], v[70:71]
	s_add_i32 s10, s6, 0xae8
	v_mov_b32_e32 v68, s10
	ds_read2_b64 v[100:103], v52 offset1:1
	ds_read_b128 v[52:55], v120 offset:5344
	v_fma_f64 v[76:77], -v[14:15], v[76:77], v[92:93]
	v_fma_f64 v[114:115], -v[8:9], v[94:95], v[110:111]
	ds_read2_b64 v[68:71], v68 offset1:1
	ds_read2_b64 v[92:95], v120 offset0:95 offset1:223
	v_fma_f64 v[104:105], -v[40:41], v[133:134], v[104:105]
	s_mul_i32 s10, s9, 0x208
	v_mov_b32_e32 v125, s10
	s_add_i32 s10, s6, 0xee8
	v_fma_f64 v[96:97], -v[36:37], v[187:188], v[96:97]
	s_waitcnt lgkmcnt(2)
	v_fma_f64 v[52:53], -v[16:17], v[52:53], v[76:77]
	s_waitcnt lgkmcnt(0)
	v_fma_f64 v[76:77], -v[2:3], v[92:93], v[116:117]
	v_fma_f64 v[68:69], -v[10:11], v[68:69], v[114:115]
	;; [unrolled: 1-line block ×3, first 2 shown]
	v_mov_b32_e32 v104, s10
	ds_read2_b64 v[114:117], v104 offset1:1
	s_add_i32 s10, s6, 0x12e8
	ds_read_b128 v[110:113], v120 offset:5360
	v_fma_f64 v[52:53], -v[18:19], v[167:168], v[52:53]
	v_fma_f64 v[76:77], -v[40:41], v[135:136], v[76:77]
	;; [unrolled: 1-line block ×4, first 2 shown]
	v_mov_b32_e32 v92, s10
	ds_read2_b64 v[121:124], v92 offset1:1
	v_fma_f64 v[84:85], -v[46:47], v[163:164], v[84:85]
	v_fma_f64 v[96:97], -v[38:39], v[100:101], v[96:97]
	s_add_i32 s10, s6, 0x26d8
	v_fma_f64 v[76:77], -v[42:43], v[94:95], v[76:77]
	s_waitcnt lgkmcnt(2)
	v_fma_f64 v[114:115], -v[6:7], v[114:115], v[68:69]
	ds_read_b128 v[92:95], v120 offset:6368
	v_fma_f64 v[100:101], -v[10:11], v[70:71], v[104:105]
	ds_read_b128 v[68:71], v120 offset:6384
	v_fma_f64 v[84:85], -v[60:61], v[106:107], v[84:85]
	v_fma_f64 v[96:97], -v[44:45], v[86:87], v[96:97]
	s_waitcnt lgkmcnt(1)
	v_fma_f64 v[52:53], -v[20:21], v[92:93], v[52:53]
	v_fma_f64 v[76:77], -v[8:9], v[183:184], v[76:77]
	;; [unrolled: 1-line block ×3, first 2 shown]
	v_add_u32_e32 v114, 0xf8, v120
	ds_read2st64_b64 v[104:107], v114 offset0:5 offset1:7
	ds_read2_b64 v[125:128], v125 offset1:1
	v_fma_f64 v[28:29], -v[4:5], v[28:29], v[100:101]
	v_fma_f64 v[100:101], -v[62:63], v[175:176], v[84:85]
	v_mov_b32_e32 v84, s10
	v_fma_f64 v[52:53], -v[22:23], v[147:148], v[52:53]
	s_waitcnt lgkmcnt(1)
	v_fma_f64 v[76:77], -v[10:11], v[104:105], v[76:77]
	v_fma_f64 v[92:93], -v[14:15], v[121:122], v[92:93]
	s_add_i32 s10, s6, 0x16e8
	ds_read2_b64 v[84:87], v84 offset1:1
	v_fma_f64 v[104:105], -v[6:7], v[116:117], v[28:29]
	v_mov_b32_e32 v28, s10
	s_add_i32 s10, s6, 0x1ae8
	v_fma_f64 v[88:89], -v[24:25], v[88:89], v[52:53]
	v_fma_f64 v[52:53], -v[4:5], v[30:31], v[76:77]
	;; [unrolled: 1-line block ×3, first 2 shown]
	ds_read2_b64 v[28:31], v28 offset1:1
	v_mov_b32_e32 v54, s10
	v_fma_f64 v[32:33], -v[12:13], v[32:33], v[104:105]
	s_add_i32 s10, s6, 0x2ad8
	v_mov_b32_e32 v104, s10
	v_fma_f64 v[88:89], -v[26:27], v[98:99], v[88:89]
	v_fma_f64 v[92:93], -v[6:7], v[106:107], v[52:53]
	ds_read2_b64 v[52:55], v54 offset1:1
	s_waitcnt lgkmcnt(1)
	v_fma_f64 v[28:29], -v[18:19], v[28:29], v[76:77]
	ds_read2_b64 v[104:107], v104 offset1:1
	v_fma_f64 v[76:77], -v[14:15], v[123:124], v[32:33]
	v_fma_f64 v[88:89], -v[36:37], v[129:130], v[88:89]
	;; [unrolled: 1-line block ×3, first 2 shown]
	ds_read2st64_b64 v[32:35], v114 offset0:9 offset1:11
	v_fma_f64 v[28:29], -v[20:21], v[94:95], v[28:29]
	v_fma_f64 v[76:77], -v[16:17], v[110:111], v[76:77]
	v_mov_b32_e32 v110, s8
	s_add_i32 s8, s6, 0x1ee8
	s_waitcnt lgkmcnt(0)
	v_fma_f64 v[32:33], -v[14:15], v[32:33], v[92:93]
	ds_read_b128 v[92:95], v110 offset:208
	v_fma_f64 v[52:53], -v[22:23], v[52:53], v[28:29]
	v_fma_f64 v[76:77], -v[18:19], v[30:31], v[76:77]
	ds_read_b128 v[28:31], v120 offset:9440
	v_fma_f64 v[84:85], -v[46:47], v[84:85], v[96:97]
	v_fma_f64 v[96:97], -v[78:79], v[169:170], v[100:101]
	;; [unrolled: 1-line block ×6, first 2 shown]
	v_mov_b32_e32 v76, s8
	v_fma_f64 v[98:99], -v[60:61], v[108:109], v[84:85]
	ds_read2_b64 v[88:91], v76 offset1:1
	v_fma_f64 v[76:77], -v[18:19], v[34:35], v[32:33]
	s_add_i32 s8, s6, 0x22e8
	v_mov_b32_e32 v32, s8
	v_fma_f64 v[96:97], -v[80:81], v[143:144], v[96:97]
	ds_read2_b64 v[32:35], v32 offset1:1
	s_waitcnt lgkmcnt(1)
	v_fma_f64 v[88:89], -v[26:27], v[88:89], v[52:53]
	v_fma_f64 v[98:99], -v[62:63], v[104:105], v[98:99]
	;; [unrolled: 1-line block ×4, first 2 shown]
	ds_read2st64_b64 v[68:71], v114 offset0:13 offset1:15
	v_mul_f64 v[84:85], v[125:126], v[137:138]
	v_fma_f64 v[92:93], -v[82:83], v[92:93], v[96:97]
	v_fma_f64 v[28:29], -v[44:45], v[28:29], v[100:101]
	v_fma_f64 v[88:89], -v[36:37], v[131:132], v[88:89]
	v_fma_f64 v[96:97], -v[78:79], v[171:172], v[98:99]
	v_fma_f64 v[48:49], -v[24:25], v[48:49], v[102:103]
	s_waitcnt lgkmcnt(0)
	v_fma_f64 v[68:69], -v[22:23], v[68:69], v[76:77]
	s_lshl_b32 s8, s9, 9
	s_add_i32 s9, s6, 0x26e8
	v_fma_f64 v[92:93], -v[84:85], v[127:128], v[92:93]
	s_addk_i32 s6, 0x2ae8
	v_fma_f64 v[32:33], -v[38:39], v[32:33], v[88:89]
	v_fma_f64 v[76:77], -v[80:81], v[189:190], v[96:97]
	;; [unrolled: 1-line block ×5, first 2 shown]
	ds_read_b128 v[86:89], v120 offset:10464
	ds_read_b128 v[48:51], v120 offset:10480
	v_mul_f64 v[28:29], v[72:73], v[92:93]
	s_add_i32 s8, s4, s8
	v_fma_f64 v[72:73], -v[82:83], v[94:95], v[76:77]
	s_waitcnt lgkmcnt(1)
	v_fma_f64 v[76:77], -v[60:61], v[86:87], v[96:97]
	v_fma_f64 v[86:87], -v[44:45], v[30:31], v[32:33]
	;; [unrolled: 1-line block ×4, first 2 shown]
	v_mov_b32_e32 v30, s9
	ds_read2_b64 v[30:33], v30 offset1:1
	v_mov_b32_e32 v68, s6
	ds_read2_b64 v[68:71], v68 offset1:1
	ds_read_b128 v[52:55], v120 offset:9456
	v_mov_b32_e32 v102, s8
	v_fma_f64 v[34:35], -v[38:39], v[34:35], v[56:57]
	s_waitcnt lgkmcnt(2)
	v_fma_f64 v[30:31], -v[46:47], v[30:31], v[86:87]
	v_fma_f64 v[98:99], -v[36:37], v[58:59], v[90:91]
	ds_read2_b64 v[56:59], v102 offset0:27 offset1:28
	ds_read2st64_b64 v[90:93], v114 offset0:17 offset1:19
	ds_read_b128 v[94:97], v120 offset:11488
	v_fma_f64 v[76:77], -v[62:63], v[106:107], v[76:77]
	s_lshl_b32 s6, s7, 9
	s_or_b32 s7, s2, 27
	s_waitcnt lgkmcnt(3)
	v_fma_f64 v[34:35], -v[44:45], v[52:53], v[34:35]
	v_fma_f64 v[30:31], -v[60:61], v[88:89], v[30:31]
	s_waitcnt lgkmcnt(1)
	v_fma_f64 v[52:53], -v[38:39], v[90:91], v[98:99]
	v_fma_f64 v[56:57], -v[84:85], v[56:57], v[72:73]
	ds_read2_b64 v[86:89], v102 offset0:29 offset1:30
	s_waitcnt lgkmcnt(1)
	v_fma_f64 v[72:73], -v[78:79], v[94:95], v[76:77]
	ds_read_b128 v[98:101], v120 offset:11504
	s_add_i32 s6, s4, s6
	v_fma_f64 v[32:33], -v[46:47], v[32:33], v[34:35]
	v_fma_f64 v[34:35], -v[62:63], v[68:69], v[30:31]
	;; [unrolled: 1-line block ×4, first 2 shown]
	s_mul_i32 s8, s7, 0x208
	v_fma_f64 v[56:57], -v[80:81], v[191:192], v[72:73]
	s_lshl_b32 s7, s7, 9
	s_add_i32 s7, s4, s7
	v_fma_f64 v[48:49], -v[60:61], v[48:49], v[32:33]
	v_fma_f64 v[34:35], -v[78:79], v[96:97], v[34:35]
	;; [unrolled: 1-line block ×3, first 2 shown]
	ds_read_b128 v[30:33], v110 offset:224
	ds_read2_b64 v[52:55], v149 offset0:29 offset1:30
	ds_read_b128 v[72:75], v110 offset:240
	v_mov_b32_e32 v96, s6
	ds_read_b64 v[94:95], v102 offset:248
	s_or_b32 s6, s2, 28
	s_waitcnt lgkmcnt(3)
	v_fma_f64 v[30:31], -v[82:83], v[30:31], v[56:57]
	v_fma_f64 v[56:57], -v[62:63], v[70:71], v[48:49]
	s_waitcnt lgkmcnt(2)
	v_fma_f64 v[34:35], -v[80:81], v[52:53], v[34:35]
	v_fma_f64 v[52:53], -v[60:61], v[50:51], v[76:77]
	v_mov_b32_e32 v48, s8
	ds_read2_b64 v[48:51], v48 offset1:1
	ds_read_b64 v[70:71], v149 offset:248
	s_mul_i32 s8, s6, 0x208
	v_fma_f64 v[76:77], -v[84:85], v[58:59], v[30:31]
	v_fma_f64 v[90:91], -v[78:79], v[98:99], v[56:57]
	;; [unrolled: 1-line block ×4, first 2 shown]
	ds_read_b128 v[56:59], v96 offset:224
	s_waitcnt lgkmcnt(2)
	v_mul_f64 v[30:31], v[48:49], v[68:69]
	ds_read_b128 v[32:35], v96 offset:240
	s_lshl_b32 s6, s6, 9
	s_add_i32 s6, s4, s6
	s_waitcnt lgkmcnt(1)
	v_fma_f64 v[48:49], -v[28:29], v[56:57], v[76:77]
	v_fma_f64 v[56:57], -v[80:81], v[54:55], v[90:91]
	;; [unrolled: 1-line block ×4, first 2 shown]
	v_mov_b32_e32 v52, s8
	ds_read_b128 v[52:55], v52
	v_fma_f64 v[56:57], -v[82:83], v[72:73], v[56:57]
	v_fma_f64 v[58:59], -v[28:29], v[58:59], v[68:69]
	;; [unrolled: 1-line block ×3, first 2 shown]
	v_mov_b32_e32 v70, s7
	v_fma_f64 v[72:73], -v[30:31], v[50:51], v[48:49]
	ds_read2_b64 v[48:51], v70 offset0:29 offset1:30
	ds_read_b64 v[70:71], v70 offset:248
	s_or_b32 s7, s2, 29
	v_fma_f64 v[56:57], -v[84:85], v[88:89], v[56:57]
	s_mul_i32 s8, s7, 0x208
	s_waitcnt lgkmcnt(1)
	v_fma_f64 v[48:49], -v[30:31], v[48:49], v[58:59]
	v_fma_f64 v[58:59], -v[82:83], v[74:75], v[68:69]
	v_mul_f64 v[52:53], v[52:53], v[72:73]
	v_fma_f64 v[32:33], -v[28:29], v[32:33], v[56:57]
	v_mov_b32_e32 v56, s6
	s_lshl_b32 s6, s7, 9
	v_fma_f64 v[68:69], -v[84:85], v[94:95], v[58:59]
	v_fma_f64 v[54:55], -v[52:53], v[54:55], v[48:49]
	v_mov_b32_e32 v48, s8
	s_add_i32 s4, s4, s6
	s_or_b32 s6, s2, 30
	v_fma_f64 v[32:33], -v[30:31], v[50:51], v[32:33]
	ds_read2_b64 v[48:51], v48 offset1:1
	ds_read_b128 v[56:59], v56 offset:240
	s_mulk_i32 s6, 0x208
	v_fma_f64 v[34:35], -v[28:29], v[34:35], v[68:69]
	s_waitcnt lgkmcnt(1)
	v_mul_f64 v[54:55], v[48:49], v[54:55]
	s_waitcnt lgkmcnt(0)
	v_fma_f64 v[32:33], -v[52:53], v[56:57], v[32:33]
	v_mov_b32_e32 v56, s4
	s_or_b32 s4, s2, 31
	v_fma_f64 v[34:35], -v[30:31], v[70:71], v[34:35]
	s_mulk_i32 s4, 0x208
	v_fma_f64 v[48:49], -v[54:55], v[50:51], v[32:33]
	v_mov_b32_e32 v32, s6
	v_fma_f64 v[50:51], -v[52:53], v[58:59], v[34:35]
	ds_read_b128 v[32:35], v32
	ds_read_b64 v[56:57], v56 offset:248
	global_store_dwordx4 v[66:67], v[0:3], off
	global_store_dwordx4 v[66:67], v[40:43], off offset:16
	global_store_dwordx4 v[66:67], v[8:11], off offset:32
	;; [unrolled: 1-line block ×7, first 2 shown]
	v_mov_b32_e32 v4, s4
	s_waitcnt lgkmcnt(1)
	v_mul_f64 v[0:1], v[32:33], v[48:49]
	ds_read_b64 v[4:5], v4
	s_add_i32 s4, s2, 32
	s_waitcnt lgkmcnt(1)
	v_fma_f64 v[2:3], -v[54:55], v[56:57], v[50:51]
	s_add_i32 s2, s2, 63
	s_cmp_ge_i32 s2, s26
	global_store_dwordx4 v[66:67], v[36:39], off offset:128
	global_store_dwordx4 v[66:67], v[44:47], off offset:144
	;; [unrolled: 1-line block ×7, first 2 shown]
	v_fma_f64 v[2:3], -v[0:1], v[34:35], v[2:3]
	s_waitcnt lgkmcnt(0)
	v_mul_f64 v[2:3], v[4:5], v[2:3]
	global_store_dwordx4 v[66:67], v[0:3], off offset:240
	s_cbranch_scc1 .LBB110_44
; %bb.43:                               ;   in Loop: Header=BB110_40 Depth=1
	s_mov_b32 s2, s4
	s_branch .LBB110_40
.LBB110_44:
	s_cmp_lt_i32 s4, s26
	s_cbranch_scc0 .LBB110_57
; %bb.45:
	s_add_i32 s2, s4, 3
	s_cmp_ge_i32 s2, s26
	s_cbranch_scc1 .LBB110_51
; %bb.46:
	s_lshl_b32 s3, s4, 3
.LBB110_47:                             ; =>This Loop Header: Depth=1
                                        ;     Child Loop BB110_48 Depth 2
	s_ashr_i32 s5, s4, 31
	s_lshl_b64 s[6:7], s[4:5], 3
	v_mov_b32_e32 v1, s7
	v_add_co_u32_e32 v0, vcc, s6, v64
	v_addc_co_u32_e32 v1, vcc, v65, v1, vcc
	global_load_dwordx4 v[2:5], v[0:1], off
	global_load_dwordx4 v[10:13], v[0:1], off offset:16
	s_cmp_eq_u32 s4, 0
	s_mov_b32 s2, s3
	s_mov_b32 s5, s4
	s_waitcnt vmcnt(1)
	v_mul_f64 v[6:7], s[0:1], v[2:3]
	v_mul_f64 v[8:9], s[0:1], v[4:5]
	s_waitcnt vmcnt(0)
	v_mul_f64 v[4:5], s[0:1], v[10:11]
	v_mul_f64 v[2:3], s[0:1], v[12:13]
	v_mov_b32_e32 v10, v64
	v_mov_b32_e32 v11, v65
	s_cbranch_scc1 .LBB110_49
.LBB110_48:                             ;   Parent Loop BB110_47 Depth=1
                                        ; =>  This Inner Loop Header: Depth=2
	global_load_dwordx2 v[20:21], v[10:11], off
	v_mov_b32_e32 v16, s2
	ds_read2_b64 v[12:15], v16 offset1:1
	ds_read2_b64 v[16:19], v16 offset0:2 offset1:3
	s_add_i32 s5, s5, -1
	s_addk_i32 s2, 0x200
	v_add_co_u32_e32 v10, vcc, 8, v10
	s_cmp_lg_u32 s5, 0
	v_addc_co_u32_e32 v11, vcc, 0, v11, vcc
	s_waitcnt vmcnt(0) lgkmcnt(1)
	v_fma_f64 v[6:7], -v[20:21], v[12:13], v[6:7]
	v_fma_f64 v[8:9], -v[20:21], v[14:15], v[8:9]
	s_waitcnt lgkmcnt(0)
	v_fma_f64 v[4:5], -v[20:21], v[16:17], v[4:5]
	v_fma_f64 v[2:3], -v[20:21], v[18:19], v[2:3]
	s_cbranch_scc1 .LBB110_48
.LBB110_49:                             ;   in Loop: Header=BB110_47 Depth=1
	s_lshl_b32 s2, s4, 3
	s_lshl_b32 s5, s4, 9
	s_add_i32 s2, s2, s5
	v_mov_b32_e32 v22, s2
	ds_read2_b64 v[10:13], v22 offset1:1
	ds_read2_b64 v[14:17], v22 offset0:2 offset1:3
	s_add_i32 s2, s4, 4
	s_add_i32 s4, s4, 7
	;; [unrolled: 1-line block ×3, first 2 shown]
	s_waitcnt lgkmcnt(1)
	v_mul_f64 v[6:7], v[10:11], v[6:7]
	s_cmp_lt_i32 s4, s26
	v_fma_f64 v[12:13], -v[6:7], v[12:13], v[8:9]
	ds_read2_b64 v[8:11], v22 offset0:65 offset1:66
	ds_read2_b64 v[18:21], v22 offset0:130 offset1:131
	s_waitcnt lgkmcnt(2)
	v_fma_f64 v[4:5], -v[6:7], v[14:15], v[4:5]
	s_waitcnt lgkmcnt(1)
	v_mul_f64 v[8:9], v[8:9], v[12:13]
	v_fma_f64 v[12:13], -v[6:7], v[16:17], v[2:3]
	v_fma_f64 v[10:11], -v[8:9], v[10:11], v[4:5]
	ds_read2_b64 v[2:5], v22 offset0:67 offset1:195
	global_store_dwordx4 v[0:1], v[6:9], off
	s_waitcnt lgkmcnt(0)
	v_fma_f64 v[2:3], -v[8:9], v[2:3], v[12:13]
	v_mul_f64 v[10:11], v[18:19], v[10:11]
	v_fma_f64 v[2:3], -v[10:11], v[20:21], v[2:3]
	v_mul_f64 v[12:13], v[4:5], v[2:3]
	global_store_dwordx4 v[0:1], v[10:13], off offset:16
	s_cbranch_scc0 .LBB110_52
; %bb.50:                               ;   in Loop: Header=BB110_47 Depth=1
	s_mov_b32 s4, s2
	s_branch .LBB110_47
.LBB110_51:
	s_mov_b32 s2, s4
.LBB110_52:
	s_cmp_ge_i32 s2, s26
	s_cbranch_scc1 .LBB110_57
; %bb.53:
	s_lshl_b32 s4, s2, 3
	s_branch .LBB110_55
.LBB110_54:                             ;   in Loop: Header=BB110_55 Depth=1
	s_mul_i32 s3, s2, 0x208
	v_mov_b32_e32 v4, s3
	ds_read_b64 v[4:5], v4
	s_add_i32 s2, s2, 1
	s_add_i32 s4, s4, 8
	s_cmp_ge_i32 s2, s26
	s_waitcnt lgkmcnt(0)
	v_mul_f64 v[2:3], v[4:5], v[2:3]
	global_store_dwordx2 v[0:1], v[2:3], off
	s_cbranch_scc1 .LBB110_57
.LBB110_55:                             ; =>This Loop Header: Depth=1
                                        ;     Child Loop BB110_56 Depth 2
	s_ashr_i32 s3, s2, 31
	s_lshl_b64 s[6:7], s[2:3], 3
	v_mov_b32_e32 v1, s7
	v_add_co_u32_e32 v0, vcc, s6, v64
	v_addc_co_u32_e32 v1, vcc, v65, v1, vcc
	global_load_dwordx2 v[2:3], v[0:1], off
	v_mov_b32_e32 v4, v64
	s_cmp_eq_u32 s2, 0
	v_mov_b32_e32 v5, v65
	s_mov_b32 s3, s4
	s_mov_b32 s5, s2
	s_waitcnt vmcnt(0)
	v_mul_f64 v[2:3], s[0:1], v[2:3]
	s_cbranch_scc1 .LBB110_54
.LBB110_56:                             ;   Parent Loop BB110_55 Depth=1
                                        ; =>  This Inner Loop Header: Depth=2
	global_load_dwordx2 v[6:7], v[4:5], off
	v_mov_b32_e32 v8, s3
	ds_read_b64 v[8:9], v8
	s_add_i32 s5, s5, -1
	s_addk_i32 s3, 0x200
	v_add_co_u32_e32 v4, vcc, 8, v4
	s_cmp_lg_u32 s5, 0
	v_addc_co_u32_e32 v5, vcc, 0, v5, vcc
	s_waitcnt vmcnt(0) lgkmcnt(0)
	v_fma_f64 v[2:3], -v[6:7], v[8:9], v[2:3]
	s_cbranch_scc1 .LBB110_56
	s_branch .LBB110_54
.LBB110_57:
	s_endpgm
	.section	.rodata,"a",@progbits
	.p2align	6, 0x0
	.amdhsa_kernel _ZL30rocblas_trsm_small_left_deviceILi64ELi32ELb1EddPKdPdEv13rocblas_fill_18rocblas_operation_17rocblas_diagonal_iiT3_T4_lilT5_lili
		.amdhsa_group_segment_fixed_size 32768
		.amdhsa_private_segment_fixed_size 0
		.amdhsa_kernarg_size 360
		.amdhsa_user_sgpr_count 6
		.amdhsa_user_sgpr_private_segment_buffer 1
		.amdhsa_user_sgpr_dispatch_ptr 0
		.amdhsa_user_sgpr_queue_ptr 0
		.amdhsa_user_sgpr_kernarg_segment_ptr 1
		.amdhsa_user_sgpr_dispatch_id 0
		.amdhsa_user_sgpr_flat_scratch_init 0
		.amdhsa_user_sgpr_private_segment_size 0
		.amdhsa_uses_dynamic_stack 0
		.amdhsa_system_sgpr_private_segment_wavefront_offset 0
		.amdhsa_system_sgpr_workgroup_id_x 1
		.amdhsa_system_sgpr_workgroup_id_y 0
		.amdhsa_system_sgpr_workgroup_id_z 1
		.amdhsa_system_sgpr_workgroup_info 0
		.amdhsa_system_vgpr_workitem_id 0
		.amdhsa_next_free_vgpr 195
		.amdhsa_next_free_sgpr 98
		.amdhsa_reserve_vcc 1
		.amdhsa_reserve_flat_scratch 0
		.amdhsa_float_round_mode_32 0
		.amdhsa_float_round_mode_16_64 0
		.amdhsa_float_denorm_mode_32 3
		.amdhsa_float_denorm_mode_16_64 3
		.amdhsa_dx10_clamp 1
		.amdhsa_ieee_mode 1
		.amdhsa_fp16_overflow 0
		.amdhsa_exception_fp_ieee_invalid_op 0
		.amdhsa_exception_fp_denorm_src 0
		.amdhsa_exception_fp_ieee_div_zero 0
		.amdhsa_exception_fp_ieee_overflow 0
		.amdhsa_exception_fp_ieee_underflow 0
		.amdhsa_exception_fp_ieee_inexact 0
		.amdhsa_exception_int_div_zero 0
	.end_amdhsa_kernel
	.section	.text._ZL30rocblas_trsm_small_left_deviceILi64ELi32ELb1EddPKdPdEv13rocblas_fill_18rocblas_operation_17rocblas_diagonal_iiT3_T4_lilT5_lili,"axG",@progbits,_ZL30rocblas_trsm_small_left_deviceILi64ELi32ELb1EddPKdPdEv13rocblas_fill_18rocblas_operation_17rocblas_diagonal_iiT3_T4_lilT5_lili,comdat
.Lfunc_end110:
	.size	_ZL30rocblas_trsm_small_left_deviceILi64ELi32ELb1EddPKdPdEv13rocblas_fill_18rocblas_operation_17rocblas_diagonal_iiT3_T4_lilT5_lili, .Lfunc_end110-_ZL30rocblas_trsm_small_left_deviceILi64ELi32ELb1EddPKdPdEv13rocblas_fill_18rocblas_operation_17rocblas_diagonal_iiT3_T4_lilT5_lili
                                        ; -- End function
	.set _ZL30rocblas_trsm_small_left_deviceILi64ELi32ELb1EddPKdPdEv13rocblas_fill_18rocblas_operation_17rocblas_diagonal_iiT3_T4_lilT5_lili.num_vgpr, 195
	.set _ZL30rocblas_trsm_small_left_deviceILi64ELi32ELb1EddPKdPdEv13rocblas_fill_18rocblas_operation_17rocblas_diagonal_iiT3_T4_lilT5_lili.num_agpr, 0
	.set _ZL30rocblas_trsm_small_left_deviceILi64ELi32ELb1EddPKdPdEv13rocblas_fill_18rocblas_operation_17rocblas_diagonal_iiT3_T4_lilT5_lili.numbered_sgpr, 38
	.set _ZL30rocblas_trsm_small_left_deviceILi64ELi32ELb1EddPKdPdEv13rocblas_fill_18rocblas_operation_17rocblas_diagonal_iiT3_T4_lilT5_lili.num_named_barrier, 0
	.set _ZL30rocblas_trsm_small_left_deviceILi64ELi32ELb1EddPKdPdEv13rocblas_fill_18rocblas_operation_17rocblas_diagonal_iiT3_T4_lilT5_lili.private_seg_size, 0
	.set _ZL30rocblas_trsm_small_left_deviceILi64ELi32ELb1EddPKdPdEv13rocblas_fill_18rocblas_operation_17rocblas_diagonal_iiT3_T4_lilT5_lili.uses_vcc, 1
	.set _ZL30rocblas_trsm_small_left_deviceILi64ELi32ELb1EddPKdPdEv13rocblas_fill_18rocblas_operation_17rocblas_diagonal_iiT3_T4_lilT5_lili.uses_flat_scratch, 0
	.set _ZL30rocblas_trsm_small_left_deviceILi64ELi32ELb1EddPKdPdEv13rocblas_fill_18rocblas_operation_17rocblas_diagonal_iiT3_T4_lilT5_lili.has_dyn_sized_stack, 0
	.set _ZL30rocblas_trsm_small_left_deviceILi64ELi32ELb1EddPKdPdEv13rocblas_fill_18rocblas_operation_17rocblas_diagonal_iiT3_T4_lilT5_lili.has_recursion, 0
	.set _ZL30rocblas_trsm_small_left_deviceILi64ELi32ELb1EddPKdPdEv13rocblas_fill_18rocblas_operation_17rocblas_diagonal_iiT3_T4_lilT5_lili.has_indirect_call, 0
	.section	.AMDGPU.csdata,"",@progbits
; Kernel info:
; codeLenInByte = 23432
; TotalNumSgprs: 42
; NumVgprs: 195
; ScratchSize: 0
; MemoryBound: 1
; FloatMode: 240
; IeeeMode: 1
; LDSByteSize: 32768 bytes/workgroup (compile time only)
; SGPRBlocks: 12
; VGPRBlocks: 48
; NumSGPRsForWavesPerEU: 102
; NumVGPRsForWavesPerEU: 195
; Occupancy: 1
; WaveLimiterHint : 0
; COMPUTE_PGM_RSRC2:SCRATCH_EN: 0
; COMPUTE_PGM_RSRC2:USER_SGPR: 6
; COMPUTE_PGM_RSRC2:TRAP_HANDLER: 0
; COMPUTE_PGM_RSRC2:TGID_X_EN: 1
; COMPUTE_PGM_RSRC2:TGID_Y_EN: 0
; COMPUTE_PGM_RSRC2:TGID_Z_EN: 1
; COMPUTE_PGM_RSRC2:TIDIG_COMP_CNT: 0
	.section	.text._ZL31rocblas_trsm_small_right_deviceIddPKdPdLi64EEv13rocblas_fill_18rocblas_operation_17rocblas_diagonal_iiT0_T1_lilT2_lili,"axG",@progbits,_ZL31rocblas_trsm_small_right_deviceIddPKdPdLi64EEv13rocblas_fill_18rocblas_operation_17rocblas_diagonal_iiT0_T1_lilT2_lili,comdat
	.globl	_ZL31rocblas_trsm_small_right_deviceIddPKdPdLi64EEv13rocblas_fill_18rocblas_operation_17rocblas_diagonal_iiT0_T1_lilT2_lili ; -- Begin function _ZL31rocblas_trsm_small_right_deviceIddPKdPdLi64EEv13rocblas_fill_18rocblas_operation_17rocblas_diagonal_iiT0_T1_lilT2_lili
	.p2align	8
	.type	_ZL31rocblas_trsm_small_right_deviceIddPKdPdLi64EEv13rocblas_fill_18rocblas_operation_17rocblas_diagonal_iiT0_T1_lilT2_lili,@function
_ZL31rocblas_trsm_small_right_deviceIddPKdPdLi64EEv13rocblas_fill_18rocblas_operation_17rocblas_diagonal_iiT0_T1_lilT2_lili: ; @_ZL31rocblas_trsm_small_right_deviceIddPKdPdLi64EEv13rocblas_fill_18rocblas_operation_17rocblas_diagonal_iiT0_T1_lilT2_lili
; %bb.0:
	s_load_dwordx4 s[8:11], s[4:5], 0x0
	s_load_dword s22, s[4:5], 0x10
	s_load_dwordx4 s[12:15], s[4:5], 0x18
	s_load_dwordx2 s[20:21], s[4:5], 0x28
	s_load_dwordx4 s[0:3], s[4:5], 0x38
	s_load_dwordx2 s[16:17], s[4:5], 0x48
	s_waitcnt lgkmcnt(0)
	s_min_i32 s23, s22, 64
	v_cmp_gt_i32_e32 vcc, s23, v0
	s_and_saveexec_b64 s[18:19], vcc
	s_cbranch_execz .LBB111_5
; %bb.1:
	s_load_dword s24, s[4:5], 0x30
	s_mul_i32 s1, s1, s7
	s_mul_hi_u32 s25, s0, s7
	s_mul_i32 s0, s0, s7
	s_add_i32 s1, s25, s1
	s_waitcnt lgkmcnt(0)
	s_ashr_i32 s25, s24, 31
	s_lshl_b64 s[0:1], s[0:1], 3
	s_add_u32 s14, s14, s0
	s_addc_u32 s15, s15, s1
	s_lshl_b64 s[0:1], s[20:21], 3
	s_add_u32 s0, s14, s0
	s_addc_u32 s1, s15, s1
	v_lshlrev_b32_e32 v3, 3, v0
	v_mov_b32_e32 v2, s1
	v_add_co_u32_e32 v1, vcc, s0, v3
	s_lshl_b64 s[0:1], s[24:25], 3
	v_addc_co_u32_e32 v2, vcc, 0, v2, vcc
	v_mov_b32_e32 v4, s1
	v_mov_b32_e32 v5, v3
	s_mov_b32 s1, s23
.LBB111_2:                              ; =>This Inner Loop Header: Depth=1
	global_load_dwordx2 v[6:7], v[1:2], off
	v_add_co_u32_e32 v1, vcc, s0, v1
	s_add_i32 s1, s1, -1
	v_addc_co_u32_e32 v2, vcc, v2, v4, vcc
	s_cmp_eq_u32 s1, 0
	s_waitcnt vmcnt(0)
	ds_write_b64 v5, v[6:7]
	v_add_u32_e32 v5, 0x200, v5
	s_cbranch_scc0 .LBB111_2
; %bb.3:
	s_cmpk_eq_i32 s10, 0x84
	s_cbranch_scc0 .LBB111_5
; %bb.4:
	v_lshl_or_b32 v3, v0, 9, v3
	v_mov_b32_e32 v1, 0
	v_mov_b32_e32 v2, 0x3ff00000
	ds_write_b64 v3, v[1:2]
.LBB111_5:
	s_or_b64 exec, exec, s[18:19]
	s_load_dword s0, s[4:5], 0x68
	s_load_dwordx2 s[14:15], s[4:5], 0x58
	s_load_dword s10, s[4:5], 0x50
	s_waitcnt lgkmcnt(0)
	s_mul_i32 s1, s15, s7
	s_mul_hi_u32 s5, s14, s7
	s_mul_i32 s4, s14, s7
	s_add_i32 s5, s5, s1
	s_lshl_b64 s[4:5], s[4:5], 3
	s_add_u32 s1, s2, s4
	s_addc_u32 s4, s3, s5
	s_lshl_b64 s[2:3], s[16:17], 3
	s_add_u32 s2, s1, s2
	s_addc_u32 s3, s4, s3
	s_lshl_b32 s1, s6, 6
	s_add_i32 s0, s0, -1
	s_sub_i32 s1, s11, s1
	s_cmp_ge_u32 s6, s0
	s_cselect_b32 s4, s1, 64
	s_ashr_i32 s7, s6, 31
	s_lshl_b64 s[0:1], s[6:7], 9
	s_add_u32 s14, s2, s0
	s_addc_u32 s15, s3, s1
	v_cmp_gt_i32_e64 s[0:1], s4, v0
	s_and_saveexec_b64 s[2:3], s[0:1]
	s_cbranch_execz .LBB111_9
; %bb.6:
	s_cmp_lt_i32 s22, 1
	s_cbranch_scc1 .LBB111_9
; %bb.7:
	s_ashr_i32 s11, s10, 31
	v_lshlrev_b32_e32 v3, 3, v0
	v_mov_b32_e32 v2, s15
	v_add_co_u32_e32 v1, vcc, s14, v3
	s_lshl_b64 s[4:5], s[10:11], 3
	v_addc_co_u32_e32 v2, vcc, 0, v2, vcc
	v_or_b32_e32 v3, 0x8000, v3
	v_mov_b32_e32 v4, s5
	s_mov_b32 s5, s22
.LBB111_8:                              ; =>This Inner Loop Header: Depth=1
	global_load_dwordx2 v[5:6], v[1:2], off
	s_add_i32 s5, s5, -1
	v_add_co_u32_e32 v1, vcc, s4, v1
	v_addc_co_u32_e32 v2, vcc, v2, v4, vcc
	s_cmp_lg_u32 s5, 0
	s_waitcnt vmcnt(0)
	v_mul_f64 v[5:6], s[12:13], v[5:6]
	ds_write_b64 v3, v[5:6]
	v_add_u32_e32 v3, 0x200, v3
	s_cbranch_scc1 .LBB111_8
.LBB111_9:
	s_or_b64 exec, exec, s[2:3]
	s_cmpk_eq_i32 s9, 0x6f
	s_cselect_b64 s[2:3], -1, 0
	s_cmpk_lg_i32 s8, 0x79
	s_cselect_b64 s[4:5], -1, 0
	s_cmpk_eq_i32 s8, 0x79
	s_cselect_b64 s[6:7], -1, 0
	s_and_b64 s[6:7], s[6:7], s[2:3]
	s_andn2_b64 vcc, exec, s[6:7]
	s_mov_b64 s[6:7], -1
	s_waitcnt lgkmcnt(0)
	; wave barrier
	s_cbranch_vccz .LBB111_66
; %bb.10:
	s_cmpk_lg_i32 s8, 0x7a
	s_cselect_b64 s[12:13], -1, 0
	s_xor_b64 s[2:3], s[2:3], -1
	s_add_i32 s8, s23, -1
	s_or_b64 s[12:13], s[12:13], s[2:3]
	v_mov_b32_e32 v1, 0x8000
	s_cmp_gt_i32 s22, 3
	v_lshl_or_b32 v9, v0, 3, v1
	s_cselect_b64 s[2:3], -1, 0
	s_and_b64 vcc, exec, s[12:13]
	s_cbranch_vccz .LBB111_45
; %bb.11:
	s_andn2_b64 vcc, exec, s[4:5]
	s_mov_b64 s[4:5], -1
	s_cbranch_vccnz .LBB111_24
; %bb.12:
	s_andn2_b64 vcc, exec, s[2:3]
	s_mov_b32 s6, 0
	s_cbranch_vccnz .LBB111_18
; %bb.13:
	v_mov_b32_e32 v1, 0x8000
	v_lshl_or_b32 v10, v0, 3, v1
	s_mov_b32 s4, 0
	s_mov_b32 s5, 0
.LBB111_14:                             ; =>This Loop Header: Depth=1
                                        ;     Child Loop BB111_15 Depth 2
	s_lshl_b32 s7, s5, 9
	s_or_b32 s6, s5, 1
	v_add_u32_e32 v11, s7, v9
	v_lshl_add_u32 v13, s6, 9, v9
	s_or_b32 s9, s7, 0x600
	ds_read2st64_b64 v[1:4], v11 offset1:2
	v_add_u32_e32 v12, s9, v9
	ds_read_b64 v[7:8], v13
	ds_read_b64 v[5:6], v12
	s_cmp_eq_u32 s5, 0
	v_mov_b32_e32 v14, v10
	s_mov_b32 s9, s4
	s_mov_b32 s11, s5
	s_cbranch_scc1 .LBB111_16
.LBB111_15:                             ;   Parent Loop BB111_14 Depth=1
                                        ; =>  This Inner Loop Header: Depth=2
	v_mov_b32_e32 v19, s9
	ds_read_b64 v[23:24], v14
	ds_read_b128 v[15:18], v19
	ds_read_b128 v[19:22], v19 offset:16
	s_add_i32 s11, s11, -1
	s_addk_i32 s9, 0x200
	s_cmp_eq_u32 s11, 0
	s_waitcnt lgkmcnt(1)
	v_fma_f64 v[1:2], -v[23:24], v[15:16], v[1:2]
	v_fma_f64 v[7:8], -v[23:24], v[17:18], v[7:8]
	s_waitcnt lgkmcnt(0)
	v_fma_f64 v[3:4], -v[23:24], v[19:20], v[3:4]
	v_fma_f64 v[5:6], -v[23:24], v[21:22], v[5:6]
	v_add_u32_e32 v14, 0x200, v14
	s_cbranch_scc0 .LBB111_15
.LBB111_16:                             ;   in Loop: Header=BB111_14 Depth=1
	s_lshl_b32 s9, s5, 3
	s_add_i32 s7, s9, s7
	v_mov_b32_e32 v35, s7
	ds_read_b128 v[15:18], v35
	ds_read_b128 v[19:22], v35 offset:16
	s_lshl_b32 s6, s6, 3
	s_addk_i32 s7, 0x208
	s_sub_i32 s6, s7, s6
	s_waitcnt lgkmcnt(1)
	v_div_scale_f64 v[23:24], s[12:13], v[15:16], v[15:16], v[1:2]
	s_add_i32 s6, s6, s9
	s_add_i32 s4, s4, 32
	v_add_u32_e32 v14, 0x400, v11
	v_rcp_f64_e32 v[25:26], v[23:24]
	v_fma_f64 v[27:28], -v[23:24], v[25:26], 1.0
	v_fma_f64 v[25:26], v[25:26], v[27:28], v[25:26]
	v_div_scale_f64 v[27:28], vcc, v[1:2], v[15:16], v[1:2]
	v_fma_f64 v[29:30], -v[23:24], v[25:26], 1.0
	v_fma_f64 v[25:26], v[25:26], v[29:30], v[25:26]
	v_mul_f64 v[29:30], v[27:28], v[25:26]
	v_fma_f64 v[23:24], -v[23:24], v[29:30], v[27:28]
	v_div_fmas_f64 v[23:24], v[23:24], v[25:26], v[29:30]
	v_div_fixup_f64 v[1:2], v[23:24], v[15:16], v[1:2]
	v_fma_f64 v[7:8], -v[1:2], v[17:18], v[7:8]
	ds_read2_b64 v[15:18], v35 offset0:65 offset1:66
	ds_read_b128 v[23:26], v35 offset:1040
	s_waitcnt lgkmcnt(2)
	v_fma_f64 v[3:4], -v[1:2], v[19:20], v[3:4]
	v_fma_f64 v[5:6], -v[1:2], v[21:22], v[5:6]
	s_waitcnt lgkmcnt(1)
	v_div_scale_f64 v[27:28], s[12:13], v[15:16], v[15:16], v[7:8]
	v_rcp_f64_e32 v[29:30], v[27:28]
	v_fma_f64 v[31:32], -v[27:28], v[29:30], 1.0
	v_fma_f64 v[29:30], v[29:30], v[31:32], v[29:30]
	v_div_scale_f64 v[31:32], vcc, v[7:8], v[15:16], v[7:8]
	v_fma_f64 v[33:34], -v[27:28], v[29:30], 1.0
	v_fma_f64 v[29:30], v[29:30], v[33:34], v[29:30]
	v_mul_f64 v[33:34], v[31:32], v[29:30]
	v_fma_f64 v[27:28], -v[27:28], v[33:34], v[31:32]
	v_div_fmas_f64 v[27:28], v[27:28], v[29:30], v[33:34]
	v_div_fixup_f64 v[7:8], v[27:28], v[15:16], v[7:8]
	v_fma_f64 v[3:4], -v[7:8], v[17:18], v[3:4]
	s_waitcnt lgkmcnt(0)
	v_div_scale_f64 v[15:16], s[12:13], v[23:24], v[23:24], v[3:4]
	v_rcp_f64_e32 v[17:18], v[15:16]
	v_fma_f64 v[19:20], -v[15:16], v[17:18], 1.0
	v_fma_f64 v[17:18], v[17:18], v[19:20], v[17:18]
	v_div_scale_f64 v[19:20], vcc, v[3:4], v[23:24], v[3:4]
	v_fma_f64 v[27:28], -v[15:16], v[17:18], 1.0
	v_fma_f64 v[17:18], v[17:18], v[27:28], v[17:18]
	v_mul_f64 v[27:28], v[19:20], v[17:18]
	v_fma_f64 v[15:16], -v[15:16], v[27:28], v[19:20]
	v_div_fmas_f64 v[15:16], v[15:16], v[17:18], v[27:28]
	v_mov_b32_e32 v17, s6
	ds_read_b64 v[17:18], v17 offset:24
	ds_read_b64 v[19:20], v35 offset:1560
	s_waitcnt lgkmcnt(1)
	v_fma_f64 v[5:6], -v[7:8], v[17:18], v[5:6]
	v_div_fixup_f64 v[3:4], v[15:16], v[23:24], v[3:4]
	ds_write_b64 v11, v[1:2]
	ds_write_b64 v13, v[7:8]
	;; [unrolled: 1-line block ×3, first 2 shown]
	v_fma_f64 v[5:6], -v[3:4], v[25:26], v[5:6]
	s_waitcnt lgkmcnt(3)
	v_div_scale_f64 v[15:16], s[6:7], v[19:20], v[19:20], v[5:6]
	v_div_scale_f64 v[23:24], vcc, v[5:6], v[19:20], v[5:6]
	s_add_i32 s6, s5, 4
	s_add_i32 s5, s5, 7
	s_cmp_ge_i32 s5, s23
	v_rcp_f64_e32 v[17:18], v[15:16]
	v_fma_f64 v[21:22], -v[15:16], v[17:18], 1.0
	v_fma_f64 v[17:18], v[17:18], v[21:22], v[17:18]
	v_fma_f64 v[21:22], -v[15:16], v[17:18], 1.0
	v_fma_f64 v[17:18], v[17:18], v[21:22], v[17:18]
	v_mul_f64 v[21:22], v[23:24], v[17:18]
	v_fma_f64 v[15:16], -v[15:16], v[21:22], v[23:24]
	v_div_fmas_f64 v[15:16], v[15:16], v[17:18], v[21:22]
	v_div_fixup_f64 v[5:6], v[15:16], v[19:20], v[5:6]
	ds_write_b64 v12, v[5:6]
	s_cbranch_scc1 .LBB111_18
; %bb.17:                               ;   in Loop: Header=BB111_14 Depth=1
	s_mov_b32 s5, s6
	s_branch .LBB111_14
.LBB111_18:
	s_cmp_ge_i32 s6, s23
	s_cbranch_scc1 .LBB111_23
; %bb.19:
	v_mov_b32_e32 v1, 0x8000
	s_lshl_b32 s4, s6, 3
	v_lshl_or_b32 v3, v0, 3, v1
	s_branch .LBB111_21
.LBB111_20:                             ;   in Loop: Header=BB111_21 Depth=1
	s_lshl_b32 s7, s6, 3
	s_add_i32 s5, s7, s5
	v_mov_b32_e32 v5, s5
	ds_read_b64 v[5:6], v5
	s_add_i32 s6, s6, 1
	s_add_i32 s4, s4, 8
	s_cmp_ge_i32 s6, s23
	s_waitcnt lgkmcnt(0)
	v_div_scale_f64 v[7:8], s[12:13], v[5:6], v[5:6], v[1:2]
	v_div_scale_f64 v[14:15], vcc, v[1:2], v[5:6], v[1:2]
	v_rcp_f64_e32 v[10:11], v[7:8]
	v_fma_f64 v[12:13], -v[7:8], v[10:11], 1.0
	v_fma_f64 v[10:11], v[10:11], v[12:13], v[10:11]
	v_fma_f64 v[12:13], -v[7:8], v[10:11], 1.0
	v_fma_f64 v[10:11], v[10:11], v[12:13], v[10:11]
	v_mul_f64 v[12:13], v[14:15], v[10:11]
	v_fma_f64 v[7:8], -v[7:8], v[12:13], v[14:15]
	v_div_fmas_f64 v[7:8], v[7:8], v[10:11], v[12:13]
	v_div_fixup_f64 v[1:2], v[7:8], v[5:6], v[1:2]
	ds_write_b64 v4, v[1:2]
	s_cbranch_scc1 .LBB111_23
.LBB111_21:                             ; =>This Loop Header: Depth=1
                                        ;     Child Loop BB111_22 Depth 2
	s_lshl_b32 s5, s6, 9
	v_add_u32_e32 v4, s5, v9
	ds_read_b64 v[1:2], v4
	s_cmp_eq_u32 s6, 0
	v_mov_b32_e32 v5, v3
	s_mov_b32 s7, s4
	s_mov_b32 s9, s6
	s_cbranch_scc1 .LBB111_20
.LBB111_22:                             ;   Parent Loop BB111_21 Depth=1
                                        ; =>  This Inner Loop Header: Depth=2
	v_mov_b32_e32 v8, s7
	ds_read_b64 v[6:7], v5
	ds_read_b64 v[10:11], v8
	s_add_i32 s9, s9, -1
	s_addk_i32 s7, 0x200
	s_cmp_eq_u32 s9, 0
	v_add_u32_e32 v5, 0x200, v5
	s_waitcnt lgkmcnt(0)
	v_fma_f64 v[1:2], -v[6:7], v[10:11], v[1:2]
	s_cbranch_scc0 .LBB111_22
	s_branch .LBB111_20
.LBB111_23:
	s_mov_b64 s[4:5], 0
.LBB111_24:
	s_and_b64 vcc, exec, s[4:5]
	s_cbranch_vccz .LBB111_44
; %bb.25:
	s_andn2_b64 vcc, exec, s[2:3]
	s_mov_b32 s6, s8
	s_cbranch_vccnz .LBB111_31
; %bb.26:
	v_lshlrev_b32_e32 v1, 3, v0
	s_mul_i32 s4, s23, 0x208
	v_lshl_or_b32 v1, s23, 9, v1
	s_addk_i32 s4, 0xfde0
	v_add_u32_e32 v10, 0x7e00, v1
	s_mov_b32 s5, s8
.LBB111_27:                             ; =>This Loop Header: Depth=1
                                        ;     Child Loop BB111_28 Depth 2
	s_add_i32 s11, s5, -3
	v_lshl_add_u32 v11, s5, 9, v9
	s_add_i32 s9, s5, -1
	s_add_i32 s6, s5, -2
	s_lshl_b32 s7, s11, 9
	v_lshl_add_u32 v12, s9, 9, v9
	v_lshl_add_u32 v14, s6, 9, v9
	v_add_u32_e32 v13, s7, v9
	ds_read_b64 v[7:8], v11
	ds_read_b64 v[5:6], v12
	;; [unrolled: 1-line block ×4, first 2 shown]
	s_cmp_le_i32 s8, s5
	v_mov_b32_e32 v15, v10
	s_mov_b32 s12, s4
	s_mov_b32 s13, s8
	s_cbranch_scc1 .LBB111_29
.LBB111_28:                             ;   Parent Loop BB111_27 Depth=1
                                        ; =>  This Inner Loop Header: Depth=2
	v_mov_b32_e32 v20, s12
	ds_read_b64 v[24:25], v15
	ds_read2_b64 v[16:19], v20 offset0:2 offset1:3
	ds_read2_b64 v[20:23], v20 offset1:1
	s_add_i32 s13, s13, -1
	s_addk_i32 s12, 0xfe00
	s_cmp_le_i32 s13, s5
	s_waitcnt lgkmcnt(1)
	v_fma_f64 v[7:8], -v[24:25], v[18:19], v[7:8]
	v_fma_f64 v[5:6], -v[24:25], v[16:17], v[5:6]
	s_waitcnt lgkmcnt(0)
	v_fma_f64 v[3:4], -v[24:25], v[22:23], v[3:4]
	v_fma_f64 v[1:2], -v[24:25], v[20:21], v[1:2]
	v_add_u32_e32 v15, 0xfffffe00, v15
	s_cbranch_scc0 .LBB111_28
.LBB111_29:                             ;   in Loop: Header=BB111_27 Depth=1
	s_lshl_b32 s16, s5, 3
	s_lshl_b32 s13, s5, 9
	s_add_i32 s17, s16, s13
	s_add_i32 s13, s17, -8
	v_mov_b32_e32 v15, s13
	ds_read2_b64 v[15:18], v15 offset1:1
	s_lshl_b32 s12, s9, 9
	s_add_i32 s12, s16, s12
	s_add_i32 s18, s12, -8
	v_mov_b32_e32 v19, s18
	ds_read_b64 v[19:20], v19
	s_waitcnt lgkmcnt(1)
	v_div_scale_f64 v[21:22], s[12:13], v[17:18], v[17:18], v[7:8]
	s_lshl_b32 s9, s9, 3
	s_lshl_b32 s11, s11, 3
	s_sub_i32 s9, s18, s9
	s_add_i32 s9, s9, s11
	s_sub_i32 s4, s4, 32
	v_rcp_f64_e32 v[23:24], v[21:22]
	v_fma_f64 v[25:26], -v[21:22], v[23:24], 1.0
	v_fma_f64 v[23:24], v[23:24], v[25:26], v[23:24]
	v_div_scale_f64 v[25:26], vcc, v[7:8], v[17:18], v[7:8]
	v_fma_f64 v[27:28], -v[21:22], v[23:24], 1.0
	v_fma_f64 v[23:24], v[23:24], v[27:28], v[23:24]
	v_mul_f64 v[27:28], v[25:26], v[23:24]
	v_fma_f64 v[21:22], -v[21:22], v[27:28], v[25:26]
	v_div_fmas_f64 v[21:22], v[21:22], v[23:24], v[27:28]
	v_div_fixup_f64 v[21:22], v[21:22], v[17:18], v[7:8]
	v_fma_f64 v[23:24], -v[21:22], v[15:16], v[5:6]
	s_waitcnt lgkmcnt(0)
	v_div_scale_f64 v[5:6], s[12:13], v[19:20], v[19:20], v[23:24]
	s_sub_i32 s12, s17, 24
	v_rcp_f64_e32 v[7:8], v[5:6]
	v_fma_f64 v[15:16], -v[5:6], v[7:8], 1.0
	v_fma_f64 v[7:8], v[7:8], v[15:16], v[7:8]
	v_div_scale_f64 v[15:16], vcc, v[23:24], v[19:20], v[23:24]
	v_fma_f64 v[17:18], -v[5:6], v[7:8], 1.0
	v_fma_f64 v[7:8], v[7:8], v[17:18], v[7:8]
	v_mul_f64 v[17:18], v[15:16], v[7:8]
	v_fma_f64 v[5:6], -v[5:6], v[17:18], v[15:16]
	v_mov_b32_e32 v15, s9
	s_lshl_b32 s9, s6, 9
	s_lshl_b32 s6, s6, 3
	s_add_i32 s9, s16, s9
	s_sub_i32 s6, s9, s6
	s_add_i32 s6, s6, s11
	s_add_i32 s6, s6, -16
	v_div_fmas_f64 v[25:26], v[5:6], v[7:8], v[17:18]
	v_mov_b32_e32 v5, s12
	ds_read2_b64 v[5:8], v5 offset1:1
	ds_read2_b64 v[15:18], v15 offset1:1
	s_add_i32 s16, s16, s7
	s_waitcnt lgkmcnt(1)
	v_fma_f64 v[3:4], -v[21:22], v[7:8], v[3:4]
	v_fma_f64 v[1:2], -v[21:22], v[5:6], v[1:2]
	v_div_fixup_f64 v[7:8], v[25:26], v[19:20], v[23:24]
	s_waitcnt lgkmcnt(0)
	v_fma_f64 v[3:4], -v[7:8], v[17:18], v[3:4]
	v_mov_b32_e32 v17, s6
	ds_read2_b64 v[17:20], v17 offset1:1
	s_sub_i32 s6, s16, 24
	v_mov_b32_e32 v23, s6
	ds_read_b64 v[23:24], v23
	v_fma_f64 v[1:2], -v[7:8], v[15:16], v[1:2]
	s_waitcnt lgkmcnt(1)
	v_div_scale_f64 v[25:26], s[6:7], v[19:20], v[19:20], v[3:4]
	v_rcp_f64_e32 v[27:28], v[25:26]
	v_fma_f64 v[29:30], -v[25:26], v[27:28], 1.0
	v_fma_f64 v[27:28], v[27:28], v[29:30], v[27:28]
	v_div_scale_f64 v[29:30], vcc, v[3:4], v[19:20], v[3:4]
	v_fma_f64 v[31:32], -v[25:26], v[27:28], 1.0
	v_fma_f64 v[27:28], v[27:28], v[31:32], v[27:28]
	v_mul_f64 v[31:32], v[29:30], v[27:28]
	v_fma_f64 v[25:26], -v[25:26], v[31:32], v[29:30]
	v_div_fmas_f64 v[25:26], v[25:26], v[27:28], v[31:32]
	v_div_fixup_f64 v[3:4], v[25:26], v[19:20], v[3:4]
	ds_write_b64 v11, v[21:22]
	ds_write_b64 v12, v[7:8]
	;; [unrolled: 1-line block ×3, first 2 shown]
	v_fma_f64 v[1:2], -v[3:4], v[17:18], v[1:2]
	s_waitcnt lgkmcnt(3)
	v_div_scale_f64 v[5:6], s[6:7], v[23:24], v[23:24], v[1:2]
	v_div_scale_f64 v[19:20], vcc, v[1:2], v[23:24], v[1:2]
	s_add_i32 s6, s5, -4
	s_cmp_lt_i32 s5, 7
	v_rcp_f64_e32 v[15:16], v[5:6]
	v_fma_f64 v[17:18], -v[5:6], v[15:16], 1.0
	v_fma_f64 v[15:16], v[15:16], v[17:18], v[15:16]
	v_fma_f64 v[17:18], -v[5:6], v[15:16], 1.0
	v_fma_f64 v[15:16], v[15:16], v[17:18], v[15:16]
	v_mul_f64 v[17:18], v[19:20], v[15:16]
	v_fma_f64 v[5:6], -v[5:6], v[17:18], v[19:20]
	v_div_fmas_f64 v[5:6], v[5:6], v[15:16], v[17:18]
	v_div_fixup_f64 v[1:2], v[5:6], v[23:24], v[1:2]
	ds_write_b64 v13, v[1:2]
	s_cbranch_scc1 .LBB111_31
; %bb.30:                               ;   in Loop: Header=BB111_27 Depth=1
	s_mov_b32 s5, s6
	s_branch .LBB111_27
.LBB111_31:
	s_cmp_lt_i32 s6, 0
	s_cbranch_scc1 .LBB111_44
; %bb.32:
	s_bitcmp1_b32 s6, 0
	s_cselect_b64 s[4:5], -1, 0
	s_and_b64 vcc, exec, s[4:5]
	s_mov_b32 s4, s6
	s_cbranch_vccnz .LBB111_37
; %bb.33:
	s_lshl_b32 s4, s6, 9
	v_add_u32_e32 v3, s4, v9
	ds_read_b64 v[1:2], v3
	s_cmp_le_i32 s8, s6
	s_cbranch_scc1 .LBB111_36
; %bb.34:
	s_lshl_b32 s7, s23, 9
	s_lshl_b32 s5, s6, 3
	s_add_i32 s5, s7, s5
	v_lshl_or_b32 v4, v0, 3, s7
	s_addk_i32 s5, 0xfe00
	v_add_u32_e32 v4, 0x7e00, v4
	s_mov_b32 s7, s8
.LBB111_35:                             ; =>This Inner Loop Header: Depth=1
	v_mov_b32_e32 v7, s5
	ds_read_b64 v[5:6], v4
	ds_read_b64 v[7:8], v7
	s_add_i32 s7, s7, -1
	s_addk_i32 s5, 0xfe00
	s_cmp_gt_u32 s7, s6
	v_add_u32_e32 v4, 0xfffffe00, v4
	s_waitcnt lgkmcnt(0)
	v_fma_f64 v[1:2], -v[5:6], v[7:8], v[1:2]
	s_cbranch_scc1 .LBB111_35
.LBB111_36:
	s_lshl_b32 s5, s6, 3
	s_add_i32 s4, s5, s4
	v_mov_b32_e32 v4, s4
	ds_read_b64 v[4:5], v4
	s_waitcnt lgkmcnt(0)
	v_div_scale_f64 v[6:7], s[4:5], v[4:5], v[4:5], v[1:2]
	s_add_i32 s4, s6, -1
	v_rcp_f64_e32 v[10:11], v[6:7]
	v_fma_f64 v[12:13], -v[6:7], v[10:11], 1.0
	v_fma_f64 v[10:11], v[10:11], v[12:13], v[10:11]
	v_div_scale_f64 v[12:13], vcc, v[1:2], v[4:5], v[1:2]
	v_fma_f64 v[14:15], -v[6:7], v[10:11], 1.0
	v_fma_f64 v[10:11], v[10:11], v[14:15], v[10:11]
	v_mul_f64 v[14:15], v[12:13], v[10:11]
	v_fma_f64 v[6:7], -v[6:7], v[14:15], v[12:13]
	v_div_fmas_f64 v[6:7], v[6:7], v[10:11], v[14:15]
	v_div_fixup_f64 v[1:2], v[6:7], v[4:5], v[1:2]
	ds_write_b64 v3, v[1:2]
.LBB111_37:
	s_cmp_eq_u32 s6, 0
	s_cbranch_scc1 .LBB111_44
; %bb.38:
	s_lshl_b32 s6, s23, 9
	s_lshl_b32 s5, s4, 3
	s_add_i32 s7, s6, s5
	v_lshl_or_b32 v1, v0, 3, s6
	s_add_i32 s5, s7, 0xfffffe00
	v_add_u32_e32 v5, 0x7e00, v1
	s_add_i32 s6, s7, 0xfffffdf8
	s_branch .LBB111_40
.LBB111_39:                             ;   in Loop: Header=BB111_40 Depth=1
	s_add_i32 s9, s9, s11
	s_add_i32 s9, s9, -8
	v_mov_b32_e32 v1, s9
	ds_read_b64 v[1:2], v1
	s_add_i32 s4, s4, -2
	s_add_i32 s5, s5, -16
	;; [unrolled: 1-line block ×3, first 2 shown]
	s_cmp_eq_u32 s7, 0
	s_waitcnt lgkmcnt(0)
	v_div_scale_f64 v[10:11], s[12:13], v[1:2], v[1:2], v[3:4]
	v_div_scale_f64 v[16:17], vcc, v[3:4], v[1:2], v[3:4]
	v_rcp_f64_e32 v[12:13], v[10:11]
	v_fma_f64 v[14:15], -v[10:11], v[12:13], 1.0
	v_fma_f64 v[12:13], v[12:13], v[14:15], v[12:13]
	v_fma_f64 v[14:15], -v[10:11], v[12:13], 1.0
	v_fma_f64 v[12:13], v[12:13], v[14:15], v[12:13]
	v_mul_f64 v[14:15], v[16:17], v[12:13]
	v_fma_f64 v[10:11], -v[10:11], v[14:15], v[16:17]
	v_div_fmas_f64 v[10:11], v[10:11], v[12:13], v[14:15]
	v_div_fixup_f64 v[1:2], v[10:11], v[1:2], v[3:4]
	ds_write_b64 v7, v[1:2]
	s_cbranch_scc1 .LBB111_44
.LBB111_40:                             ; =>This Loop Header: Depth=1
                                        ;     Child Loop BB111_41 Depth 2
                                        ;     Child Loop BB111_43 Depth 2
	s_lshl_b32 s7, s4, 9
	v_add_u32_e32 v6, s7, v9
	ds_read_b64 v[1:2], v6
	s_cmp_le_i32 s8, s4
	v_mov_b32_e32 v3, v5
	s_mov_b32 s9, s5
	s_mov_b32 s11, s8
	s_cbranch_scc1 .LBB111_42
.LBB111_41:                             ;   Parent Loop BB111_40 Depth=1
                                        ; =>  This Inner Loop Header: Depth=2
	v_mov_b32_e32 v4, s9
	ds_read_b64 v[7:8], v3
	ds_read_b64 v[10:11], v4
	s_add_i32 s11, s11, -1
	s_addk_i32 s9, 0xfe00
	s_cmp_le_u32 s11, s4
	v_add_u32_e32 v3, 0xfffffe00, v3
	s_waitcnt lgkmcnt(0)
	v_fma_f64 v[1:2], -v[7:8], v[10:11], v[1:2]
	s_cbranch_scc0 .LBB111_41
.LBB111_42:                             ;   in Loop: Header=BB111_40 Depth=1
	s_lshl_b32 s9, s4, 3
	s_add_i32 s7, s9, s7
	v_mov_b32_e32 v3, s7
	ds_read_b64 v[10:11], v3
	s_add_i32 s7, s4, -1
	s_lshl_b32 s11, s7, 9
	v_add_u32_e32 v7, s11, v9
	ds_read_b64 v[3:4], v7
	s_waitcnt lgkmcnt(1)
	v_div_scale_f64 v[12:13], s[12:13], v[10:11], v[10:11], v[1:2]
	s_mov_b32 s12, s6
	s_cmp_le_i32 s23, s4
	s_mov_b32 s13, s8
	v_rcp_f64_e32 v[14:15], v[12:13]
	v_fma_f64 v[16:17], -v[12:13], v[14:15], 1.0
	v_fma_f64 v[14:15], v[14:15], v[16:17], v[14:15]
	v_div_scale_f64 v[16:17], vcc, v[1:2], v[10:11], v[1:2]
	v_fma_f64 v[18:19], -v[12:13], v[14:15], 1.0
	v_fma_f64 v[14:15], v[14:15], v[18:19], v[14:15]
	v_mul_f64 v[18:19], v[16:17], v[14:15]
	v_fma_f64 v[12:13], -v[12:13], v[18:19], v[16:17]
	v_div_fmas_f64 v[12:13], v[12:13], v[14:15], v[18:19]
	v_div_fixup_f64 v[10:11], v[12:13], v[10:11], v[1:2]
	v_mov_b32_e32 v1, v5
	ds_write_b64 v6, v[10:11]
	s_cbranch_scc1 .LBB111_39
.LBB111_43:                             ;   Parent Loop BB111_40 Depth=1
                                        ; =>  This Inner Loop Header: Depth=2
	v_mov_b32_e32 v2, s12
	ds_read_b64 v[10:11], v1
	ds_read_b64 v[12:13], v2
	s_add_i32 s13, s13, -1
	s_addk_i32 s12, 0xfe00
	s_cmp_gt_u32 s13, s7
	v_add_u32_e32 v1, 0xfffffe00, v1
	s_waitcnt lgkmcnt(0)
	v_fma_f64 v[3:4], -v[10:11], v[12:13], v[3:4]
	s_cbranch_scc1 .LBB111_43
	s_branch .LBB111_39
.LBB111_44:
	s_mov_b64 s[6:7], 0
.LBB111_45:
	s_andn2_b64 vcc, exec, s[6:7]
	s_cbranch_vccnz .LBB111_65
; %bb.46:
	s_andn2_b64 vcc, exec, s[2:3]
	s_mov_b32 s4, s8
	s_cbranch_vccnz .LBB111_52
; %bb.47:
	v_lshlrev_b32_e32 v1, 3, v0
	v_lshl_or_b32 v1, s23, 9, v1
	s_mul_i32 s2, s23, 0x208
	v_add_u32_e32 v10, 0x7e00, v1
	s_addk_i32 s2, 0xf7f8
	s_mov_b32 s3, s8
.LBB111_48:                             ; =>This Loop Header: Depth=1
                                        ;     Child Loop BB111_49 Depth 2
	v_lshl_add_u32 v11, s3, 9, v9
	s_add_i32 s6, s3, -1
	s_add_i32 s5, s3, -2
	;; [unrolled: 1-line block ×3, first 2 shown]
	v_lshl_add_u32 v12, s6, 9, v9
	v_lshl_add_u32 v14, s5, 9, v9
	;; [unrolled: 1-line block ×3, first 2 shown]
	ds_read_b64 v[7:8], v11
	ds_read_b64 v[5:6], v12
	;; [unrolled: 1-line block ×4, first 2 shown]
	s_cmp_le_i32 s8, s3
	s_mov_b32 s7, s2
	v_mov_b32_e32 v15, v10
	s_mov_b32 s9, s8
	s_cbranch_scc1 .LBB111_50
.LBB111_49:                             ;   Parent Loop BB111_48 Depth=1
                                        ; =>  This Inner Loop Header: Depth=2
	v_mov_b32_e32 v20, s7
	ds_read_b64 v[24:25], v15
	ds_read2st64_b64 v[16:19], v20 offset0:2 offset1:3
	ds_read2st64_b64 v[20:23], v20 offset1:1
	s_add_i32 s9, s9, -1
	s_add_i32 s7, s7, -8
	s_cmp_le_i32 s9, s3
	s_waitcnt lgkmcnt(1)
	v_fma_f64 v[7:8], -v[24:25], v[18:19], v[7:8]
	v_fma_f64 v[5:6], -v[24:25], v[16:17], v[5:6]
	s_waitcnt lgkmcnt(0)
	v_fma_f64 v[3:4], -v[24:25], v[22:23], v[3:4]
	v_fma_f64 v[1:2], -v[24:25], v[20:21], v[1:2]
	v_add_u32_e32 v15, 0xfffffe00, v15
	s_cbranch_scc0 .LBB111_49
.LBB111_50:                             ;   in Loop: Header=BB111_48 Depth=1
	s_mul_i32 s12, s3, 0x208
	v_mov_b32_e32 v15, s12
	ds_read_b64 v[19:20], v15
	s_lshl_b32 s11, s6, 6
	s_lshl_b32 s11, s11, 3
	s_lshl_b32 s6, s6, 3
	s_add_i32 s6, s11, s6
	s_waitcnt lgkmcnt(0)
	v_div_scale_f64 v[21:22], s[12:13], v[19:20], v[19:20], v[7:8]
	v_mov_b32_e32 v15, s6
	ds_read2_b64 v[15:18], v15 offset1:1
	s_lshl_b32 s9, s5, 6
	s_lshl_b32 s6, s9, 3
	;; [unrolled: 1-line block ×3, first 2 shown]
	s_add_i32 s11, s6, s9
	s_lshl_b32 s5, s5, 3
	s_add_i32 s5, s6, s5
	s_lshl_b32 s7, s4, 6
	s_lshl_b32 s4, s4, 3
	s_addk_i32 s2, 0xf800
	v_rcp_f64_e32 v[23:24], v[21:22]
	v_fma_f64 v[25:26], -v[21:22], v[23:24], 1.0
	v_fma_f64 v[23:24], v[23:24], v[25:26], v[23:24]
	v_div_scale_f64 v[25:26], vcc, v[7:8], v[19:20], v[7:8]
	v_fma_f64 v[27:28], -v[21:22], v[23:24], 1.0
	v_fma_f64 v[23:24], v[23:24], v[27:28], v[23:24]
	v_mul_f64 v[27:28], v[25:26], v[23:24]
	v_fma_f64 v[21:22], -v[21:22], v[27:28], v[25:26]
	v_div_fmas_f64 v[21:22], v[21:22], v[23:24], v[27:28]
	v_div_fixup_f64 v[23:24], v[21:22], v[19:20], v[7:8]
	s_waitcnt lgkmcnt(0)
	v_fma_f64 v[17:18], -v[23:24], v[17:18], v[5:6]
	v_div_scale_f64 v[5:6], s[12:13], v[15:16], v[15:16], v[17:18]
	v_rcp_f64_e32 v[7:8], v[5:6]
	v_fma_f64 v[19:20], -v[5:6], v[7:8], 1.0
	v_fma_f64 v[7:8], v[7:8], v[19:20], v[7:8]
	v_div_scale_f64 v[19:20], vcc, v[17:18], v[15:16], v[17:18]
	v_fma_f64 v[21:22], -v[5:6], v[7:8], 1.0
	v_fma_f64 v[7:8], v[7:8], v[21:22], v[7:8]
	v_mul_f64 v[21:22], v[19:20], v[7:8]
	v_fma_f64 v[5:6], -v[5:6], v[21:22], v[19:20]
	v_div_fmas_f64 v[19:20], v[5:6], v[7:8], v[21:22]
	v_mov_b32_e32 v5, s11
	ds_read_b64 v[21:22], v5
	v_mov_b32_e32 v5, s5
	ds_read2_b64 v[5:8], v5 offset1:1
	s_lshl_b32 s5, s7, 3
	s_add_i32 s6, s5, s9
	s_waitcnt lgkmcnt(1)
	v_fma_f64 v[3:4], -v[23:24], v[21:22], v[3:4]
	s_add_i32 s6, s6, -8
	s_add_i32 s4, s5, s4
	v_div_fixup_f64 v[25:26], v[19:20], v[15:16], v[17:18]
	s_waitcnt lgkmcnt(0)
	v_fma_f64 v[3:4], -v[25:26], v[7:8], v[3:4]
	v_div_scale_f64 v[7:8], s[12:13], v[5:6], v[5:6], v[3:4]
	v_rcp_f64_e32 v[15:16], v[7:8]
	v_fma_f64 v[17:18], -v[7:8], v[15:16], 1.0
	v_fma_f64 v[15:16], v[15:16], v[17:18], v[15:16]
	v_div_scale_f64 v[17:18], vcc, v[3:4], v[5:6], v[3:4]
	v_fma_f64 v[19:20], -v[7:8], v[15:16], 1.0
	v_fma_f64 v[15:16], v[15:16], v[19:20], v[15:16]
	v_mul_f64 v[19:20], v[17:18], v[15:16]
	v_fma_f64 v[7:8], -v[7:8], v[19:20], v[17:18]
	v_div_fmas_f64 v[7:8], v[7:8], v[15:16], v[19:20]
	v_mov_b32_e32 v15, s6
	ds_read2_b64 v[15:18], v15 offset1:1
	v_mov_b32_e32 v19, s4
	ds_read2_b64 v[19:22], v19 offset1:1
	s_waitcnt lgkmcnt(1)
	v_fma_f64 v[1:2], -v[23:24], v[17:18], v[1:2]
	v_fma_f64 v[1:2], -v[25:26], v[15:16], v[1:2]
	v_div_fixup_f64 v[3:4], v[7:8], v[5:6], v[3:4]
	ds_write_b64 v11, v[23:24]
	ds_write_b64 v12, v[25:26]
	;; [unrolled: 1-line block ×3, first 2 shown]
	s_waitcnt lgkmcnt(3)
	v_fma_f64 v[1:2], -v[3:4], v[21:22], v[1:2]
	v_div_scale_f64 v[5:6], s[4:5], v[19:20], v[19:20], v[1:2]
	v_div_scale_f64 v[17:18], vcc, v[1:2], v[19:20], v[1:2]
	s_add_i32 s4, s3, -4
	s_cmp_lt_i32 s3, 7
	v_rcp_f64_e32 v[7:8], v[5:6]
	v_fma_f64 v[15:16], -v[5:6], v[7:8], 1.0
	v_fma_f64 v[7:8], v[7:8], v[15:16], v[7:8]
	v_fma_f64 v[15:16], -v[5:6], v[7:8], 1.0
	v_fma_f64 v[7:8], v[7:8], v[15:16], v[7:8]
	v_mul_f64 v[15:16], v[17:18], v[7:8]
	v_fma_f64 v[5:6], -v[5:6], v[15:16], v[17:18]
	v_div_fmas_f64 v[5:6], v[5:6], v[7:8], v[15:16]
	v_div_fixup_f64 v[1:2], v[5:6], v[19:20], v[1:2]
	ds_write_b64 v13, v[1:2]
	s_cbranch_scc1 .LBB111_52
; %bb.51:                               ;   in Loop: Header=BB111_48 Depth=1
	s_mov_b32 s3, s4
	s_branch .LBB111_48
.LBB111_52:
	s_cmp_lt_i32 s4, 0
	s_cbranch_scc1 .LBB111_65
; %bb.53:
	s_bitcmp1_b32 s4, 0
	s_cselect_b64 s[2:3], -1, 0
	s_and_b64 vcc, exec, s[2:3]
	s_mov_b32 s2, s4
	s_cbranch_vccnz .LBB111_58
; %bb.54:
	v_lshl_add_u32 v3, s4, 9, v9
	ds_read_b64 v[1:2], v3
	s_cmp_le_i32 s8, s4
	s_cbranch_scc1 .LBB111_57
; %bb.55:
	s_lshl_b32 s2, s4, 9
	s_lshl_b32 s3, s23, 3
	v_lshlrev_b32_e32 v4, 3, v0
	s_add_i32 s2, s2, s3
	v_lshl_or_b32 v4, s23, 9, v4
	s_add_i32 s2, s2, -8
	v_add_u32_e32 v4, 0x7e00, v4
	s_mov_b32 s3, s8
.LBB111_56:                             ; =>This Inner Loop Header: Depth=1
	v_mov_b32_e32 v7, s2
	ds_read_b64 v[5:6], v4
	ds_read_b64 v[7:8], v7
	s_add_i32 s3, s3, -1
	s_add_i32 s2, s2, -8
	s_cmp_gt_u32 s3, s4
	v_add_u32_e32 v4, 0xfffffe00, v4
	s_waitcnt lgkmcnt(0)
	v_fma_f64 v[1:2], -v[5:6], v[7:8], v[1:2]
	s_cbranch_scc1 .LBB111_56
.LBB111_57:
	s_mul_i32 s2, s4, 0x208
	v_mov_b32_e32 v4, s2
	ds_read_b64 v[4:5], v4
	s_waitcnt lgkmcnt(0)
	v_div_scale_f64 v[6:7], s[2:3], v[4:5], v[4:5], v[1:2]
	s_add_i32 s2, s4, -1
	v_rcp_f64_e32 v[10:11], v[6:7]
	v_fma_f64 v[12:13], -v[6:7], v[10:11], 1.0
	v_fma_f64 v[10:11], v[10:11], v[12:13], v[10:11]
	v_div_scale_f64 v[12:13], vcc, v[1:2], v[4:5], v[1:2]
	v_fma_f64 v[14:15], -v[6:7], v[10:11], 1.0
	v_fma_f64 v[10:11], v[10:11], v[14:15], v[10:11]
	v_mul_f64 v[14:15], v[12:13], v[10:11]
	v_fma_f64 v[6:7], -v[6:7], v[14:15], v[12:13]
	v_div_fmas_f64 v[6:7], v[6:7], v[10:11], v[14:15]
	v_div_fixup_f64 v[1:2], v[6:7], v[4:5], v[1:2]
	ds_write_b64 v3, v[1:2]
.LBB111_58:
	s_cmp_eq_u32 s4, 0
	s_cbranch_scc1 .LBB111_65
; %bb.59:
	v_lshlrev_b32_e32 v1, 3, v0
	s_lshl_b32 s3, s2, 9
	s_lshl_b32 s4, s23, 3
	v_lshl_or_b32 v1, s23, 9, v1
	s_add_i32 s4, s3, s4
	v_add_u32_e32 v5, 0x7e00, v1
	s_add_i32 s3, s4, -8
	s_addk_i32 s4, 0xfdf8
	s_branch .LBB111_61
.LBB111_60:                             ;   in Loop: Header=BB111_61 Depth=1
	s_addk_i32 s6, 0xfdf8
	v_mov_b32_e32 v1, s6
	ds_read_b64 v[1:2], v1
	s_add_i32 s2, s2, -2
	s_addk_i32 s3, 0xfc00
	s_addk_i32 s4, 0xfc00
	s_cmp_eq_u32 s5, 0
	s_waitcnt lgkmcnt(0)
	v_div_scale_f64 v[10:11], s[6:7], v[1:2], v[1:2], v[3:4]
	v_div_scale_f64 v[16:17], vcc, v[3:4], v[1:2], v[3:4]
	v_rcp_f64_e32 v[12:13], v[10:11]
	v_fma_f64 v[14:15], -v[10:11], v[12:13], 1.0
	v_fma_f64 v[12:13], v[12:13], v[14:15], v[12:13]
	v_fma_f64 v[14:15], -v[10:11], v[12:13], 1.0
	v_fma_f64 v[12:13], v[12:13], v[14:15], v[12:13]
	v_mul_f64 v[14:15], v[16:17], v[12:13]
	v_fma_f64 v[10:11], -v[10:11], v[14:15], v[16:17]
	v_div_fmas_f64 v[10:11], v[10:11], v[12:13], v[14:15]
	v_div_fixup_f64 v[1:2], v[10:11], v[1:2], v[3:4]
	ds_write_b64 v7, v[1:2]
	s_cbranch_scc1 .LBB111_65
.LBB111_61:                             ; =>This Loop Header: Depth=1
                                        ;     Child Loop BB111_62 Depth 2
                                        ;     Child Loop BB111_64 Depth 2
	v_lshl_add_u32 v6, s2, 9, v9
	ds_read_b64 v[1:2], v6
	s_cmp_le_i32 s8, s2
	s_mov_b32 s5, s3
	v_mov_b32_e32 v3, v5
	s_mov_b32 s6, s8
	s_cbranch_scc1 .LBB111_63
.LBB111_62:                             ;   Parent Loop BB111_61 Depth=1
                                        ; =>  This Inner Loop Header: Depth=2
	v_mov_b32_e32 v4, s5
	ds_read_b64 v[7:8], v3
	ds_read_b64 v[10:11], v4
	s_add_i32 s6, s6, -1
	s_add_i32 s5, s5, -8
	s_cmp_le_u32 s6, s2
	v_add_u32_e32 v3, 0xfffffe00, v3
	s_waitcnt lgkmcnt(0)
	v_fma_f64 v[1:2], -v[7:8], v[10:11], v[1:2]
	s_cbranch_scc0 .LBB111_62
.LBB111_63:                             ;   in Loop: Header=BB111_61 Depth=1
	s_mul_i32 s6, s2, 0x208
	v_mov_b32_e32 v3, s6
	ds_read_b64 v[10:11], v3
	s_add_i32 s5, s2, -1
	v_lshl_add_u32 v7, s5, 9, v9
	ds_read_b64 v[3:4], v7
	s_mov_b32 s7, s4
	s_waitcnt lgkmcnt(1)
	v_div_scale_f64 v[12:13], s[12:13], v[10:11], v[10:11], v[1:2]
	s_cmp_le_i32 s23, s2
	s_mov_b32 s9, s8
	v_rcp_f64_e32 v[14:15], v[12:13]
	v_fma_f64 v[16:17], -v[12:13], v[14:15], 1.0
	v_fma_f64 v[14:15], v[14:15], v[16:17], v[14:15]
	v_div_scale_f64 v[16:17], vcc, v[1:2], v[10:11], v[1:2]
	v_fma_f64 v[18:19], -v[12:13], v[14:15], 1.0
	v_fma_f64 v[14:15], v[14:15], v[18:19], v[14:15]
	v_mul_f64 v[18:19], v[16:17], v[14:15]
	v_fma_f64 v[12:13], -v[12:13], v[18:19], v[16:17]
	v_div_fmas_f64 v[12:13], v[12:13], v[14:15], v[18:19]
	v_div_fixup_f64 v[10:11], v[12:13], v[10:11], v[1:2]
	v_mov_b32_e32 v1, v5
	ds_write_b64 v6, v[10:11]
	s_cbranch_scc1 .LBB111_60
.LBB111_64:                             ;   Parent Loop BB111_61 Depth=1
                                        ; =>  This Inner Loop Header: Depth=2
	v_mov_b32_e32 v2, s7
	ds_read_b64 v[10:11], v1
	ds_read_b64 v[12:13], v2
	s_add_i32 s9, s9, -1
	s_add_i32 s7, s7, -8
	s_cmp_gt_u32 s9, s5
	v_add_u32_e32 v1, 0xfffffe00, v1
	s_waitcnt lgkmcnt(0)
	v_fma_f64 v[3:4], -v[10:11], v[12:13], v[3:4]
	s_cbranch_scc1 .LBB111_64
	s_branch .LBB111_60
.LBB111_65:
	s_mov_b64 s[6:7], 0
.LBB111_66:
	s_andn2_b64 vcc, exec, s[6:7]
	s_cbranch_vccnz .LBB111_78
; %bb.67:
	v_mov_b32_e32 v1, 0x8000
	v_lshl_or_b32 v9, v0, 3, v1
	s_cmp_lt_i32 s22, 4
	s_mov_b32 s4, 0
	s_cbranch_scc1 .LBB111_73
; %bb.68:
	s_mov_b32 s2, 0
	s_mov_b32 s3, 0
.LBB111_69:                             ; =>This Loop Header: Depth=1
                                        ;     Child Loop BB111_70 Depth 2
	s_or_b32 s5, s3, 3
	v_lshl_add_u32 v10, s3, 9, v9
	s_or_b32 s6, s3, 1
	s_or_b32 s4, s3, 2
	v_lshl_add_u32 v12, s6, 9, v9
	v_lshl_add_u32 v13, s4, 9, v9
	;; [unrolled: 1-line block ×3, first 2 shown]
	ds_read_b64 v[7:8], v10
	ds_read_b64 v[5:6], v12
	ds_read_b64 v[3:4], v13
	ds_read_b64 v[1:2], v11
	s_cmp_eq_u32 s3, 0
	s_mov_b32 s7, s2
	v_mov_b32_e32 v14, v9
	s_mov_b32 s8, s3
	s_cbranch_scc1 .LBB111_71
.LBB111_70:                             ;   Parent Loop BB111_69 Depth=1
                                        ; =>  This Inner Loop Header: Depth=2
	v_mov_b32_e32 v19, s7
	ds_read_b64 v[23:24], v14
	ds_read2st64_b64 v[15:18], v19 offset1:1
	ds_read2st64_b64 v[19:22], v19 offset0:2 offset1:3
	s_add_i32 s8, s8, -1
	s_add_i32 s7, s7, 8
	s_cmp_eq_u32 s8, 0
	s_waitcnt lgkmcnt(1)
	v_fma_f64 v[7:8], -v[23:24], v[15:16], v[7:8]
	v_fma_f64 v[5:6], -v[23:24], v[17:18], v[5:6]
	s_waitcnt lgkmcnt(0)
	v_fma_f64 v[3:4], -v[23:24], v[19:20], v[3:4]
	v_fma_f64 v[1:2], -v[23:24], v[21:22], v[1:2]
	v_add_u32_e32 v14, 0x200, v14
	s_cbranch_scc0 .LBB111_70
.LBB111_71:                             ;   in Loop: Header=BB111_69 Depth=1
	s_mul_i32 s8, s3, 0x208
	v_mov_b32_e32 v14, s8
	ds_read_b64 v[18:19], v14
	s_lshl_b32 s7, s6, 6
	s_lshl_b32 s7, s7, 3
	;; [unrolled: 1-line block ×3, first 2 shown]
	s_add_i32 s7, s7, s11
	s_waitcnt lgkmcnt(0)
	v_div_scale_f64 v[20:21], s[8:9], v[18:19], v[18:19], v[7:8]
	v_mov_b32_e32 v14, s7
	ds_read_b128 v[14:17], v14
	s_lshl_b32 s6, s4, 6
	s_lshl_b32 s6, s6, 3
	s_add_i32 s7, s6, s11
	s_lshl_b32 s4, s4, 3
	s_add_i32 s4, s6, s4
	s_lshl_b32 s5, s5, 6
	s_addk_i32 s2, 0x800
	v_rcp_f64_e32 v[22:23], v[20:21]
	v_fma_f64 v[24:25], -v[20:21], v[22:23], 1.0
	v_fma_f64 v[22:23], v[22:23], v[24:25], v[22:23]
	v_div_scale_f64 v[24:25], vcc, v[7:8], v[18:19], v[7:8]
	v_fma_f64 v[26:27], -v[20:21], v[22:23], 1.0
	v_fma_f64 v[22:23], v[22:23], v[26:27], v[22:23]
	v_mul_f64 v[26:27], v[24:25], v[22:23]
	v_fma_f64 v[20:21], -v[20:21], v[26:27], v[24:25]
	v_div_fmas_f64 v[20:21], v[20:21], v[22:23], v[26:27]
	v_div_fixup_f64 v[18:19], v[20:21], v[18:19], v[7:8]
	s_waitcnt lgkmcnt(0)
	v_fma_f64 v[14:15], -v[18:19], v[14:15], v[5:6]
	v_div_scale_f64 v[5:6], s[8:9], v[16:17], v[16:17], v[14:15]
	v_rcp_f64_e32 v[7:8], v[5:6]
	v_fma_f64 v[20:21], -v[5:6], v[7:8], 1.0
	v_fma_f64 v[7:8], v[7:8], v[20:21], v[7:8]
	v_div_scale_f64 v[20:21], vcc, v[14:15], v[16:17], v[14:15]
	v_fma_f64 v[22:23], -v[5:6], v[7:8], 1.0
	v_fma_f64 v[7:8], v[7:8], v[22:23], v[7:8]
	v_mul_f64 v[22:23], v[20:21], v[7:8]
	v_fma_f64 v[5:6], -v[5:6], v[22:23], v[20:21]
	v_div_fmas_f64 v[20:21], v[5:6], v[7:8], v[22:23]
	v_mov_b32_e32 v5, s7
	ds_read_b128 v[5:8], v5
	v_mov_b32_e32 v22, s4
	ds_read_b64 v[22:23], v22
	s_lshl_b32 s4, s5, 3
	s_add_i32 s4, s4, s11
	s_waitcnt lgkmcnt(1)
	v_fma_f64 v[3:4], -v[18:19], v[5:6], v[3:4]
	v_div_fixup_f64 v[20:21], v[20:21], v[16:17], v[14:15]
	v_fma_f64 v[7:8], -v[20:21], v[7:8], v[3:4]
	s_waitcnt lgkmcnt(0)
	v_div_scale_f64 v[3:4], s[6:7], v[22:23], v[22:23], v[7:8]
	v_rcp_f64_e32 v[5:6], v[3:4]
	v_fma_f64 v[14:15], -v[3:4], v[5:6], 1.0
	v_fma_f64 v[5:6], v[5:6], v[14:15], v[5:6]
	v_div_scale_f64 v[14:15], vcc, v[7:8], v[22:23], v[7:8]
	v_fma_f64 v[16:17], -v[3:4], v[5:6], 1.0
	v_fma_f64 v[5:6], v[5:6], v[16:17], v[5:6]
	v_mul_f64 v[16:17], v[14:15], v[5:6]
	v_fma_f64 v[3:4], -v[3:4], v[16:17], v[14:15]
	v_mov_b32_e32 v14, s4
	v_div_fmas_f64 v[24:25], v[3:4], v[5:6], v[16:17]
	ds_read_b128 v[3:6], v14
	ds_read_b128 v[14:17], v14 offset:16
	s_waitcnt lgkmcnt(1)
	v_fma_f64 v[1:2], -v[18:19], v[3:4], v[1:2]
	v_fma_f64 v[1:2], -v[20:21], v[5:6], v[1:2]
	v_div_fixup_f64 v[3:4], v[24:25], v[22:23], v[7:8]
	ds_write_b64 v10, v[18:19]
	ds_write_b64 v12, v[20:21]
	;; [unrolled: 1-line block ×3, first 2 shown]
	s_waitcnt lgkmcnt(3)
	v_fma_f64 v[1:2], -v[3:4], v[14:15], v[1:2]
	v_div_scale_f64 v[5:6], s[4:5], v[16:17], v[16:17], v[1:2]
	v_div_scale_f64 v[22:23], vcc, v[1:2], v[16:17], v[1:2]
	s_add_i32 s4, s3, 4
	s_add_i32 s3, s3, 7
	s_cmp_ge_i32 s3, s23
	v_rcp_f64_e32 v[7:8], v[5:6]
	v_fma_f64 v[14:15], -v[5:6], v[7:8], 1.0
	v_fma_f64 v[7:8], v[7:8], v[14:15], v[7:8]
	v_fma_f64 v[14:15], -v[5:6], v[7:8], 1.0
	v_fma_f64 v[7:8], v[7:8], v[14:15], v[7:8]
	v_mul_f64 v[14:15], v[22:23], v[7:8]
	v_fma_f64 v[5:6], -v[5:6], v[14:15], v[22:23]
	v_div_fmas_f64 v[5:6], v[5:6], v[7:8], v[14:15]
	v_div_fixup_f64 v[1:2], v[5:6], v[16:17], v[1:2]
	ds_write_b64 v11, v[1:2]
	s_cbranch_scc1 .LBB111_73
; %bb.72:                               ;   in Loop: Header=BB111_69 Depth=1
	s_mov_b32 s3, s4
	s_branch .LBB111_69
.LBB111_73:
	s_cmp_ge_i32 s4, s23
	s_cbranch_scc1 .LBB111_78
; %bb.74:
	v_mov_b32_e32 v1, 0x8000
	v_lshl_or_b32 v3, v0, 3, v1
	s_lshl_b32 s2, s4, 9
	s_branch .LBB111_76
.LBB111_75:                             ;   in Loop: Header=BB111_76 Depth=1
	s_mul_i32 s3, s4, 0x208
	v_mov_b32_e32 v5, s3
	ds_read_b64 v[5:6], v5
	s_add_i32 s4, s4, 1
	s_addk_i32 s2, 0x200
	s_cmp_ge_i32 s4, s23
	s_waitcnt lgkmcnt(0)
	v_div_scale_f64 v[7:8], s[6:7], v[5:6], v[5:6], v[1:2]
	v_div_scale_f64 v[14:15], vcc, v[1:2], v[5:6], v[1:2]
	v_rcp_f64_e32 v[10:11], v[7:8]
	v_fma_f64 v[12:13], -v[7:8], v[10:11], 1.0
	v_fma_f64 v[10:11], v[10:11], v[12:13], v[10:11]
	v_fma_f64 v[12:13], -v[7:8], v[10:11], 1.0
	v_fma_f64 v[10:11], v[10:11], v[12:13], v[10:11]
	v_mul_f64 v[12:13], v[14:15], v[10:11]
	v_fma_f64 v[7:8], -v[7:8], v[12:13], v[14:15]
	v_div_fmas_f64 v[7:8], v[7:8], v[10:11], v[12:13]
	v_div_fixup_f64 v[1:2], v[7:8], v[5:6], v[1:2]
	ds_write_b64 v4, v[1:2]
	s_cbranch_scc1 .LBB111_78
.LBB111_76:                             ; =>This Loop Header: Depth=1
                                        ;     Child Loop BB111_77 Depth 2
	v_lshl_add_u32 v4, s4, 9, v9
	ds_read_b64 v[1:2], v4
	s_cmp_eq_u32 s4, 0
	s_mov_b32 s3, s2
	v_mov_b32_e32 v5, v3
	s_mov_b32 s5, s4
	s_cbranch_scc1 .LBB111_75
.LBB111_77:                             ;   Parent Loop BB111_76 Depth=1
                                        ; =>  This Inner Loop Header: Depth=2
	v_mov_b32_e32 v8, s3
	ds_read_b64 v[6:7], v5
	ds_read_b64 v[10:11], v8
	s_add_i32 s5, s5, -1
	s_add_i32 s3, s3, 8
	s_cmp_eq_u32 s5, 0
	v_add_u32_e32 v5, 0x200, v5
	s_waitcnt lgkmcnt(0)
	v_fma_f64 v[1:2], -v[6:7], v[10:11], v[1:2]
	s_cbranch_scc0 .LBB111_77
	s_branch .LBB111_75
.LBB111_78:
	s_and_saveexec_b64 s[2:3], s[0:1]
	s_cbranch_execz .LBB111_82
; %bb.79:
	s_cmp_lt_i32 s22, 1
	s_cbranch_scc1 .LBB111_82
; %bb.80:
	s_ashr_i32 s11, s10, 31
	v_lshlrev_b32_e32 v2, 3, v0
	v_mov_b32_e32 v1, s15
	v_add_co_u32_e32 v0, vcc, s14, v2
	s_lshl_b64 s[0:1], s[10:11], 3
	v_addc_co_u32_e32 v1, vcc, 0, v1, vcc
	v_or_b32_e32 v2, 0x8000, v2
	v_mov_b32_e32 v3, s1
.LBB111_81:                             ; =>This Inner Loop Header: Depth=1
	ds_read_b64 v[4:5], v2
	s_add_i32 s22, s22, -1
	v_add_u32_e32 v2, 0x200, v2
	s_cmp_lg_u32 s22, 0
	s_waitcnt lgkmcnt(0)
	global_store_dwordx2 v[0:1], v[4:5], off
	v_add_co_u32_e32 v0, vcc, s0, v0
	v_addc_co_u32_e32 v1, vcc, v1, v3, vcc
	s_cbranch_scc1 .LBB111_81
.LBB111_82:
	s_endpgm
	.section	.rodata,"a",@progbits
	.p2align	6, 0x0
	.amdhsa_kernel _ZL31rocblas_trsm_small_right_deviceIddPKdPdLi64EEv13rocblas_fill_18rocblas_operation_17rocblas_diagonal_iiT0_T1_lilT2_lili
		.amdhsa_group_segment_fixed_size 65536
		.amdhsa_private_segment_fixed_size 0
		.amdhsa_kernarg_size 360
		.amdhsa_user_sgpr_count 6
		.amdhsa_user_sgpr_private_segment_buffer 1
		.amdhsa_user_sgpr_dispatch_ptr 0
		.amdhsa_user_sgpr_queue_ptr 0
		.amdhsa_user_sgpr_kernarg_segment_ptr 1
		.amdhsa_user_sgpr_dispatch_id 0
		.amdhsa_user_sgpr_flat_scratch_init 0
		.amdhsa_user_sgpr_private_segment_size 0
		.amdhsa_uses_dynamic_stack 0
		.amdhsa_system_sgpr_private_segment_wavefront_offset 0
		.amdhsa_system_sgpr_workgroup_id_x 1
		.amdhsa_system_sgpr_workgroup_id_y 0
		.amdhsa_system_sgpr_workgroup_id_z 1
		.amdhsa_system_sgpr_workgroup_info 0
		.amdhsa_system_vgpr_workitem_id 0
		.amdhsa_next_free_vgpr 129
		.amdhsa_next_free_sgpr 98
		.amdhsa_reserve_vcc 1
		.amdhsa_reserve_flat_scratch 0
		.amdhsa_float_round_mode_32 0
		.amdhsa_float_round_mode_16_64 0
		.amdhsa_float_denorm_mode_32 3
		.amdhsa_float_denorm_mode_16_64 3
		.amdhsa_dx10_clamp 1
		.amdhsa_ieee_mode 1
		.amdhsa_fp16_overflow 0
		.amdhsa_exception_fp_ieee_invalid_op 0
		.amdhsa_exception_fp_denorm_src 0
		.amdhsa_exception_fp_ieee_div_zero 0
		.amdhsa_exception_fp_ieee_overflow 0
		.amdhsa_exception_fp_ieee_underflow 0
		.amdhsa_exception_fp_ieee_inexact 0
		.amdhsa_exception_int_div_zero 0
	.end_amdhsa_kernel
	.section	.text._ZL31rocblas_trsm_small_right_deviceIddPKdPdLi64EEv13rocblas_fill_18rocblas_operation_17rocblas_diagonal_iiT0_T1_lilT2_lili,"axG",@progbits,_ZL31rocblas_trsm_small_right_deviceIddPKdPdLi64EEv13rocblas_fill_18rocblas_operation_17rocblas_diagonal_iiT0_T1_lilT2_lili,comdat
.Lfunc_end111:
	.size	_ZL31rocblas_trsm_small_right_deviceIddPKdPdLi64EEv13rocblas_fill_18rocblas_operation_17rocblas_diagonal_iiT0_T1_lilT2_lili, .Lfunc_end111-_ZL31rocblas_trsm_small_right_deviceIddPKdPdLi64EEv13rocblas_fill_18rocblas_operation_17rocblas_diagonal_iiT0_T1_lilT2_lili
                                        ; -- End function
	.set _ZL31rocblas_trsm_small_right_deviceIddPKdPdLi64EEv13rocblas_fill_18rocblas_operation_17rocblas_diagonal_iiT0_T1_lilT2_lili.num_vgpr, 36
	.set _ZL31rocblas_trsm_small_right_deviceIddPKdPdLi64EEv13rocblas_fill_18rocblas_operation_17rocblas_diagonal_iiT0_T1_lilT2_lili.num_agpr, 0
	.set _ZL31rocblas_trsm_small_right_deviceIddPKdPdLi64EEv13rocblas_fill_18rocblas_operation_17rocblas_diagonal_iiT0_T1_lilT2_lili.numbered_sgpr, 26
	.set _ZL31rocblas_trsm_small_right_deviceIddPKdPdLi64EEv13rocblas_fill_18rocblas_operation_17rocblas_diagonal_iiT0_T1_lilT2_lili.num_named_barrier, 0
	.set _ZL31rocblas_trsm_small_right_deviceIddPKdPdLi64EEv13rocblas_fill_18rocblas_operation_17rocblas_diagonal_iiT0_T1_lilT2_lili.private_seg_size, 0
	.set _ZL31rocblas_trsm_small_right_deviceIddPKdPdLi64EEv13rocblas_fill_18rocblas_operation_17rocblas_diagonal_iiT0_T1_lilT2_lili.uses_vcc, 1
	.set _ZL31rocblas_trsm_small_right_deviceIddPKdPdLi64EEv13rocblas_fill_18rocblas_operation_17rocblas_diagonal_iiT0_T1_lilT2_lili.uses_flat_scratch, 0
	.set _ZL31rocblas_trsm_small_right_deviceIddPKdPdLi64EEv13rocblas_fill_18rocblas_operation_17rocblas_diagonal_iiT0_T1_lilT2_lili.has_dyn_sized_stack, 0
	.set _ZL31rocblas_trsm_small_right_deviceIddPKdPdLi64EEv13rocblas_fill_18rocblas_operation_17rocblas_diagonal_iiT0_T1_lilT2_lili.has_recursion, 0
	.set _ZL31rocblas_trsm_small_right_deviceIddPKdPdLi64EEv13rocblas_fill_18rocblas_operation_17rocblas_diagonal_iiT0_T1_lilT2_lili.has_indirect_call, 0
	.section	.AMDGPU.csdata,"",@progbits
; Kernel info:
; codeLenInByte = 6036
; TotalNumSgprs: 30
; NumVgprs: 36
; ScratchSize: 0
; MemoryBound: 0
; FloatMode: 240
; IeeeMode: 1
; LDSByteSize: 65536 bytes/workgroup (compile time only)
; SGPRBlocks: 12
; VGPRBlocks: 32
; NumSGPRsForWavesPerEU: 102
; NumVGPRsForWavesPerEU: 129
; Occupancy: 1
; WaveLimiterHint : 0
; COMPUTE_PGM_RSRC2:SCRATCH_EN: 0
; COMPUTE_PGM_RSRC2:USER_SGPR: 6
; COMPUTE_PGM_RSRC2:TRAP_HANDLER: 0
; COMPUTE_PGM_RSRC2:TGID_X_EN: 1
; COMPUTE_PGM_RSRC2:TGID_Y_EN: 0
; COMPUTE_PGM_RSRC2:TGID_Z_EN: 1
; COMPUTE_PGM_RSRC2:TIDIG_COMP_CNT: 0
	.section	.text._ZL39rocblas_trsm_block_forward_substitutionIddPKdPdLb0ELb0ELb0EEv18rocblas_operation_llT0_T1_lllT2_lllib,"axG",@progbits,_ZL39rocblas_trsm_block_forward_substitutionIddPKdPdLb0ELb0ELb0EEv18rocblas_operation_llT0_T1_lllT2_lllib,comdat
	.globl	_ZL39rocblas_trsm_block_forward_substitutionIddPKdPdLb0ELb0ELb0EEv18rocblas_operation_llT0_T1_lllT2_lllib ; -- Begin function _ZL39rocblas_trsm_block_forward_substitutionIddPKdPdLb0ELb0ELb0EEv18rocblas_operation_llT0_T1_lllT2_lllib
	.p2align	8
	.type	_ZL39rocblas_trsm_block_forward_substitutionIddPKdPdLb0ELb0ELb0EEv18rocblas_operation_llT0_T1_lllT2_lllib,@function
_ZL39rocblas_trsm_block_forward_substitutionIddPKdPdLb0ELb0ELb0EEv18rocblas_operation_llT0_T1_lllT2_lllib: ; @_ZL39rocblas_trsm_block_forward_substitutionIddPKdPdLb0ELb0ELb0EEv18rocblas_operation_llT0_T1_lllT2_lllib
; %bb.0:
	s_load_dword s9, s[4:5], 0x64
	s_load_dwordx16 s[12:27], s[4:5], 0x8
	s_load_dword s6, s[4:5], 0x74
	v_mov_b32_e32 v2, v1
	s_waitcnt lgkmcnt(0)
	s_bitcmp1_b32 s9, 0
	s_mul_i32 s2, s25, s8
	s_mul_hi_u32 s3, s24, s8
	s_cselect_b64 s[0:1], -1, 0
	s_add_i32 s3, s3, s2
	s_mul_i32 s2, s24, s8
	s_lshl_b64 s[2:3], s[2:3], 3
	s_add_u32 s10, s18, s2
	s_addc_u32 s11, s19, s3
	s_lshl_b64 s[2:3], s[20:21], 3
	s_add_u32 s2, s10, s2
	s_addc_u32 s3, s11, s3
	s_add_u32 s10, s4, 0x68
	s_addc_u32 s11, s5, 0
	s_lshr_b32 s6, s6, 16
	s_bitcmp0_b32 s9, 0
	s_cbranch_scc1 .LBB112_13
; %bb.1:
	v_cmp_lt_i64_e64 s[20:21], s[12:13], 1
	s_lshl_b32 s9, s6, 3
	s_add_i32 s18, s9, 0
	s_and_b64 vcc, exec, s[20:21]
	s_cbranch_vccnz .LBB112_12
; %bb.2:
	v_mad_u64_u32 v[3:4], s[20:21], s22, v0, 0
	v_mov_b32_e32 v1, 0
	v_cmp_le_u64_e32 vcc, s[12:13], v[0:1]
	v_mov_b32_e32 v1, v4
	v_mad_u64_u32 v[4:5], s[20:21], s23, v0, v[1:2]
	v_lshlrev_b32_e32 v6, 3, v0
	v_mov_b32_e32 v8, s3
	v_add_co_u32_e64 v1, s[2:3], s2, v6
	v_lshlrev_b64 v[3:4], 3, v[3:4]
	v_addc_co_u32_e64 v8, s[2:3], 0, v8, s[2:3]
	v_add_co_u32_e64 v3, s[2:3], v1, v3
	v_addc_co_u32_e64 v4, s[2:3], v8, v4, s[2:3]
	v_add_u32_e32 v7, s18, v6
	s_xor_b64 s[2:3], vcc, -1
	s_mov_b32 s9, s6
	v_mov_b32_e32 v9, v2
	s_branch .LBB112_4
.LBB112_3:                              ;   in Loop: Header=BB112_4 Depth=1
	s_or_b64 exec, exec, s[24:25]
	s_ashr_i32 s19, s9, 31
	s_waitcnt vmcnt(0)
	v_mov_b32_e32 v5, s9
	v_mov_b32_e32 v6, s19
	v_cmp_le_i64_e32 vcc, s[12:13], v[5:6]
	v_add_u32_e32 v9, s6, v9
	s_add_i32 s9, s9, s6
	s_cbranch_vccnz .LBB112_12
.LBB112_4:                              ; =>This Inner Loop Header: Depth=1
	v_cmp_gt_i32_e32 vcc, v0, v9
	s_and_b64 s[24:25], s[2:3], vcc
	s_mov_b64 s[20:21], 0
                                        ; implicit-def: $vgpr5_vgpr6
	s_and_saveexec_b64 s[28:29], s[24:25]
	s_xor_b64 s[24:25], exec, s[28:29]
	s_cbranch_execnz .LBB112_7
; %bb.5:                                ;   in Loop: Header=BB112_4 Depth=1
	s_or_saveexec_b64 s[24:25], s[24:25]
	v_mov_b32_e32 v10, v9
	s_xor_b64 exec, exec, s[24:25]
	s_cbranch_execnz .LBB112_8
.LBB112_6:                              ;   in Loop: Header=BB112_4 Depth=1
	s_or_b64 exec, exec, s[24:25]
	s_and_saveexec_b64 s[24:25], s[20:21]
	s_cbranch_execz .LBB112_3
	s_branch .LBB112_11
.LBB112_7:                              ;   in Loop: Header=BB112_4 Depth=1
	v_ashrrev_i32_e32 v5, 31, v9
	v_mul_lo_u32 v10, s23, v9
	v_mul_lo_u32 v11, s22, v5
	v_mad_u64_u32 v[5:6], s[28:29], s22, v9, 0
	s_mov_b64 s[20:21], exec
	v_add3_u32 v6, v6, v11, v10
	v_lshlrev_b64 v[5:6], 3, v[5:6]
	v_add_co_u32_e32 v5, vcc, v1, v5
	v_addc_co_u32_e32 v6, vcc, v8, v6, vcc
	global_load_dwordx2 v[5:6], v[5:6], off
	s_or_saveexec_b64 s[24:25], s[24:25]
	v_mov_b32_e32 v10, v9
	s_xor_b64 exec, exec, s[24:25]
	s_cbranch_execz .LBB112_6
.LBB112_8:                              ;   in Loop: Header=BB112_4 Depth=1
	v_cmp_eq_u32_e32 vcc, v0, v9
	s_and_b64 s[34:35], s[2:3], vcc
	s_mov_b64 s[30:31], s[20:21]
                                        ; implicit-def: $vgpr5_vgpr6
	s_and_saveexec_b64 s[28:29], s[34:35]
	s_cbranch_execz .LBB112_10
; %bb.9:                                ;   in Loop: Header=BB112_4 Depth=1
	global_load_dwordx2 v[5:6], v[3:4], off
	s_waitcnt vmcnt(0)
	v_div_scale_f64 v[10:11], s[30:31], v[5:6], v[5:6], 1.0
	v_div_scale_f64 v[16:17], vcc, 1.0, v[5:6], 1.0
	s_or_b64 s[30:31], s[20:21], exec
	v_rcp_f64_e32 v[12:13], v[10:11]
	v_fma_f64 v[14:15], -v[10:11], v[12:13], 1.0
	v_fma_f64 v[12:13], v[12:13], v[14:15], v[12:13]
	v_fma_f64 v[14:15], -v[10:11], v[12:13], 1.0
	v_fma_f64 v[12:13], v[12:13], v[14:15], v[12:13]
	v_mul_f64 v[14:15], v[16:17], v[12:13]
	v_fma_f64 v[10:11], -v[10:11], v[14:15], v[16:17]
	v_div_fmas_f64 v[10:11], v[10:11], v[12:13], v[14:15]
	v_div_fixup_f64 v[5:6], v[10:11], v[5:6], 1.0
.LBB112_10:                             ;   in Loop: Header=BB112_4 Depth=1
	s_or_b64 exec, exec, s[28:29]
	s_andn2_b64 s[20:21], s[20:21], exec
	s_and_b64 s[28:29], s[30:31], exec
	s_or_b64 s[20:21], s[20:21], s[28:29]
	v_mov_b32_e32 v10, v0
	s_or_b64 exec, exec, s[24:25]
	s_and_saveexec_b64 s[24:25], s[20:21]
	s_cbranch_execz .LBB112_3
.LBB112_11:                             ;   in Loop: Header=BB112_4 Depth=1
	s_load_dword s19, s[10:11], 0xc
	s_waitcnt lgkmcnt(0)
	s_and_b32 s19, s19, 0xffff
	v_mul_lo_u32 v10, v10, s19
	v_lshl_add_u32 v10, v10, 3, v7
	s_waitcnt vmcnt(0)
	ds_write_b64 v10, v[5:6]
	s_branch .LBB112_3
.LBB112_12:
	s_mov_b64 s[2:3], src_shared_base
	s_load_dword s2, s[10:11], 0xc
	s_mov_b32 s19, s3
	s_mov_b32 s23, 0
	s_waitcnt lgkmcnt(0)
	s_and_b32 s22, s2, 0xffff
	s_mov_b64 s[2:3], s[18:19]
.LBB112_13:
	s_mul_i32 s7, s7, s6
	v_add_u32_e32 v3, s7, v2
	v_mov_b32_e32 v4, 0
	v_cmp_gt_i64_e32 vcc, s[14:15], v[3:4]
	s_and_saveexec_b64 s[6:7], vcc
	s_cbranch_execz .LBB112_25
; %bb.14:
	v_mov_b32_e32 v1, v4
	v_cmp_gt_i64_e32 vcc, s[12:13], v[0:1]
	s_and_b64 exec, exec, vcc
	s_cbranch_execz .LBB112_25
; %bb.15:
	s_load_dwordx2 s[6:7], s[4:5], 0x58
	s_load_dwordx4 s[28:31], s[4:5], 0x48
	v_lshlrev_b32_e32 v7, 3, v0
	s_waitcnt lgkmcnt(0)
	s_mul_i32 s5, s7, s8
	s_mul_hi_u32 s7, s6, s8
	s_mul_i32 s4, s6, s8
	s_add_i32 s5, s7, s5
	v_mad_u64_u32 v[4:5], s[6:7], s30, v3, 0
	s_lshl_b64 s[4:5], s[4:5], 3
	s_add_u32 s6, s26, s4
	s_addc_u32 s7, s27, s5
	v_mad_u64_u32 v[5:6], s[4:5], s31, v3, v[5:6]
	s_lshl_b64 s[4:5], s[28:29], 3
	s_add_u32 s4, s6, s4
	v_lshlrev_b64 v[3:4], 3, v[4:5]
	s_addc_u32 s5, s7, s5
	v_mov_b32_e32 v5, s5
	v_add_co_u32_e32 v3, vcc, s4, v3
	v_addc_co_u32_e32 v4, vcc, v5, v4, vcc
	v_add_co_u32_e32 v3, vcc, v3, v7
	v_addc_co_u32_e32 v4, vcc, 0, v4, vcc
	global_load_dwordx2 v[5:6], v[3:4], off
	v_cmp_lt_u64_e64 s[6:7], s[12:13], 2
	s_add_u32 s4, s12, -1
	s_addc_u32 s5, s13, -1
	s_and_b64 vcc, exec, s[6:7]
	s_waitcnt vmcnt(0)
	v_mul_f64 v[5:6], s[16:17], v[5:6]
	s_cbranch_vccnz .LBB112_22
; %bb.16:
	v_mad_u64_u32 v[9:10], s[6:7], v0, s22, v[0:1]
	v_mov_b32_e32 v12, s3
	v_add_co_u32_e32 v7, vcc, s2, v7
	v_mov_b32_e32 v8, v10
	v_mad_u64_u32 v[10:11], s[6:7], v0, s23, v[8:9]
	v_addc_co_u32_e32 v8, vcc, 0, v12, vcc
	v_lshlrev_b64 v[9:10], 3, v[9:10]
	v_lshl_add_u32 v2, v2, 3, 0
	v_add_co_u32_e32 v9, vcc, s2, v9
	v_addc_co_u32_e32 v10, vcc, v12, v10, vcc
	s_lshl_b64 s[6:7], s[22:23], 3
	s_mov_b64 s[8:9], 0
	s_branch .LBB112_18
.LBB112_17:                             ;   in Loop: Header=BB112_18 Depth=1
	s_or_b64 exec, exec, s[10:11]
	s_add_u32 s8, s8, 1
	s_addc_u32 s9, s9, 0
	v_mov_b32_e32 v11, s7
	v_add_co_u32_e32 v7, vcc, s6, v7
	s_cmp_eq_u64 s[4:5], s[8:9]
	v_addc_co_u32_e32 v8, vcc, v8, v11, vcc
	s_cbranch_scc1 .LBB112_22
.LBB112_18:                             ; =>This Inner Loop Header: Depth=1
	v_cmp_eq_u64_e32 vcc, s[8:9], v[0:1]
	s_barrier
	s_and_saveexec_b64 s[10:11], vcc
	s_cbranch_execz .LBB112_20
; %bb.19:                               ;   in Loop: Header=BB112_18 Depth=1
	flat_load_dwordx2 v[11:12], v[9:10]
	s_waitcnt vmcnt(0) lgkmcnt(0)
	v_div_scale_f64 v[13:14], s[12:13], v[11:12], v[11:12], 1.0
	v_rcp_f64_e32 v[15:16], v[13:14]
	v_fma_f64 v[17:18], -v[13:14], v[15:16], 1.0
	v_fma_f64 v[15:16], v[15:16], v[17:18], v[15:16]
	v_div_scale_f64 v[17:18], vcc, 1.0, v[11:12], 1.0
	v_fma_f64 v[19:20], -v[13:14], v[15:16], 1.0
	v_fma_f64 v[15:16], v[15:16], v[19:20], v[15:16]
	v_mul_f64 v[19:20], v[17:18], v[15:16]
	v_fma_f64 v[13:14], -v[13:14], v[19:20], v[17:18]
	v_div_fmas_f64 v[13:14], v[13:14], v[15:16], v[19:20]
	v_div_fixup_f64 v[13:14], v[13:14], v[11:12], 1.0
	v_cndmask_b32_e64 v12, v14, v12, s[0:1]
	v_cndmask_b32_e64 v11, v13, v11, s[0:1]
	v_mul_f64 v[5:6], v[5:6], v[11:12]
	ds_write_b64 v2, v[5:6]
.LBB112_20:                             ;   in Loop: Header=BB112_18 Depth=1
	s_or_b64 exec, exec, s[10:11]
	v_cmp_lt_u64_e32 vcc, s[8:9], v[0:1]
	s_waitcnt lgkmcnt(0)
	s_barrier
	s_and_saveexec_b64 s[10:11], vcc
	s_cbranch_execz .LBB112_17
; %bb.21:                               ;   in Loop: Header=BB112_18 Depth=1
	flat_load_dwordx2 v[11:12], v[7:8]
	ds_read_b64 v[13:14], v2
	s_waitcnt vmcnt(0) lgkmcnt(0)
	v_fma_f64 v[5:6], -v[11:12], v[13:14], v[5:6]
	s_branch .LBB112_17
.LBB112_22:
	v_cmp_eq_u64_e32 vcc, s[4:5], v[0:1]
	s_and_saveexec_b64 s[4:5], vcc
	s_cbranch_execz .LBB112_24
; %bb.23:
	v_mad_u64_u32 v[1:2], s[6:7], v0, s22, v[0:1]
	v_mad_u64_u32 v[7:8], s[6:7], v0, s23, v[2:3]
	v_mov_b32_e32 v8, s3
	v_mov_b32_e32 v2, v7
	v_lshlrev_b64 v[0:1], 3, v[1:2]
	v_add_co_u32_e32 v0, vcc, s2, v0
	v_addc_co_u32_e32 v1, vcc, v8, v1, vcc
	flat_load_dwordx2 v[0:1], v[0:1]
	s_waitcnt vmcnt(0) lgkmcnt(0)
	v_div_scale_f64 v[7:8], s[2:3], v[0:1], v[0:1], 1.0
	v_rcp_f64_e32 v[9:10], v[7:8]
	v_fma_f64 v[11:12], -v[7:8], v[9:10], 1.0
	v_fma_f64 v[9:10], v[9:10], v[11:12], v[9:10]
	v_div_scale_f64 v[11:12], vcc, 1.0, v[0:1], 1.0
	v_fma_f64 v[13:14], -v[7:8], v[9:10], 1.0
	v_fma_f64 v[9:10], v[9:10], v[13:14], v[9:10]
	v_mul_f64 v[13:14], v[11:12], v[9:10]
	v_fma_f64 v[7:8], -v[7:8], v[13:14], v[11:12]
	v_div_fmas_f64 v[7:8], v[7:8], v[9:10], v[13:14]
	v_div_fixup_f64 v[7:8], v[7:8], v[0:1], 1.0
	v_cndmask_b32_e64 v1, v8, v1, s[0:1]
	v_cndmask_b32_e64 v0, v7, v0, s[0:1]
	v_mul_f64 v[5:6], v[5:6], v[0:1]
.LBB112_24:
	s_or_b64 exec, exec, s[4:5]
	global_store_dwordx2 v[3:4], v[5:6], off
.LBB112_25:
	s_endpgm
	.section	.rodata,"a",@progbits
	.p2align	6, 0x0
	.amdhsa_kernel _ZL39rocblas_trsm_block_forward_substitutionIddPKdPdLb0ELb0ELb0EEv18rocblas_operation_llT0_T1_lllT2_lllib
		.amdhsa_group_segment_fixed_size 0
		.amdhsa_private_segment_fixed_size 0
		.amdhsa_kernarg_size 360
		.amdhsa_user_sgpr_count 6
		.amdhsa_user_sgpr_private_segment_buffer 1
		.amdhsa_user_sgpr_dispatch_ptr 0
		.amdhsa_user_sgpr_queue_ptr 0
		.amdhsa_user_sgpr_kernarg_segment_ptr 1
		.amdhsa_user_sgpr_dispatch_id 0
		.amdhsa_user_sgpr_flat_scratch_init 0
		.amdhsa_user_sgpr_private_segment_size 0
		.amdhsa_uses_dynamic_stack 0
		.amdhsa_system_sgpr_private_segment_wavefront_offset 0
		.amdhsa_system_sgpr_workgroup_id_x 1
		.amdhsa_system_sgpr_workgroup_id_y 1
		.amdhsa_system_sgpr_workgroup_id_z 1
		.amdhsa_system_sgpr_workgroup_info 0
		.amdhsa_system_vgpr_workitem_id 1
		.amdhsa_next_free_vgpr 21
		.amdhsa_next_free_sgpr 36
		.amdhsa_reserve_vcc 1
		.amdhsa_reserve_flat_scratch 0
		.amdhsa_float_round_mode_32 0
		.amdhsa_float_round_mode_16_64 0
		.amdhsa_float_denorm_mode_32 3
		.amdhsa_float_denorm_mode_16_64 3
		.amdhsa_dx10_clamp 1
		.amdhsa_ieee_mode 1
		.amdhsa_fp16_overflow 0
		.amdhsa_exception_fp_ieee_invalid_op 0
		.amdhsa_exception_fp_denorm_src 0
		.amdhsa_exception_fp_ieee_div_zero 0
		.amdhsa_exception_fp_ieee_overflow 0
		.amdhsa_exception_fp_ieee_underflow 0
		.amdhsa_exception_fp_ieee_inexact 0
		.amdhsa_exception_int_div_zero 0
	.end_amdhsa_kernel
	.section	.text._ZL39rocblas_trsm_block_forward_substitutionIddPKdPdLb0ELb0ELb0EEv18rocblas_operation_llT0_T1_lllT2_lllib,"axG",@progbits,_ZL39rocblas_trsm_block_forward_substitutionIddPKdPdLb0ELb0ELb0EEv18rocblas_operation_llT0_T1_lllT2_lllib,comdat
.Lfunc_end112:
	.size	_ZL39rocblas_trsm_block_forward_substitutionIddPKdPdLb0ELb0ELb0EEv18rocblas_operation_llT0_T1_lllT2_lllib, .Lfunc_end112-_ZL39rocblas_trsm_block_forward_substitutionIddPKdPdLb0ELb0ELb0EEv18rocblas_operation_llT0_T1_lllT2_lllib
                                        ; -- End function
	.set _ZL39rocblas_trsm_block_forward_substitutionIddPKdPdLb0ELb0ELb0EEv18rocblas_operation_llT0_T1_lllT2_lllib.num_vgpr, 21
	.set _ZL39rocblas_trsm_block_forward_substitutionIddPKdPdLb0ELb0ELb0EEv18rocblas_operation_llT0_T1_lllT2_lllib.num_agpr, 0
	.set _ZL39rocblas_trsm_block_forward_substitutionIddPKdPdLb0ELb0ELb0EEv18rocblas_operation_llT0_T1_lllT2_lllib.numbered_sgpr, 36
	.set _ZL39rocblas_trsm_block_forward_substitutionIddPKdPdLb0ELb0ELb0EEv18rocblas_operation_llT0_T1_lllT2_lllib.num_named_barrier, 0
	.set _ZL39rocblas_trsm_block_forward_substitutionIddPKdPdLb0ELb0ELb0EEv18rocblas_operation_llT0_T1_lllT2_lllib.private_seg_size, 0
	.set _ZL39rocblas_trsm_block_forward_substitutionIddPKdPdLb0ELb0ELb0EEv18rocblas_operation_llT0_T1_lllT2_lllib.uses_vcc, 1
	.set _ZL39rocblas_trsm_block_forward_substitutionIddPKdPdLb0ELb0ELb0EEv18rocblas_operation_llT0_T1_lllT2_lllib.uses_flat_scratch, 0
	.set _ZL39rocblas_trsm_block_forward_substitutionIddPKdPdLb0ELb0ELb0EEv18rocblas_operation_llT0_T1_lllT2_lllib.has_dyn_sized_stack, 0
	.set _ZL39rocblas_trsm_block_forward_substitutionIddPKdPdLb0ELb0ELb0EEv18rocblas_operation_llT0_T1_lllT2_lllib.has_recursion, 0
	.set _ZL39rocblas_trsm_block_forward_substitutionIddPKdPdLb0ELb0ELb0EEv18rocblas_operation_llT0_T1_lllT2_lllib.has_indirect_call, 0
	.section	.AMDGPU.csdata,"",@progbits
; Kernel info:
; codeLenInByte = 1316
; TotalNumSgprs: 40
; NumVgprs: 21
; ScratchSize: 0
; MemoryBound: 1
; FloatMode: 240
; IeeeMode: 1
; LDSByteSize: 0 bytes/workgroup (compile time only)
; SGPRBlocks: 4
; VGPRBlocks: 5
; NumSGPRsForWavesPerEU: 40
; NumVGPRsForWavesPerEU: 21
; Occupancy: 10
; WaveLimiterHint : 1
; COMPUTE_PGM_RSRC2:SCRATCH_EN: 0
; COMPUTE_PGM_RSRC2:USER_SGPR: 6
; COMPUTE_PGM_RSRC2:TRAP_HANDLER: 0
; COMPUTE_PGM_RSRC2:TGID_X_EN: 1
; COMPUTE_PGM_RSRC2:TGID_Y_EN: 1
; COMPUTE_PGM_RSRC2:TGID_Z_EN: 1
; COMPUTE_PGM_RSRC2:TIDIG_COMP_CNT: 1
	.section	.text._ZL40rocblas_trsm_block_backward_substitutionIddPKdPdLb0ELb0ELb0EEv18rocblas_operation_llT0_T1_lllT2_lllib,"axG",@progbits,_ZL40rocblas_trsm_block_backward_substitutionIddPKdPdLb0ELb0ELb0EEv18rocblas_operation_llT0_T1_lllT2_lllib,comdat
	.globl	_ZL40rocblas_trsm_block_backward_substitutionIddPKdPdLb0ELb0ELb0EEv18rocblas_operation_llT0_T1_lllT2_lllib ; -- Begin function _ZL40rocblas_trsm_block_backward_substitutionIddPKdPdLb0ELb0ELb0EEv18rocblas_operation_llT0_T1_lllT2_lllib
	.p2align	8
	.type	_ZL40rocblas_trsm_block_backward_substitutionIddPKdPdLb0ELb0ELb0EEv18rocblas_operation_llT0_T1_lllT2_lllib,@function
_ZL40rocblas_trsm_block_backward_substitutionIddPKdPdLb0ELb0ELb0EEv18rocblas_operation_llT0_T1_lllT2_lllib: ; @_ZL40rocblas_trsm_block_backward_substitutionIddPKdPdLb0ELb0ELb0EEv18rocblas_operation_llT0_T1_lllT2_lllib
; %bb.0:
	s_load_dword s9, s[4:5], 0x64
	s_load_dwordx16 s[12:27], s[4:5], 0x8
	s_load_dword s6, s[4:5], 0x74
	v_mov_b32_e32 v2, v1
	s_waitcnt lgkmcnt(0)
	s_bitcmp1_b32 s9, 0
	s_mul_i32 s2, s25, s8
	s_mul_hi_u32 s3, s24, s8
	s_cselect_b64 s[0:1], -1, 0
	s_add_i32 s3, s3, s2
	s_mul_i32 s2, s24, s8
	s_lshl_b64 s[2:3], s[2:3], 3
	s_add_u32 s10, s18, s2
	s_addc_u32 s11, s19, s3
	s_lshl_b64 s[2:3], s[20:21], 3
	s_add_u32 s10, s10, s2
	s_addc_u32 s11, s11, s3
	s_add_u32 s20, s4, 0x68
	s_addc_u32 s21, s5, 0
	s_lshr_b32 s6, s6, 16
	s_bitcmp0_b32 s9, 0
	s_mov_b64 s[2:3], 1
	s_cbranch_scc1 .LBB113_14
; %bb.1:
	s_lshl_b32 s2, s6, 3
	s_add_i32 s24, s2, 0
	v_cmp_lt_i64_e64 s[2:3], s[12:13], 1
	s_mov_b64 s[18:19], 1
	s_and_b64 vcc, exec, s[2:3]
	s_cbranch_vccnz .LBB113_15
; %bb.2:
	v_mad_u64_u32 v[3:4], s[2:3], s22, v0, 0
	v_lshlrev_b32_e32 v6, 3, v0
	v_add_u32_e32 v9, s24, v6
	v_mov_b32_e32 v1, v4
	v_mad_u64_u32 v[4:5], s[2:3], s23, v0, v[1:2]
	v_mov_b32_e32 v1, 0
	v_cmp_le_u64_e64 s[22:23], s[12:13], v[0:1]
	v_lshlrev_b64 v[3:4], 3, v[3:4]
	v_cmp_gt_u64_e64 s[2:3], s[12:13], v[0:1]
	v_mov_b32_e32 v5, s11
	v_add_co_u32_e32 v1, vcc, s10, v3
	v_addc_co_u32_e32 v10, vcc, v5, v4, vcc
	v_add_co_u32_e32 v3, vcc, v1, v6
	v_addc_co_u32_e32 v4, vcc, 0, v10, vcc
	s_xor_b64 s[28:29], s[22:23], -1
	s_mov_b32 s9, s6
	v_mov_b32_e32 v5, v2
	s_branch .LBB113_4
.LBB113_3:                              ;   in Loop: Header=BB113_4 Depth=1
	s_or_b64 exec, exec, s[30:31]
	s_ashr_i32 s10, s9, 31
	v_mov_b32_e32 v6, s9
	s_waitcnt vmcnt(0)
	v_mov_b32_e32 v7, s10
	v_cmp_le_i64_e32 vcc, s[12:13], v[6:7]
	v_add_u32_e32 v5, s6, v5
	s_add_i32 s9, s9, s6
	s_cbranch_vccnz .LBB113_15
.LBB113_4:                              ; =>This Inner Loop Header: Depth=1
	s_mov_b64 s[10:11], 0
	s_mov_b64 s[34:35], s[22:23]
                                        ; implicit-def: $vgpr7_vgpr8
	s_and_saveexec_b64 s[30:31], s[2:3]
	s_cbranch_execnz .LBB113_7
; %bb.5:                                ;   in Loop: Header=BB113_4 Depth=1
	s_or_b64 exec, exec, s[30:31]
	v_mov_b32_e32 v6, v5
	s_and_saveexec_b64 s[30:31], s[34:35]
	s_cbranch_execnz .LBB113_10
.LBB113_6:                              ;   in Loop: Header=BB113_4 Depth=1
	s_or_b64 exec, exec, s[30:31]
	s_and_saveexec_b64 s[30:31], s[10:11]
	s_cbranch_execz .LBB113_3
	s_branch .LBB113_13
.LBB113_7:                              ;   in Loop: Header=BB113_4 Depth=1
	v_ashrrev_i32_e32 v6, 31, v5
	v_cmp_gt_i64_e32 vcc, s[12:13], v[5:6]
	v_cmp_lt_i32_e64 s[10:11], v0, v5
	s_and_b64 s[38:39], s[10:11], vcc
	s_mov_b64 s[34:35], -1
	s_mov_b64 s[10:11], 0
                                        ; implicit-def: $vgpr7_vgpr8
	s_and_saveexec_b64 s[36:37], s[38:39]
	s_cbranch_execz .LBB113_9
; %bb.8:                                ;   in Loop: Header=BB113_4 Depth=1
	v_lshlrev_b64 v[6:7], 3, v[5:6]
	s_mov_b64 s[10:11], exec
	v_add_co_u32_e32 v6, vcc, v1, v6
	v_addc_co_u32_e32 v7, vcc, v10, v7, vcc
	global_load_dwordx2 v[7:8], v[6:7], off
	s_xor_b64 s[34:35], exec, -1
.LBB113_9:                              ;   in Loop: Header=BB113_4 Depth=1
	s_or_b64 exec, exec, s[36:37]
	s_andn2_b64 s[36:37], s[22:23], exec
	s_and_b64 s[34:35], s[34:35], exec
	s_and_b64 s[10:11], s[10:11], exec
	s_or_b64 s[34:35], s[36:37], s[34:35]
	s_or_b64 exec, exec, s[30:31]
	v_mov_b32_e32 v6, v5
	s_and_saveexec_b64 s[30:31], s[34:35]
	s_cbranch_execz .LBB113_6
.LBB113_10:                             ;   in Loop: Header=BB113_4 Depth=1
	v_cmp_eq_u32_e32 vcc, v0, v5
	s_and_b64 s[38:39], s[28:29], vcc
	s_mov_b64 s[36:37], s[10:11]
                                        ; implicit-def: $vgpr7_vgpr8
	s_and_saveexec_b64 s[34:35], s[38:39]
	s_cbranch_execz .LBB113_12
; %bb.11:                               ;   in Loop: Header=BB113_4 Depth=1
	global_load_dwordx2 v[6:7], v[3:4], off
	s_waitcnt vmcnt(0)
	v_div_scale_f64 v[11:12], s[36:37], v[6:7], v[6:7], 1.0
	v_div_scale_f64 v[17:18], vcc, 1.0, v[6:7], 1.0
	s_or_b64 s[36:37], s[10:11], exec
	v_rcp_f64_e32 v[13:14], v[11:12]
	v_fma_f64 v[15:16], -v[11:12], v[13:14], 1.0
	v_fma_f64 v[13:14], v[13:14], v[15:16], v[13:14]
	v_fma_f64 v[15:16], -v[11:12], v[13:14], 1.0
	v_fma_f64 v[13:14], v[13:14], v[15:16], v[13:14]
	v_mul_f64 v[15:16], v[17:18], v[13:14]
	v_fma_f64 v[11:12], -v[11:12], v[15:16], v[17:18]
	v_div_fmas_f64 v[11:12], v[11:12], v[13:14], v[15:16]
	v_div_fixup_f64 v[7:8], v[11:12], v[6:7], 1.0
.LBB113_12:                             ;   in Loop: Header=BB113_4 Depth=1
	s_or_b64 exec, exec, s[34:35]
	s_andn2_b64 s[10:11], s[10:11], exec
	s_and_b64 s[34:35], s[36:37], exec
	s_or_b64 s[10:11], s[10:11], s[34:35]
	v_mov_b32_e32 v6, v0
	s_or_b64 exec, exec, s[30:31]
	s_and_saveexec_b64 s[30:31], s[10:11]
	s_cbranch_execz .LBB113_3
.LBB113_13:                             ;   in Loop: Header=BB113_4 Depth=1
	s_load_dword s10, s[20:21], 0xc
	s_waitcnt lgkmcnt(0)
	s_and_b32 s10, s10, 0xffff
	v_mul_lo_u32 v6, v6, s10
	v_lshl_add_u32 v6, v6, 3, v9
	s_waitcnt vmcnt(0)
	ds_write_b64 v6, v[7:8]
	s_branch .LBB113_3
.LBB113_14:
	s_mov_b64 s[18:19], s[22:23]
	s_branch .LBB113_16
.LBB113_15:
	s_load_dword s2, s[20:21], 0xc
	s_mov_b64 s[10:11], src_shared_base
	s_mov_b32 s25, s11
	s_mov_b32 s3, 0
	s_mov_b64 s[10:11], s[24:25]
	s_waitcnt lgkmcnt(0)
	s_and_b32 s2, s2, 0xffff
.LBB113_16:
	s_mul_i32 s7, s7, s6
	v_add_u32_e32 v3, s7, v2
	v_mov_b32_e32 v4, 0
	v_cmp_gt_i64_e32 vcc, s[14:15], v[3:4]
	s_and_saveexec_b64 s[6:7], vcc
	s_cbranch_execz .LBB113_29
; %bb.17:
	v_mov_b32_e32 v1, v4
	v_cmp_gt_i64_e32 vcc, s[12:13], v[0:1]
	s_and_b64 exec, exec, vcc
	s_cbranch_execz .LBB113_29
; %bb.18:
	s_load_dwordx2 s[6:7], s[4:5], 0x58
	s_load_dwordx4 s[20:23], s[4:5], 0x48
	v_lshlrev_b64 v[3:4], 3, v[3:4]
	s_waitcnt lgkmcnt(0)
	s_mul_i32 s5, s7, s8
	s_mul_hi_u32 s7, s6, s8
	s_mul_i32 s4, s6, s8
	s_add_i32 s5, s7, s5
	v_mad_u64_u32 v[5:6], s[6:7], s22, v0, 0
	s_lshl_b64 s[4:5], s[4:5], 3
	s_add_u32 s6, s26, s4
	s_addc_u32 s7, s27, s5
	v_mad_u64_u32 v[6:7], s[4:5], s23, v0, v[6:7]
	s_lshl_b64 s[4:5], s[20:21], 3
	s_add_u32 s4, s6, s4
	v_lshlrev_b64 v[5:6], 3, v[5:6]
	s_addc_u32 s5, s7, s5
	v_mov_b32_e32 v7, s5
	v_add_co_u32_e32 v5, vcc, s4, v5
	v_addc_co_u32_e32 v6, vcc, v7, v6, vcc
	v_add_co_u32_e32 v3, vcc, v5, v3
	v_addc_co_u32_e32 v4, vcc, v6, v4, vcc
	global_load_dwordx2 v[5:6], v[3:4], off
	v_cmp_lt_u64_e64 s[4:5], s[12:13], 2
	s_and_b64 vcc, exec, s[4:5]
	s_waitcnt vmcnt(0)
	v_mul_f64 v[5:6], s[16:17], v[5:6]
	s_cbranch_vccnz .LBB113_26
; %bb.19:
	s_add_u32 s4, s2, s18
	v_mad_u64_u32 v[7:8], s[4:5], s4, v0, 0
	s_addc_u32 s4, s3, s19
	v_mov_b32_e32 v12, s11
	v_mad_u64_u32 v[8:9], s[4:5], s4, v0, v[8:9]
	v_mad_u64_u32 v[9:10], s[4:5], s18, v0, 0
	v_lshlrev_b64 v[7:8], 3, v[7:8]
	v_lshl_add_u32 v2, v2, 3, 0
	v_mad_u64_u32 v[10:11], s[4:5], s19, v0, v[10:11]
	s_add_u32 s4, s12, -1
	s_addc_u32 s5, s13, -1
	s_mul_i32 s6, s2, s5
	s_mul_hi_u32 s7, s2, s4
	s_add_i32 s7, s7, s6
	s_mul_i32 s6, s2, s4
	v_add_co_u32_e32 v7, vcc, s10, v7
	s_lshl_b64 s[6:7], s[6:7], 3
	v_lshlrev_b64 v[9:10], 3, v[9:10]
	v_addc_co_u32_e32 v8, vcc, v12, v8, vcc
	s_add_u32 s6, s10, s6
	s_addc_u32 s7, s11, s7
	v_add_co_u32_e32 v9, vcc, s6, v9
	s_lshl_b32 s6, s2, 3
	v_mov_b32_e32 v11, s7
	s_sub_u32 s8, 0, s6
	v_addc_co_u32_e32 v10, vcc, v11, v10, vcc
	s_subb_u32 s9, 0, 0
.LBB113_20:                             ; =>This Inner Loop Header: Depth=1
	v_cmp_eq_u64_e32 vcc, s[4:5], v[0:1]
	s_barrier
	s_and_saveexec_b64 s[6:7], vcc
	s_cbranch_execz .LBB113_22
; %bb.21:                               ;   in Loop: Header=BB113_20 Depth=1
	flat_load_dwordx2 v[11:12], v[7:8]
	s_waitcnt vmcnt(0) lgkmcnt(0)
	v_div_scale_f64 v[13:14], s[12:13], v[11:12], v[11:12], 1.0
	v_rcp_f64_e32 v[15:16], v[13:14]
	v_fma_f64 v[17:18], -v[13:14], v[15:16], 1.0
	v_fma_f64 v[15:16], v[15:16], v[17:18], v[15:16]
	v_div_scale_f64 v[17:18], vcc, 1.0, v[11:12], 1.0
	v_fma_f64 v[19:20], -v[13:14], v[15:16], 1.0
	v_fma_f64 v[15:16], v[15:16], v[19:20], v[15:16]
	v_mul_f64 v[19:20], v[17:18], v[15:16]
	v_fma_f64 v[13:14], -v[13:14], v[19:20], v[17:18]
	v_div_fmas_f64 v[13:14], v[13:14], v[15:16], v[19:20]
	v_div_fixup_f64 v[13:14], v[13:14], v[11:12], 1.0
	v_cndmask_b32_e64 v12, v14, v12, s[0:1]
	v_cndmask_b32_e64 v11, v13, v11, s[0:1]
	v_mul_f64 v[5:6], v[5:6], v[11:12]
	ds_write_b64 v2, v[5:6]
.LBB113_22:                             ;   in Loop: Header=BB113_20 Depth=1
	s_or_b64 exec, exec, s[6:7]
	v_cmp_gt_i64_e32 vcc, s[4:5], v[0:1]
	s_waitcnt lgkmcnt(0)
	s_barrier
	s_and_saveexec_b64 s[6:7], vcc
	s_cbranch_execz .LBB113_24
; %bb.23:                               ;   in Loop: Header=BB113_20 Depth=1
	flat_load_dwordx2 v[11:12], v[9:10]
	ds_read_b64 v[13:14], v2
	s_waitcnt vmcnt(0) lgkmcnt(0)
	v_fma_f64 v[5:6], -v[11:12], v[13:14], v[5:6]
.LBB113_24:                             ;   in Loop: Header=BB113_20 Depth=1
	s_or_b64 exec, exec, s[6:7]
	s_add_u32 s6, s4, -1
	s_addc_u32 s7, s5, -1
	s_add_u32 s4, s4, 1
	s_addc_u32 s5, s5, 0
	v_mov_b32_e32 v11, s9
	v_cmp_lt_u64_e64 s[4:5], s[4:5], 3
	v_add_co_u32_e32 v9, vcc, s8, v9
	v_addc_co_u32_e32 v10, vcc, v10, v11, vcc
	s_and_b64 vcc, exec, s[4:5]
	s_cbranch_vccnz .LBB113_26
; %bb.25:                               ;   in Loop: Header=BB113_20 Depth=1
	s_mov_b64 s[4:5], s[6:7]
	s_branch .LBB113_20
.LBB113_26:
	v_cmp_eq_u32_e32 vcc, 0, v0
	s_and_saveexec_b64 s[4:5], vcc
	s_cbranch_execz .LBB113_28
; %bb.27:
	s_add_u32 s2, s2, s18
	v_mad_u64_u32 v[1:2], s[6:7], s2, v0, 0
	s_addc_u32 s2, s3, s19
	v_mad_u64_u32 v[7:8], s[2:3], s2, v0, v[2:3]
	v_mov_b32_e32 v8, s11
	v_mov_b32_e32 v2, v7
	v_lshlrev_b64 v[0:1], 3, v[1:2]
	v_add_co_u32_e32 v0, vcc, s10, v0
	v_addc_co_u32_e32 v1, vcc, v8, v1, vcc
	flat_load_dwordx2 v[0:1], v[0:1]
	s_waitcnt vmcnt(0) lgkmcnt(0)
	v_div_scale_f64 v[7:8], s[2:3], v[0:1], v[0:1], 1.0
	v_rcp_f64_e32 v[9:10], v[7:8]
	v_fma_f64 v[11:12], -v[7:8], v[9:10], 1.0
	v_fma_f64 v[9:10], v[9:10], v[11:12], v[9:10]
	v_div_scale_f64 v[11:12], vcc, 1.0, v[0:1], 1.0
	v_fma_f64 v[13:14], -v[7:8], v[9:10], 1.0
	v_fma_f64 v[9:10], v[9:10], v[13:14], v[9:10]
	v_mul_f64 v[13:14], v[11:12], v[9:10]
	v_fma_f64 v[7:8], -v[7:8], v[13:14], v[11:12]
	v_div_fmas_f64 v[7:8], v[7:8], v[9:10], v[13:14]
	v_div_fixup_f64 v[7:8], v[7:8], v[0:1], 1.0
	v_cndmask_b32_e64 v1, v8, v1, s[0:1]
	v_cndmask_b32_e64 v0, v7, v0, s[0:1]
	v_mul_f64 v[5:6], v[5:6], v[0:1]
.LBB113_28:
	s_or_b64 exec, exec, s[4:5]
	global_store_dwordx2 v[3:4], v[5:6], off
.LBB113_29:
	s_endpgm
	.section	.rodata,"a",@progbits
	.p2align	6, 0x0
	.amdhsa_kernel _ZL40rocblas_trsm_block_backward_substitutionIddPKdPdLb0ELb0ELb0EEv18rocblas_operation_llT0_T1_lllT2_lllib
		.amdhsa_group_segment_fixed_size 0
		.amdhsa_private_segment_fixed_size 0
		.amdhsa_kernarg_size 360
		.amdhsa_user_sgpr_count 6
		.amdhsa_user_sgpr_private_segment_buffer 1
		.amdhsa_user_sgpr_dispatch_ptr 0
		.amdhsa_user_sgpr_queue_ptr 0
		.amdhsa_user_sgpr_kernarg_segment_ptr 1
		.amdhsa_user_sgpr_dispatch_id 0
		.amdhsa_user_sgpr_flat_scratch_init 0
		.amdhsa_user_sgpr_private_segment_size 0
		.amdhsa_uses_dynamic_stack 0
		.amdhsa_system_sgpr_private_segment_wavefront_offset 0
		.amdhsa_system_sgpr_workgroup_id_x 1
		.amdhsa_system_sgpr_workgroup_id_y 1
		.amdhsa_system_sgpr_workgroup_id_z 1
		.amdhsa_system_sgpr_workgroup_info 0
		.amdhsa_system_vgpr_workitem_id 1
		.amdhsa_next_free_vgpr 21
		.amdhsa_next_free_sgpr 40
		.amdhsa_reserve_vcc 1
		.amdhsa_reserve_flat_scratch 0
		.amdhsa_float_round_mode_32 0
		.amdhsa_float_round_mode_16_64 0
		.amdhsa_float_denorm_mode_32 3
		.amdhsa_float_denorm_mode_16_64 3
		.amdhsa_dx10_clamp 1
		.amdhsa_ieee_mode 1
		.amdhsa_fp16_overflow 0
		.amdhsa_exception_fp_ieee_invalid_op 0
		.amdhsa_exception_fp_denorm_src 0
		.amdhsa_exception_fp_ieee_div_zero 0
		.amdhsa_exception_fp_ieee_overflow 0
		.amdhsa_exception_fp_ieee_underflow 0
		.amdhsa_exception_fp_ieee_inexact 0
		.amdhsa_exception_int_div_zero 0
	.end_amdhsa_kernel
	.section	.text._ZL40rocblas_trsm_block_backward_substitutionIddPKdPdLb0ELb0ELb0EEv18rocblas_operation_llT0_T1_lllT2_lllib,"axG",@progbits,_ZL40rocblas_trsm_block_backward_substitutionIddPKdPdLb0ELb0ELb0EEv18rocblas_operation_llT0_T1_lllT2_lllib,comdat
.Lfunc_end113:
	.size	_ZL40rocblas_trsm_block_backward_substitutionIddPKdPdLb0ELb0ELb0EEv18rocblas_operation_llT0_T1_lllT2_lllib, .Lfunc_end113-_ZL40rocblas_trsm_block_backward_substitutionIddPKdPdLb0ELb0ELb0EEv18rocblas_operation_llT0_T1_lllT2_lllib
                                        ; -- End function
	.set _ZL40rocblas_trsm_block_backward_substitutionIddPKdPdLb0ELb0ELb0EEv18rocblas_operation_llT0_T1_lllT2_lllib.num_vgpr, 21
	.set _ZL40rocblas_trsm_block_backward_substitutionIddPKdPdLb0ELb0ELb0EEv18rocblas_operation_llT0_T1_lllT2_lllib.num_agpr, 0
	.set _ZL40rocblas_trsm_block_backward_substitutionIddPKdPdLb0ELb0ELb0EEv18rocblas_operation_llT0_T1_lllT2_lllib.numbered_sgpr, 40
	.set _ZL40rocblas_trsm_block_backward_substitutionIddPKdPdLb0ELb0ELb0EEv18rocblas_operation_llT0_T1_lllT2_lllib.num_named_barrier, 0
	.set _ZL40rocblas_trsm_block_backward_substitutionIddPKdPdLb0ELb0ELb0EEv18rocblas_operation_llT0_T1_lllT2_lllib.private_seg_size, 0
	.set _ZL40rocblas_trsm_block_backward_substitutionIddPKdPdLb0ELb0ELb0EEv18rocblas_operation_llT0_T1_lllT2_lllib.uses_vcc, 1
	.set _ZL40rocblas_trsm_block_backward_substitutionIddPKdPdLb0ELb0ELb0EEv18rocblas_operation_llT0_T1_lllT2_lllib.uses_flat_scratch, 0
	.set _ZL40rocblas_trsm_block_backward_substitutionIddPKdPdLb0ELb0ELb0EEv18rocblas_operation_llT0_T1_lllT2_lllib.has_dyn_sized_stack, 0
	.set _ZL40rocblas_trsm_block_backward_substitutionIddPKdPdLb0ELb0ELb0EEv18rocblas_operation_llT0_T1_lllT2_lllib.has_recursion, 0
	.set _ZL40rocblas_trsm_block_backward_substitutionIddPKdPdLb0ELb0ELb0EEv18rocblas_operation_llT0_T1_lllT2_lllib.has_indirect_call, 0
	.section	.AMDGPU.csdata,"",@progbits
; Kernel info:
; codeLenInByte = 1436
; TotalNumSgprs: 44
; NumVgprs: 21
; ScratchSize: 0
; MemoryBound: 1
; FloatMode: 240
; IeeeMode: 1
; LDSByteSize: 0 bytes/workgroup (compile time only)
; SGPRBlocks: 5
; VGPRBlocks: 5
; NumSGPRsForWavesPerEU: 44
; NumVGPRsForWavesPerEU: 21
; Occupancy: 10
; WaveLimiterHint : 1
; COMPUTE_PGM_RSRC2:SCRATCH_EN: 0
; COMPUTE_PGM_RSRC2:USER_SGPR: 6
; COMPUTE_PGM_RSRC2:TRAP_HANDLER: 0
; COMPUTE_PGM_RSRC2:TGID_X_EN: 1
; COMPUTE_PGM_RSRC2:TGID_Y_EN: 1
; COMPUTE_PGM_RSRC2:TGID_Z_EN: 1
; COMPUTE_PGM_RSRC2:TIDIG_COMP_CNT: 1
	.section	.text._ZL39rocblas_trsm_block_forward_substitutionIddPKdPdLb0ELb0ELb1EEv18rocblas_operation_llT0_T1_lllT2_lllib,"axG",@progbits,_ZL39rocblas_trsm_block_forward_substitutionIddPKdPdLb0ELb0ELb1EEv18rocblas_operation_llT0_T1_lllT2_lllib,comdat
	.globl	_ZL39rocblas_trsm_block_forward_substitutionIddPKdPdLb0ELb0ELb1EEv18rocblas_operation_llT0_T1_lllT2_lllib ; -- Begin function _ZL39rocblas_trsm_block_forward_substitutionIddPKdPdLb0ELb0ELb1EEv18rocblas_operation_llT0_T1_lllT2_lllib
	.p2align	8
	.type	_ZL39rocblas_trsm_block_forward_substitutionIddPKdPdLb0ELb0ELb1EEv18rocblas_operation_llT0_T1_lllT2_lllib,@function
_ZL39rocblas_trsm_block_forward_substitutionIddPKdPdLb0ELb0ELb1EEv18rocblas_operation_llT0_T1_lllT2_lllib: ; @_ZL39rocblas_trsm_block_forward_substitutionIddPKdPdLb0ELb0ELb1EEv18rocblas_operation_llT0_T1_lllT2_lllib
; %bb.0:
	s_load_dwordx16 s[12:27], s[4:5], 0x8
	s_load_dword s9, s[4:5], 0x64
	s_load_dword s6, s[4:5], 0x74
	v_mov_b32_e32 v2, v1
	s_waitcnt lgkmcnt(0)
	s_mul_i32 s0, s25, s8
	s_mul_hi_u32 s1, s24, s8
	s_add_i32 s1, s1, s0
	s_mul_i32 s0, s24, s8
	s_lshl_b64 s[0:1], s[0:1], 3
	s_add_u32 s2, s18, s0
	s_addc_u32 s3, s19, s1
	s_lshl_b64 s[0:1], s[20:21], 3
	s_add_u32 s2, s2, s0
	s_addc_u32 s3, s3, s1
	s_add_u32 s10, s4, 0x68
	s_addc_u32 s11, s5, 0
	s_lshr_b32 s6, s6, 16
	s_bitcmp0_b32 s9, 0
	s_cbranch_scc1 .LBB114_7
; %bb.1:
	v_cmp_lt_i64_e64 s[0:1], s[12:13], 1
	s_lshl_b32 s9, s6, 3
	s_add_i32 s18, s9, 0
	s_and_b64 vcc, exec, s[0:1]
	s_cbranch_vccnz .LBB114_6
; %bb.2:
	v_lshlrev_b32_e32 v4, 3, v0
	v_mov_b32_e32 v1, 0
	v_cmp_gt_u64_e64 s[0:1], s[12:13], v[0:1]
	v_mov_b32_e32 v5, s3
	v_add_co_u32_e32 v1, vcc, s2, v4
	v_add_u32_e32 v3, s18, v4
	v_addc_co_u32_e32 v4, vcc, 0, v5, vcc
	s_mov_b32 s9, 0
	s_branch .LBB114_4
.LBB114_3:                              ;   in Loop: Header=BB114_4 Depth=1
	s_or_b64 exec, exec, s[2:3]
	s_add_i32 s9, s9, s6
	s_ashr_i32 s2, s9, 31
	v_mov_b32_e32 v5, s9
	v_mov_b32_e32 v6, s2
	v_cmp_le_i64_e32 vcc, s[12:13], v[5:6]
	s_cbranch_vccnz .LBB114_6
.LBB114_4:                              ; =>This Inner Loop Header: Depth=1
	v_add_u32_e32 v5, s9, v2
	v_cmp_gt_i32_e32 vcc, v0, v5
	s_and_b64 s[20:21], s[0:1], vcc
	s_and_saveexec_b64 s[2:3], s[20:21]
	s_cbranch_execz .LBB114_3
; %bb.5:                                ;   in Loop: Header=BB114_4 Depth=1
	v_ashrrev_i32_e32 v8, 31, v5
	v_mul_lo_u32 v9, s23, v5
	v_mad_u64_u32 v[6:7], s[20:21], s22, v5, 0
	v_mul_lo_u32 v8, s22, v8
	s_load_dword s19, s[10:11], 0xc
	v_add3_u32 v7, v7, v8, v9
	v_lshlrev_b64 v[6:7], 3, v[6:7]
	s_waitcnt lgkmcnt(0)
	s_and_b32 s19, s19, 0xffff
	v_add_co_u32_e32 v6, vcc, v1, v6
	v_addc_co_u32_e32 v7, vcc, v4, v7, vcc
	global_load_dwordx2 v[6:7], v[6:7], off
	v_mul_lo_u32 v5, v5, s19
	v_lshl_add_u32 v5, v5, 3, v3
	s_waitcnt vmcnt(0)
	ds_write_b64 v5, v[6:7]
	s_branch .LBB114_3
.LBB114_6:
	s_mov_b64 s[0:1], src_shared_base
	s_load_dword s0, s[10:11], 0xc
	s_mov_b32 s19, s1
	s_mov_b32 s23, 0
	s_mov_b64 s[2:3], s[18:19]
	s_waitcnt lgkmcnt(0)
	s_and_b32 s22, s0, 0xffff
.LBB114_7:
	s_mul_i32 s7, s7, s6
	v_add_u32_e32 v3, s7, v2
	v_mov_b32_e32 v4, 0
	v_cmp_gt_i64_e32 vcc, s[14:15], v[3:4]
	s_and_saveexec_b64 s[0:1], vcc
	s_cbranch_execz .LBB114_17
; %bb.8:
	v_mov_b32_e32 v1, v4
	v_cmp_gt_i64_e32 vcc, s[12:13], v[0:1]
	s_and_b64 exec, exec, vcc
	s_cbranch_execz .LBB114_17
; %bb.9:
	s_load_dwordx2 s[0:1], s[4:5], 0x58
	s_load_dwordx4 s[28:31], s[4:5], 0x48
	v_lshlrev_b32_e32 v7, 3, v0
	s_waitcnt lgkmcnt(0)
	s_mul_i32 s1, s1, s8
	s_mul_hi_u32 s4, s0, s8
	s_add_i32 s1, s4, s1
	v_mad_u64_u32 v[4:5], s[4:5], s30, v3, 0
	s_mul_i32 s0, s0, s8
	s_lshl_b64 s[0:1], s[0:1], 3
	s_add_u32 s4, s26, s0
	s_addc_u32 s5, s27, s1
	v_mad_u64_u32 v[5:6], s[0:1], s31, v3, v[5:6]
	s_lshl_b64 s[0:1], s[28:29], 3
	s_add_u32 s0, s4, s0
	v_lshlrev_b64 v[3:4], 3, v[4:5]
	s_addc_u32 s1, s5, s1
	v_mov_b32_e32 v5, s1
	v_add_co_u32_e32 v3, vcc, s0, v3
	v_addc_co_u32_e32 v4, vcc, v5, v4, vcc
	v_add_co_u32_e32 v3, vcc, v3, v7
	v_addc_co_u32_e32 v4, vcc, 0, v4, vcc
	global_load_dwordx2 v[5:6], v[3:4], off
	v_cmp_lt_u64_e64 s[0:1], s[12:13], 2
	s_and_b64 vcc, exec, s[0:1]
	s_waitcnt vmcnt(0)
	v_mul_f64 v[5:6], s[16:17], v[5:6]
	s_cbranch_vccnz .LBB114_16
; %bb.10:
	s_add_u32 s0, s12, -1
	v_mov_b32_e32 v8, s3
	v_add_co_u32_e32 v7, vcc, s2, v7
	s_addc_u32 s1, s13, -1
	s_lshl_b64 s[2:3], s[22:23], 3
	v_addc_co_u32_e32 v8, vcc, 0, v8, vcc
	v_lshl_add_u32 v2, v2, 3, 0
	s_mov_b64 s[4:5], 0
	v_mov_b32_e32 v9, s3
	s_branch .LBB114_12
.LBB114_11:                             ;   in Loop: Header=BB114_12 Depth=1
	s_or_b64 exec, exec, s[6:7]
	s_add_u32 s4, s4, 1
	s_addc_u32 s5, s5, 0
	v_add_co_u32_e32 v7, vcc, s2, v7
	s_cmp_eq_u64 s[0:1], s[4:5]
	v_addc_co_u32_e32 v8, vcc, v8, v9, vcc
	s_cbranch_scc1 .LBB114_16
.LBB114_12:                             ; =>This Inner Loop Header: Depth=1
	v_cmp_eq_u64_e32 vcc, s[4:5], v[0:1]
	s_barrier
	s_and_saveexec_b64 s[6:7], vcc
; %bb.13:                               ;   in Loop: Header=BB114_12 Depth=1
	ds_write_b64 v2, v[5:6]
; %bb.14:                               ;   in Loop: Header=BB114_12 Depth=1
	s_or_b64 exec, exec, s[6:7]
	v_cmp_lt_u64_e32 vcc, s[4:5], v[0:1]
	s_waitcnt lgkmcnt(0)
	s_barrier
	s_and_saveexec_b64 s[6:7], vcc
	s_cbranch_execz .LBB114_11
; %bb.15:                               ;   in Loop: Header=BB114_12 Depth=1
	flat_load_dwordx2 v[10:11], v[7:8]
	ds_read_b64 v[12:13], v2
	s_waitcnt vmcnt(0) lgkmcnt(0)
	v_fma_f64 v[5:6], -v[10:11], v[12:13], v[5:6]
	s_branch .LBB114_11
.LBB114_16:
	global_store_dwordx2 v[3:4], v[5:6], off
.LBB114_17:
	s_endpgm
	.section	.rodata,"a",@progbits
	.p2align	6, 0x0
	.amdhsa_kernel _ZL39rocblas_trsm_block_forward_substitutionIddPKdPdLb0ELb0ELb1EEv18rocblas_operation_llT0_T1_lllT2_lllib
		.amdhsa_group_segment_fixed_size 0
		.amdhsa_private_segment_fixed_size 0
		.amdhsa_kernarg_size 360
		.amdhsa_user_sgpr_count 6
		.amdhsa_user_sgpr_private_segment_buffer 1
		.amdhsa_user_sgpr_dispatch_ptr 0
		.amdhsa_user_sgpr_queue_ptr 0
		.amdhsa_user_sgpr_kernarg_segment_ptr 1
		.amdhsa_user_sgpr_dispatch_id 0
		.amdhsa_user_sgpr_flat_scratch_init 0
		.amdhsa_user_sgpr_private_segment_size 0
		.amdhsa_uses_dynamic_stack 0
		.amdhsa_system_sgpr_private_segment_wavefront_offset 0
		.amdhsa_system_sgpr_workgroup_id_x 1
		.amdhsa_system_sgpr_workgroup_id_y 1
		.amdhsa_system_sgpr_workgroup_id_z 1
		.amdhsa_system_sgpr_workgroup_info 0
		.amdhsa_system_vgpr_workitem_id 1
		.amdhsa_next_free_vgpr 14
		.amdhsa_next_free_sgpr 32
		.amdhsa_reserve_vcc 1
		.amdhsa_reserve_flat_scratch 0
		.amdhsa_float_round_mode_32 0
		.amdhsa_float_round_mode_16_64 0
		.amdhsa_float_denorm_mode_32 3
		.amdhsa_float_denorm_mode_16_64 3
		.amdhsa_dx10_clamp 1
		.amdhsa_ieee_mode 1
		.amdhsa_fp16_overflow 0
		.amdhsa_exception_fp_ieee_invalid_op 0
		.amdhsa_exception_fp_denorm_src 0
		.amdhsa_exception_fp_ieee_div_zero 0
		.amdhsa_exception_fp_ieee_overflow 0
		.amdhsa_exception_fp_ieee_underflow 0
		.amdhsa_exception_fp_ieee_inexact 0
		.amdhsa_exception_int_div_zero 0
	.end_amdhsa_kernel
	.section	.text._ZL39rocblas_trsm_block_forward_substitutionIddPKdPdLb0ELb0ELb1EEv18rocblas_operation_llT0_T1_lllT2_lllib,"axG",@progbits,_ZL39rocblas_trsm_block_forward_substitutionIddPKdPdLb0ELb0ELb1EEv18rocblas_operation_llT0_T1_lllT2_lllib,comdat
.Lfunc_end114:
	.size	_ZL39rocblas_trsm_block_forward_substitutionIddPKdPdLb0ELb0ELb1EEv18rocblas_operation_llT0_T1_lllT2_lllib, .Lfunc_end114-_ZL39rocblas_trsm_block_forward_substitutionIddPKdPdLb0ELb0ELb1EEv18rocblas_operation_llT0_T1_lllT2_lllib
                                        ; -- End function
	.set _ZL39rocblas_trsm_block_forward_substitutionIddPKdPdLb0ELb0ELb1EEv18rocblas_operation_llT0_T1_lllT2_lllib.num_vgpr, 14
	.set _ZL39rocblas_trsm_block_forward_substitutionIddPKdPdLb0ELb0ELb1EEv18rocblas_operation_llT0_T1_lllT2_lllib.num_agpr, 0
	.set _ZL39rocblas_trsm_block_forward_substitutionIddPKdPdLb0ELb0ELb1EEv18rocblas_operation_llT0_T1_lllT2_lllib.numbered_sgpr, 32
	.set _ZL39rocblas_trsm_block_forward_substitutionIddPKdPdLb0ELb0ELb1EEv18rocblas_operation_llT0_T1_lllT2_lllib.num_named_barrier, 0
	.set _ZL39rocblas_trsm_block_forward_substitutionIddPKdPdLb0ELb0ELb1EEv18rocblas_operation_llT0_T1_lllT2_lllib.private_seg_size, 0
	.set _ZL39rocblas_trsm_block_forward_substitutionIddPKdPdLb0ELb0ELb1EEv18rocblas_operation_llT0_T1_lllT2_lllib.uses_vcc, 1
	.set _ZL39rocblas_trsm_block_forward_substitutionIddPKdPdLb0ELb0ELb1EEv18rocblas_operation_llT0_T1_lllT2_lllib.uses_flat_scratch, 0
	.set _ZL39rocblas_trsm_block_forward_substitutionIddPKdPdLb0ELb0ELb1EEv18rocblas_operation_llT0_T1_lllT2_lllib.has_dyn_sized_stack, 0
	.set _ZL39rocblas_trsm_block_forward_substitutionIddPKdPdLb0ELb0ELb1EEv18rocblas_operation_llT0_T1_lllT2_lllib.has_recursion, 0
	.set _ZL39rocblas_trsm_block_forward_substitutionIddPKdPdLb0ELb0ELb1EEv18rocblas_operation_llT0_T1_lllT2_lllib.has_indirect_call, 0
	.section	.AMDGPU.csdata,"",@progbits
; Kernel info:
; codeLenInByte = 700
; TotalNumSgprs: 36
; NumVgprs: 14
; ScratchSize: 0
; MemoryBound: 0
; FloatMode: 240
; IeeeMode: 1
; LDSByteSize: 0 bytes/workgroup (compile time only)
; SGPRBlocks: 4
; VGPRBlocks: 3
; NumSGPRsForWavesPerEU: 36
; NumVGPRsForWavesPerEU: 14
; Occupancy: 10
; WaveLimiterHint : 1
; COMPUTE_PGM_RSRC2:SCRATCH_EN: 0
; COMPUTE_PGM_RSRC2:USER_SGPR: 6
; COMPUTE_PGM_RSRC2:TRAP_HANDLER: 0
; COMPUTE_PGM_RSRC2:TGID_X_EN: 1
; COMPUTE_PGM_RSRC2:TGID_Y_EN: 1
; COMPUTE_PGM_RSRC2:TGID_Z_EN: 1
; COMPUTE_PGM_RSRC2:TIDIG_COMP_CNT: 1
	.section	.text._ZL40rocblas_trsm_block_backward_substitutionIddPKdPdLb0ELb0ELb1EEv18rocblas_operation_llT0_T1_lllT2_lllib,"axG",@progbits,_ZL40rocblas_trsm_block_backward_substitutionIddPKdPdLb0ELb0ELb1EEv18rocblas_operation_llT0_T1_lllT2_lllib,comdat
	.globl	_ZL40rocblas_trsm_block_backward_substitutionIddPKdPdLb0ELb0ELb1EEv18rocblas_operation_llT0_T1_lllT2_lllib ; -- Begin function _ZL40rocblas_trsm_block_backward_substitutionIddPKdPdLb0ELb0ELb1EEv18rocblas_operation_llT0_T1_lllT2_lllib
	.p2align	8
	.type	_ZL40rocblas_trsm_block_backward_substitutionIddPKdPdLb0ELb0ELb1EEv18rocblas_operation_llT0_T1_lllT2_lllib,@function
_ZL40rocblas_trsm_block_backward_substitutionIddPKdPdLb0ELb0ELb1EEv18rocblas_operation_llT0_T1_lllT2_lllib: ; @_ZL40rocblas_trsm_block_backward_substitutionIddPKdPdLb0ELb0ELb1EEv18rocblas_operation_llT0_T1_lllT2_lllib
; %bb.0:
	s_load_dwordx16 s[12:27], s[4:5], 0x8
	s_load_dword s9, s[4:5], 0x64
	s_load_dword s6, s[4:5], 0x74
	v_mov_b32_e32 v2, v1
	s_waitcnt lgkmcnt(0)
	s_mul_i32 s0, s25, s8
	s_mul_hi_u32 s1, s24, s8
	s_add_i32 s1, s1, s0
	s_mul_i32 s0, s24, s8
	s_lshl_b64 s[0:1], s[0:1], 3
	s_add_u32 s2, s18, s0
	s_addc_u32 s3, s19, s1
	s_lshl_b64 s[0:1], s[20:21], 3
	s_add_u32 s2, s2, s0
	s_addc_u32 s3, s3, s1
	s_add_u32 s18, s4, 0x68
	s_addc_u32 s19, s5, 0
	s_lshr_b32 s6, s6, 16
	s_bitcmp0_b32 s9, 0
	s_mov_b64 s[0:1], 1
	s_cbranch_scc1 .LBB115_6
; %bb.1:
	s_lshl_b32 s0, s6, 3
	s_add_i32 s20, s0, 0
	v_cmp_lt_i64_e64 s[0:1], s[12:13], 1
	s_mov_b64 s[10:11], 1
	s_and_b64 vcc, exec, s[0:1]
	s_cbranch_vccnz .LBB115_7
; %bb.2:
	v_mad_u64_u32 v[3:4], s[0:1], s22, v0, 0
	v_lshl_add_u32 v5, v0, 3, s20
	s_mov_b32 s9, 0
	v_mov_b32_e32 v1, v4
	v_mad_u64_u32 v[6:7], s[0:1], s23, v0, v[1:2]
	v_mov_b32_e32 v1, 0
	v_mov_b32_e32 v7, s3
	;; [unrolled: 1-line block ×3, first 2 shown]
	v_lshlrev_b64 v[3:4], 3, v[3:4]
	v_cmp_gt_u64_e64 s[0:1], s[12:13], v[0:1]
	v_add_co_u32_e32 v1, vcc, s2, v3
	v_addc_co_u32_e32 v6, vcc, v7, v4, vcc
	s_branch .LBB115_4
.LBB115_3:                              ;   in Loop: Header=BB115_4 Depth=1
	s_or_b64 exec, exec, s[2:3]
	s_add_i32 s9, s9, s6
	s_ashr_i32 s2, s9, 31
	v_mov_b32_e32 v3, s9
	v_mov_b32_e32 v4, s2
	v_cmp_le_i64_e32 vcc, s[12:13], v[3:4]
	s_cbranch_vccnz .LBB115_7
.LBB115_4:                              ; =>This Inner Loop Header: Depth=1
	v_add_u32_e32 v3, s9, v2
	v_ashrrev_i32_e32 v4, 31, v3
	v_cmp_gt_i64_e32 vcc, s[12:13], v[3:4]
	v_cmp_lt_i32_e64 s[2:3], v0, v3
	s_and_b64 s[2:3], s[2:3], vcc
	s_and_b64 s[22:23], s[0:1], s[2:3]
	s_and_saveexec_b64 s[2:3], s[22:23]
	s_cbranch_execz .LBB115_3
; %bb.5:                                ;   in Loop: Header=BB115_4 Depth=1
	v_lshlrev_b64 v[7:8], 3, v[3:4]
	s_load_dword s21, s[18:19], 0xc
	v_add_co_u32_e32 v7, vcc, v1, v7
	v_addc_co_u32_e32 v8, vcc, v6, v8, vcc
	global_load_dwordx2 v[7:8], v[7:8], off
	s_waitcnt lgkmcnt(0)
	s_and_b32 s21, s21, 0xffff
	v_mul_lo_u32 v3, v3, s21
	v_lshl_add_u32 v3, v3, 3, v5
	s_waitcnt vmcnt(0)
	ds_write_b64 v3, v[7:8]
	s_branch .LBB115_3
.LBB115_6:
	s_mov_b64 s[10:11], s[22:23]
	s_branch .LBB115_8
.LBB115_7:
	s_mov_b64 s[0:1], src_shared_base
	s_load_dword s0, s[18:19], 0xc
	s_mov_b32 s21, s1
	s_mov_b64 s[2:3], s[20:21]
	s_waitcnt lgkmcnt(0)
	s_and_b32 s0, s0, 0xffff
.LBB115_8:
	s_mul_i32 s7, s7, s6
	v_add_u32_e32 v3, s7, v2
	v_mov_b32_e32 v4, 0
	v_cmp_gt_i64_e32 vcc, s[14:15], v[3:4]
	s_and_saveexec_b64 s[6:7], vcc
	s_cbranch_execz .LBB115_19
; %bb.9:
	v_mov_b32_e32 v1, v4
	v_cmp_gt_i64_e32 vcc, s[12:13], v[0:1]
	s_and_b64 exec, exec, vcc
	s_cbranch_execz .LBB115_19
; %bb.10:
	s_load_dwordx2 s[6:7], s[4:5], 0x58
	s_load_dwordx4 s[20:23], s[4:5], 0x48
	v_lshlrev_b64 v[3:4], 3, v[3:4]
	s_waitcnt lgkmcnt(0)
	s_mul_i32 s1, s7, s8
	s_mul_hi_u32 s5, s6, s8
	s_mul_i32 s4, s6, s8
	v_mad_u64_u32 v[5:6], s[6:7], s22, v0, 0
	s_add_i32 s5, s5, s1
	s_lshl_b64 s[4:5], s[4:5], 3
	s_add_u32 s1, s26, s4
	s_addc_u32 s6, s27, s5
	v_mad_u64_u32 v[6:7], s[4:5], s23, v0, v[6:7]
	s_lshl_b64 s[4:5], s[20:21], 3
	s_add_u32 s1, s1, s4
	v_lshlrev_b64 v[5:6], 3, v[5:6]
	s_addc_u32 s4, s6, s5
	v_mov_b32_e32 v7, s4
	v_add_co_u32_e32 v5, vcc, s1, v5
	v_addc_co_u32_e32 v6, vcc, v7, v6, vcc
	v_add_co_u32_e32 v3, vcc, v5, v3
	v_addc_co_u32_e32 v4, vcc, v6, v4, vcc
	global_load_dwordx2 v[5:6], v[3:4], off
	v_cmp_lt_u64_e64 s[4:5], s[12:13], 2
	s_and_b64 vcc, exec, s[4:5]
	s_waitcnt vmcnt(0)
	v_mul_f64 v[5:6], s[16:17], v[5:6]
	s_cbranch_vccnz .LBB115_18
; %bb.11:
	v_mad_u64_u32 v[7:8], s[4:5], s10, v0, 0
	v_lshl_add_u32 v2, v2, 3, 0
	v_mad_u64_u32 v[8:9], s[4:5], s11, v0, v[8:9]
	s_add_u32 s4, s12, -1
	s_addc_u32 s5, s13, -1
	s_mul_i32 s1, s0, s5
	s_mul_hi_u32 s6, s0, s4
	s_add_i32 s7, s6, s1
	s_mul_i32 s6, s0, s4
	s_lshl_b64 s[6:7], s[6:7], 3
	v_lshlrev_b64 v[7:8], 3, v[7:8]
	s_add_u32 s1, s2, s6
	s_addc_u32 s2, s3, s7
	s_lshl_b32 s0, s0, 3
	v_mov_b32_e32 v9, s2
	v_add_co_u32_e32 v7, vcc, s1, v7
	s_sub_u32 s2, 0, s0
	v_addc_co_u32_e32 v8, vcc, v9, v8, vcc
	s_subb_u32 s3, 0, 0
.LBB115_12:                             ; =>This Inner Loop Header: Depth=1
	v_cmp_eq_u64_e32 vcc, s[4:5], v[0:1]
	s_barrier
	s_and_saveexec_b64 s[0:1], vcc
; %bb.13:                               ;   in Loop: Header=BB115_12 Depth=1
	ds_write_b64 v2, v[5:6]
; %bb.14:                               ;   in Loop: Header=BB115_12 Depth=1
	s_or_b64 exec, exec, s[0:1]
	v_cmp_gt_i64_e32 vcc, s[4:5], v[0:1]
	s_waitcnt lgkmcnt(0)
	s_barrier
	s_and_saveexec_b64 s[0:1], vcc
	s_cbranch_execz .LBB115_16
; %bb.15:                               ;   in Loop: Header=BB115_12 Depth=1
	flat_load_dwordx2 v[9:10], v[7:8]
	ds_read_b64 v[11:12], v2
	s_waitcnt vmcnt(0) lgkmcnt(0)
	v_fma_f64 v[5:6], -v[9:10], v[11:12], v[5:6]
.LBB115_16:                             ;   in Loop: Header=BB115_12 Depth=1
	s_or_b64 exec, exec, s[0:1]
	s_add_u32 s0, s4, -1
	s_addc_u32 s1, s5, -1
	s_add_u32 s4, s4, 1
	s_addc_u32 s5, s5, 0
	v_mov_b32_e32 v9, s3
	v_cmp_lt_u64_e64 s[4:5], s[4:5], 3
	v_add_co_u32_e32 v7, vcc, s2, v7
	v_addc_co_u32_e32 v8, vcc, v8, v9, vcc
	s_and_b64 vcc, exec, s[4:5]
	s_cbranch_vccnz .LBB115_18
; %bb.17:                               ;   in Loop: Header=BB115_12 Depth=1
	s_mov_b64 s[4:5], s[0:1]
	s_branch .LBB115_12
.LBB115_18:
	global_store_dwordx2 v[3:4], v[5:6], off
.LBB115_19:
	s_endpgm
	.section	.rodata,"a",@progbits
	.p2align	6, 0x0
	.amdhsa_kernel _ZL40rocblas_trsm_block_backward_substitutionIddPKdPdLb0ELb0ELb1EEv18rocblas_operation_llT0_T1_lllT2_lllib
		.amdhsa_group_segment_fixed_size 0
		.amdhsa_private_segment_fixed_size 0
		.amdhsa_kernarg_size 360
		.amdhsa_user_sgpr_count 6
		.amdhsa_user_sgpr_private_segment_buffer 1
		.amdhsa_user_sgpr_dispatch_ptr 0
		.amdhsa_user_sgpr_queue_ptr 0
		.amdhsa_user_sgpr_kernarg_segment_ptr 1
		.amdhsa_user_sgpr_dispatch_id 0
		.amdhsa_user_sgpr_flat_scratch_init 0
		.amdhsa_user_sgpr_private_segment_size 0
		.amdhsa_uses_dynamic_stack 0
		.amdhsa_system_sgpr_private_segment_wavefront_offset 0
		.amdhsa_system_sgpr_workgroup_id_x 1
		.amdhsa_system_sgpr_workgroup_id_y 1
		.amdhsa_system_sgpr_workgroup_id_z 1
		.amdhsa_system_sgpr_workgroup_info 0
		.amdhsa_system_vgpr_workitem_id 1
		.amdhsa_next_free_vgpr 13
		.amdhsa_next_free_sgpr 28
		.amdhsa_reserve_vcc 1
		.amdhsa_reserve_flat_scratch 0
		.amdhsa_float_round_mode_32 0
		.amdhsa_float_round_mode_16_64 0
		.amdhsa_float_denorm_mode_32 3
		.amdhsa_float_denorm_mode_16_64 3
		.amdhsa_dx10_clamp 1
		.amdhsa_ieee_mode 1
		.amdhsa_fp16_overflow 0
		.amdhsa_exception_fp_ieee_invalid_op 0
		.amdhsa_exception_fp_denorm_src 0
		.amdhsa_exception_fp_ieee_div_zero 0
		.amdhsa_exception_fp_ieee_overflow 0
		.amdhsa_exception_fp_ieee_underflow 0
		.amdhsa_exception_fp_ieee_inexact 0
		.amdhsa_exception_int_div_zero 0
	.end_amdhsa_kernel
	.section	.text._ZL40rocblas_trsm_block_backward_substitutionIddPKdPdLb0ELb0ELb1EEv18rocblas_operation_llT0_T1_lllT2_lllib,"axG",@progbits,_ZL40rocblas_trsm_block_backward_substitutionIddPKdPdLb0ELb0ELb1EEv18rocblas_operation_llT0_T1_lllT2_lllib,comdat
.Lfunc_end115:
	.size	_ZL40rocblas_trsm_block_backward_substitutionIddPKdPdLb0ELb0ELb1EEv18rocblas_operation_llT0_T1_lllT2_lllib, .Lfunc_end115-_ZL40rocblas_trsm_block_backward_substitutionIddPKdPdLb0ELb0ELb1EEv18rocblas_operation_llT0_T1_lllT2_lllib
                                        ; -- End function
	.set _ZL40rocblas_trsm_block_backward_substitutionIddPKdPdLb0ELb0ELb1EEv18rocblas_operation_llT0_T1_lllT2_lllib.num_vgpr, 13
	.set _ZL40rocblas_trsm_block_backward_substitutionIddPKdPdLb0ELb0ELb1EEv18rocblas_operation_llT0_T1_lllT2_lllib.num_agpr, 0
	.set _ZL40rocblas_trsm_block_backward_substitutionIddPKdPdLb0ELb0ELb1EEv18rocblas_operation_llT0_T1_lllT2_lllib.numbered_sgpr, 28
	.set _ZL40rocblas_trsm_block_backward_substitutionIddPKdPdLb0ELb0ELb1EEv18rocblas_operation_llT0_T1_lllT2_lllib.num_named_barrier, 0
	.set _ZL40rocblas_trsm_block_backward_substitutionIddPKdPdLb0ELb0ELb1EEv18rocblas_operation_llT0_T1_lllT2_lllib.private_seg_size, 0
	.set _ZL40rocblas_trsm_block_backward_substitutionIddPKdPdLb0ELb0ELb1EEv18rocblas_operation_llT0_T1_lllT2_lllib.uses_vcc, 1
	.set _ZL40rocblas_trsm_block_backward_substitutionIddPKdPdLb0ELb0ELb1EEv18rocblas_operation_llT0_T1_lllT2_lllib.uses_flat_scratch, 0
	.set _ZL40rocblas_trsm_block_backward_substitutionIddPKdPdLb0ELb0ELb1EEv18rocblas_operation_llT0_T1_lllT2_lllib.has_dyn_sized_stack, 0
	.set _ZL40rocblas_trsm_block_backward_substitutionIddPKdPdLb0ELb0ELb1EEv18rocblas_operation_llT0_T1_lllT2_lllib.has_recursion, 0
	.set _ZL40rocblas_trsm_block_backward_substitutionIddPKdPdLb0ELb0ELb1EEv18rocblas_operation_llT0_T1_lllT2_lllib.has_indirect_call, 0
	.section	.AMDGPU.csdata,"",@progbits
; Kernel info:
; codeLenInByte = 800
; TotalNumSgprs: 32
; NumVgprs: 13
; ScratchSize: 0
; MemoryBound: 0
; FloatMode: 240
; IeeeMode: 1
; LDSByteSize: 0 bytes/workgroup (compile time only)
; SGPRBlocks: 3
; VGPRBlocks: 3
; NumSGPRsForWavesPerEU: 32
; NumVGPRsForWavesPerEU: 13
; Occupancy: 10
; WaveLimiterHint : 1
; COMPUTE_PGM_RSRC2:SCRATCH_EN: 0
; COMPUTE_PGM_RSRC2:USER_SGPR: 6
; COMPUTE_PGM_RSRC2:TRAP_HANDLER: 0
; COMPUTE_PGM_RSRC2:TGID_X_EN: 1
; COMPUTE_PGM_RSRC2:TGID_Y_EN: 1
; COMPUTE_PGM_RSRC2:TGID_Z_EN: 1
; COMPUTE_PGM_RSRC2:TIDIG_COMP_CNT: 1
	.section	.text._ZL39rocblas_trsm_block_forward_substitutionIddPKdPdLb0ELb1ELb0EEv18rocblas_operation_llT0_T1_lllT2_lllib,"axG",@progbits,_ZL39rocblas_trsm_block_forward_substitutionIddPKdPdLb0ELb1ELb0EEv18rocblas_operation_llT0_T1_lllT2_lllib,comdat
	.globl	_ZL39rocblas_trsm_block_forward_substitutionIddPKdPdLb0ELb1ELb0EEv18rocblas_operation_llT0_T1_lllT2_lllib ; -- Begin function _ZL39rocblas_trsm_block_forward_substitutionIddPKdPdLb0ELb1ELb0EEv18rocblas_operation_llT0_T1_lllT2_lllib
	.p2align	8
	.type	_ZL39rocblas_trsm_block_forward_substitutionIddPKdPdLb0ELb1ELb0EEv18rocblas_operation_llT0_T1_lllT2_lllib,@function
_ZL39rocblas_trsm_block_forward_substitutionIddPKdPdLb0ELb1ELb0EEv18rocblas_operation_llT0_T1_lllT2_lllib: ; @_ZL39rocblas_trsm_block_forward_substitutionIddPKdPdLb0ELb1ELb0EEv18rocblas_operation_llT0_T1_lllT2_lllib
; %bb.0:
	s_load_dword s9, s[4:5], 0x64
	s_load_dwordx16 s[12:27], s[4:5], 0x8
	s_load_dword s6, s[4:5], 0x74
	v_mov_b32_e32 v2, v1
	s_waitcnt lgkmcnt(0)
	s_bitcmp1_b32 s9, 0
	s_mul_i32 s2, s25, s8
	s_mul_hi_u32 s3, s24, s8
	s_cselect_b64 s[0:1], -1, 0
	s_add_i32 s3, s3, s2
	s_mul_i32 s2, s24, s8
	s_lshl_b64 s[2:3], s[2:3], 3
	s_add_u32 s10, s18, s2
	s_addc_u32 s11, s19, s3
	s_lshl_b64 s[2:3], s[20:21], 3
	s_add_u32 s2, s10, s2
	s_addc_u32 s3, s11, s3
	s_add_u32 s10, s4, 0x68
	s_addc_u32 s11, s5, 0
	s_lshr_b32 s6, s6, 16
	s_bitcmp0_b32 s9, 0
	s_cbranch_scc1 .LBB116_13
; %bb.1:
	v_cmp_lt_i64_e64 s[20:21], s[12:13], 1
	s_lshl_b32 s9, s6, 3
	s_add_i32 s18, s9, 0
	s_and_b64 vcc, exec, s[20:21]
	s_cbranch_vccnz .LBB116_12
; %bb.2:
	v_mad_u64_u32 v[3:4], s[20:21], s22, v0, 0
	v_mov_b32_e32 v1, 0
	v_cmp_le_u64_e32 vcc, s[12:13], v[0:1]
	v_mov_b32_e32 v1, v4
	v_mad_u64_u32 v[4:5], s[20:21], s23, v0, v[1:2]
	v_lshlrev_b32_e32 v6, 3, v0
	v_mov_b32_e32 v8, s3
	v_add_co_u32_e64 v1, s[2:3], s2, v6
	v_lshlrev_b64 v[3:4], 3, v[3:4]
	v_addc_co_u32_e64 v8, s[2:3], 0, v8, s[2:3]
	v_add_co_u32_e64 v3, s[2:3], v1, v3
	v_addc_co_u32_e64 v4, s[2:3], v8, v4, s[2:3]
	v_add_u32_e32 v7, s18, v6
	s_xor_b64 s[2:3], vcc, -1
	s_mov_b32 s9, s6
	v_mov_b32_e32 v9, v2
	s_branch .LBB116_4
.LBB116_3:                              ;   in Loop: Header=BB116_4 Depth=1
	s_or_b64 exec, exec, s[24:25]
	s_ashr_i32 s19, s9, 31
	s_waitcnt vmcnt(0)
	v_mov_b32_e32 v5, s9
	v_mov_b32_e32 v6, s19
	v_cmp_le_i64_e32 vcc, s[12:13], v[5:6]
	v_add_u32_e32 v9, s6, v9
	s_add_i32 s9, s9, s6
	s_cbranch_vccnz .LBB116_12
.LBB116_4:                              ; =>This Inner Loop Header: Depth=1
	v_cmp_gt_i32_e32 vcc, v0, v9
	s_and_b64 s[24:25], s[2:3], vcc
	s_mov_b64 s[20:21], 0
                                        ; implicit-def: $vgpr5_vgpr6
	s_and_saveexec_b64 s[28:29], s[24:25]
	s_xor_b64 s[24:25], exec, s[28:29]
	s_cbranch_execnz .LBB116_7
; %bb.5:                                ;   in Loop: Header=BB116_4 Depth=1
	s_or_saveexec_b64 s[24:25], s[24:25]
	v_mov_b32_e32 v10, v9
	s_xor_b64 exec, exec, s[24:25]
	s_cbranch_execnz .LBB116_8
.LBB116_6:                              ;   in Loop: Header=BB116_4 Depth=1
	s_or_b64 exec, exec, s[24:25]
	s_and_saveexec_b64 s[24:25], s[20:21]
	s_cbranch_execz .LBB116_3
	s_branch .LBB116_11
.LBB116_7:                              ;   in Loop: Header=BB116_4 Depth=1
	v_ashrrev_i32_e32 v5, 31, v9
	v_mul_lo_u32 v10, s23, v9
	v_mul_lo_u32 v11, s22, v5
	v_mad_u64_u32 v[5:6], s[28:29], s22, v9, 0
	s_mov_b64 s[20:21], exec
	v_add3_u32 v6, v6, v11, v10
	v_lshlrev_b64 v[5:6], 3, v[5:6]
	v_add_co_u32_e32 v5, vcc, v1, v5
	v_addc_co_u32_e32 v6, vcc, v8, v6, vcc
	global_load_dwordx2 v[5:6], v[5:6], off
	s_or_saveexec_b64 s[24:25], s[24:25]
	v_mov_b32_e32 v10, v9
	s_xor_b64 exec, exec, s[24:25]
	s_cbranch_execz .LBB116_6
.LBB116_8:                              ;   in Loop: Header=BB116_4 Depth=1
	v_cmp_eq_u32_e32 vcc, v0, v9
	s_and_b64 s[34:35], s[2:3], vcc
	s_mov_b64 s[30:31], s[20:21]
                                        ; implicit-def: $vgpr5_vgpr6
	s_and_saveexec_b64 s[28:29], s[34:35]
	s_cbranch_execz .LBB116_10
; %bb.9:                                ;   in Loop: Header=BB116_4 Depth=1
	global_load_dwordx2 v[5:6], v[3:4], off
	s_waitcnt vmcnt(0)
	v_div_scale_f64 v[10:11], s[30:31], v[5:6], v[5:6], 1.0
	v_div_scale_f64 v[16:17], vcc, 1.0, v[5:6], 1.0
	s_or_b64 s[30:31], s[20:21], exec
	v_rcp_f64_e32 v[12:13], v[10:11]
	v_fma_f64 v[14:15], -v[10:11], v[12:13], 1.0
	v_fma_f64 v[12:13], v[12:13], v[14:15], v[12:13]
	v_fma_f64 v[14:15], -v[10:11], v[12:13], 1.0
	v_fma_f64 v[12:13], v[12:13], v[14:15], v[12:13]
	v_mul_f64 v[14:15], v[16:17], v[12:13]
	v_fma_f64 v[10:11], -v[10:11], v[14:15], v[16:17]
	v_div_fmas_f64 v[10:11], v[10:11], v[12:13], v[14:15]
	v_div_fixup_f64 v[5:6], v[10:11], v[5:6], 1.0
.LBB116_10:                             ;   in Loop: Header=BB116_4 Depth=1
	s_or_b64 exec, exec, s[28:29]
	s_andn2_b64 s[20:21], s[20:21], exec
	s_and_b64 s[28:29], s[30:31], exec
	s_or_b64 s[20:21], s[20:21], s[28:29]
	v_mov_b32_e32 v10, v0
	s_or_b64 exec, exec, s[24:25]
	s_and_saveexec_b64 s[24:25], s[20:21]
	s_cbranch_execz .LBB116_3
.LBB116_11:                             ;   in Loop: Header=BB116_4 Depth=1
	s_load_dword s19, s[10:11], 0xc
	s_waitcnt lgkmcnt(0)
	s_and_b32 s19, s19, 0xffff
	v_mul_lo_u32 v10, v10, s19
	v_lshl_add_u32 v10, v10, 3, v7
	s_waitcnt vmcnt(0)
	ds_write_b64 v10, v[5:6]
	s_branch .LBB116_3
.LBB116_12:
	s_mov_b64 s[2:3], src_shared_base
	s_load_dword s2, s[10:11], 0xc
	s_mov_b32 s19, s3
	s_mov_b32 s23, 0
	s_waitcnt lgkmcnt(0)
	s_and_b32 s22, s2, 0xffff
	s_mov_b64 s[2:3], s[18:19]
.LBB116_13:
	s_mul_i32 s7, s7, s6
	v_add_u32_e32 v3, s7, v2
	v_mov_b32_e32 v4, 0
	v_cmp_gt_i64_e32 vcc, s[14:15], v[3:4]
	s_and_saveexec_b64 s[6:7], vcc
	s_cbranch_execz .LBB116_25
; %bb.14:
	v_mov_b32_e32 v1, v4
	v_cmp_gt_i64_e32 vcc, s[12:13], v[0:1]
	s_and_b64 exec, exec, vcc
	s_cbranch_execz .LBB116_25
; %bb.15:
	s_load_dwordx2 s[6:7], s[4:5], 0x58
	s_load_dwordx4 s[28:31], s[4:5], 0x48
	v_lshlrev_b64 v[3:4], 3, v[3:4]
	s_waitcnt lgkmcnt(0)
	s_mul_i32 s5, s7, s8
	s_mul_hi_u32 s7, s6, s8
	s_mul_i32 s4, s6, s8
	s_add_i32 s5, s7, s5
	v_mad_u64_u32 v[5:6], s[6:7], s30, v0, 0
	s_lshl_b64 s[4:5], s[4:5], 3
	s_add_u32 s6, s26, s4
	s_addc_u32 s7, s27, s5
	v_mad_u64_u32 v[6:7], s[4:5], s31, v0, v[6:7]
	s_lshl_b64 s[4:5], s[28:29], 3
	s_add_u32 s4, s6, s4
	v_lshlrev_b64 v[5:6], 3, v[5:6]
	s_addc_u32 s5, s7, s5
	v_mov_b32_e32 v7, s5
	v_add_co_u32_e32 v5, vcc, s4, v5
	v_addc_co_u32_e32 v6, vcc, v7, v6, vcc
	v_add_co_u32_e32 v3, vcc, v5, v3
	v_addc_co_u32_e32 v4, vcc, v6, v4, vcc
	global_load_dwordx2 v[5:6], v[3:4], off
	v_cmp_lt_u64_e64 s[6:7], s[12:13], 2
	s_add_u32 s4, s12, -1
	s_addc_u32 s5, s13, -1
	s_and_b64 vcc, exec, s[6:7]
	s_waitcnt vmcnt(0)
	v_mul_f64 v[5:6], s[16:17], v[5:6]
	s_cbranch_vccnz .LBB116_22
; %bb.16:
	v_mad_u64_u32 v[9:10], s[6:7], v0, s22, v[0:1]
	v_lshlrev_b32_e32 v8, 3, v0
	v_mov_b32_e32 v12, s3
	v_mov_b32_e32 v7, v10
	v_mad_u64_u32 v[10:11], s[6:7], v0, s23, v[7:8]
	v_add_co_u32_e32 v7, vcc, s2, v8
	v_lshlrev_b64 v[9:10], 3, v[9:10]
	v_addc_co_u32_e32 v8, vcc, 0, v12, vcc
	v_add_co_u32_e32 v9, vcc, s2, v9
	v_addc_co_u32_e32 v10, vcc, v12, v10, vcc
	v_lshl_add_u32 v2, v2, 3, 0
	s_lshl_b64 s[6:7], s[22:23], 3
	s_mov_b64 s[8:9], 0
	s_branch .LBB116_18
.LBB116_17:                             ;   in Loop: Header=BB116_18 Depth=1
	s_or_b64 exec, exec, s[10:11]
	s_add_u32 s8, s8, 1
	s_addc_u32 s9, s9, 0
	v_mov_b32_e32 v11, s7
	v_add_co_u32_e32 v7, vcc, s6, v7
	s_cmp_eq_u64 s[4:5], s[8:9]
	v_addc_co_u32_e32 v8, vcc, v8, v11, vcc
	s_cbranch_scc1 .LBB116_22
.LBB116_18:                             ; =>This Inner Loop Header: Depth=1
	v_cmp_eq_u64_e32 vcc, s[8:9], v[0:1]
	s_barrier
	s_and_saveexec_b64 s[10:11], vcc
	s_cbranch_execz .LBB116_20
; %bb.19:                               ;   in Loop: Header=BB116_18 Depth=1
	flat_load_dwordx2 v[11:12], v[9:10]
	s_waitcnt vmcnt(0) lgkmcnt(0)
	v_div_scale_f64 v[13:14], s[12:13], v[11:12], v[11:12], 1.0
	v_rcp_f64_e32 v[15:16], v[13:14]
	v_fma_f64 v[17:18], -v[13:14], v[15:16], 1.0
	v_fma_f64 v[15:16], v[15:16], v[17:18], v[15:16]
	v_div_scale_f64 v[17:18], vcc, 1.0, v[11:12], 1.0
	v_fma_f64 v[19:20], -v[13:14], v[15:16], 1.0
	v_fma_f64 v[15:16], v[15:16], v[19:20], v[15:16]
	v_mul_f64 v[19:20], v[17:18], v[15:16]
	v_fma_f64 v[13:14], -v[13:14], v[19:20], v[17:18]
	v_div_fmas_f64 v[13:14], v[13:14], v[15:16], v[19:20]
	v_div_fixup_f64 v[13:14], v[13:14], v[11:12], 1.0
	v_cndmask_b32_e64 v12, v14, v12, s[0:1]
	v_cndmask_b32_e64 v11, v13, v11, s[0:1]
	v_mul_f64 v[5:6], v[5:6], v[11:12]
	ds_write_b64 v2, v[5:6]
.LBB116_20:                             ;   in Loop: Header=BB116_18 Depth=1
	s_or_b64 exec, exec, s[10:11]
	v_cmp_lt_u64_e32 vcc, s[8:9], v[0:1]
	s_waitcnt lgkmcnt(0)
	s_barrier
	s_and_saveexec_b64 s[10:11], vcc
	s_cbranch_execz .LBB116_17
; %bb.21:                               ;   in Loop: Header=BB116_18 Depth=1
	flat_load_dwordx2 v[11:12], v[7:8]
	ds_read_b64 v[13:14], v2
	s_waitcnt vmcnt(0) lgkmcnt(0)
	v_fma_f64 v[5:6], -v[11:12], v[13:14], v[5:6]
	s_branch .LBB116_17
.LBB116_22:
	v_cmp_eq_u64_e32 vcc, s[4:5], v[0:1]
	s_and_saveexec_b64 s[4:5], vcc
	s_cbranch_execz .LBB116_24
; %bb.23:
	v_mad_u64_u32 v[1:2], s[6:7], v0, s22, v[0:1]
	v_mad_u64_u32 v[7:8], s[6:7], v0, s23, v[2:3]
	v_mov_b32_e32 v8, s3
	v_mov_b32_e32 v2, v7
	v_lshlrev_b64 v[0:1], 3, v[1:2]
	v_add_co_u32_e32 v0, vcc, s2, v0
	v_addc_co_u32_e32 v1, vcc, v8, v1, vcc
	flat_load_dwordx2 v[0:1], v[0:1]
	s_waitcnt vmcnt(0) lgkmcnt(0)
	v_div_scale_f64 v[7:8], s[2:3], v[0:1], v[0:1], 1.0
	v_rcp_f64_e32 v[9:10], v[7:8]
	v_fma_f64 v[11:12], -v[7:8], v[9:10], 1.0
	v_fma_f64 v[9:10], v[9:10], v[11:12], v[9:10]
	v_div_scale_f64 v[11:12], vcc, 1.0, v[0:1], 1.0
	v_fma_f64 v[13:14], -v[7:8], v[9:10], 1.0
	v_fma_f64 v[9:10], v[9:10], v[13:14], v[9:10]
	v_mul_f64 v[13:14], v[11:12], v[9:10]
	v_fma_f64 v[7:8], -v[7:8], v[13:14], v[11:12]
	v_div_fmas_f64 v[7:8], v[7:8], v[9:10], v[13:14]
	v_div_fixup_f64 v[7:8], v[7:8], v[0:1], 1.0
	v_cndmask_b32_e64 v1, v8, v1, s[0:1]
	v_cndmask_b32_e64 v0, v7, v0, s[0:1]
	v_mul_f64 v[5:6], v[5:6], v[0:1]
.LBB116_24:
	s_or_b64 exec, exec, s[4:5]
	global_store_dwordx2 v[3:4], v[5:6], off
.LBB116_25:
	s_endpgm
	.section	.rodata,"a",@progbits
	.p2align	6, 0x0
	.amdhsa_kernel _ZL39rocblas_trsm_block_forward_substitutionIddPKdPdLb0ELb1ELb0EEv18rocblas_operation_llT0_T1_lllT2_lllib
		.amdhsa_group_segment_fixed_size 0
		.amdhsa_private_segment_fixed_size 0
		.amdhsa_kernarg_size 360
		.amdhsa_user_sgpr_count 6
		.amdhsa_user_sgpr_private_segment_buffer 1
		.amdhsa_user_sgpr_dispatch_ptr 0
		.amdhsa_user_sgpr_queue_ptr 0
		.amdhsa_user_sgpr_kernarg_segment_ptr 1
		.amdhsa_user_sgpr_dispatch_id 0
		.amdhsa_user_sgpr_flat_scratch_init 0
		.amdhsa_user_sgpr_private_segment_size 0
		.amdhsa_uses_dynamic_stack 0
		.amdhsa_system_sgpr_private_segment_wavefront_offset 0
		.amdhsa_system_sgpr_workgroup_id_x 1
		.amdhsa_system_sgpr_workgroup_id_y 1
		.amdhsa_system_sgpr_workgroup_id_z 1
		.amdhsa_system_sgpr_workgroup_info 0
		.amdhsa_system_vgpr_workitem_id 1
		.amdhsa_next_free_vgpr 21
		.amdhsa_next_free_sgpr 36
		.amdhsa_reserve_vcc 1
		.amdhsa_reserve_flat_scratch 0
		.amdhsa_float_round_mode_32 0
		.amdhsa_float_round_mode_16_64 0
		.amdhsa_float_denorm_mode_32 3
		.amdhsa_float_denorm_mode_16_64 3
		.amdhsa_dx10_clamp 1
		.amdhsa_ieee_mode 1
		.amdhsa_fp16_overflow 0
		.amdhsa_exception_fp_ieee_invalid_op 0
		.amdhsa_exception_fp_denorm_src 0
		.amdhsa_exception_fp_ieee_div_zero 0
		.amdhsa_exception_fp_ieee_overflow 0
		.amdhsa_exception_fp_ieee_underflow 0
		.amdhsa_exception_fp_ieee_inexact 0
		.amdhsa_exception_int_div_zero 0
	.end_amdhsa_kernel
	.section	.text._ZL39rocblas_trsm_block_forward_substitutionIddPKdPdLb0ELb1ELb0EEv18rocblas_operation_llT0_T1_lllT2_lllib,"axG",@progbits,_ZL39rocblas_trsm_block_forward_substitutionIddPKdPdLb0ELb1ELb0EEv18rocblas_operation_llT0_T1_lllT2_lllib,comdat
.Lfunc_end116:
	.size	_ZL39rocblas_trsm_block_forward_substitutionIddPKdPdLb0ELb1ELb0EEv18rocblas_operation_llT0_T1_lllT2_lllib, .Lfunc_end116-_ZL39rocblas_trsm_block_forward_substitutionIddPKdPdLb0ELb1ELb0EEv18rocblas_operation_llT0_T1_lllT2_lllib
                                        ; -- End function
	.set _ZL39rocblas_trsm_block_forward_substitutionIddPKdPdLb0ELb1ELb0EEv18rocblas_operation_llT0_T1_lllT2_lllib.num_vgpr, 21
	.set _ZL39rocblas_trsm_block_forward_substitutionIddPKdPdLb0ELb1ELb0EEv18rocblas_operation_llT0_T1_lllT2_lllib.num_agpr, 0
	.set _ZL39rocblas_trsm_block_forward_substitutionIddPKdPdLb0ELb1ELb0EEv18rocblas_operation_llT0_T1_lllT2_lllib.numbered_sgpr, 36
	.set _ZL39rocblas_trsm_block_forward_substitutionIddPKdPdLb0ELb1ELb0EEv18rocblas_operation_llT0_T1_lllT2_lllib.num_named_barrier, 0
	.set _ZL39rocblas_trsm_block_forward_substitutionIddPKdPdLb0ELb1ELb0EEv18rocblas_operation_llT0_T1_lllT2_lllib.private_seg_size, 0
	.set _ZL39rocblas_trsm_block_forward_substitutionIddPKdPdLb0ELb1ELb0EEv18rocblas_operation_llT0_T1_lllT2_lllib.uses_vcc, 1
	.set _ZL39rocblas_trsm_block_forward_substitutionIddPKdPdLb0ELb1ELb0EEv18rocblas_operation_llT0_T1_lllT2_lllib.uses_flat_scratch, 0
	.set _ZL39rocblas_trsm_block_forward_substitutionIddPKdPdLb0ELb1ELb0EEv18rocblas_operation_llT0_T1_lllT2_lllib.has_dyn_sized_stack, 0
	.set _ZL39rocblas_trsm_block_forward_substitutionIddPKdPdLb0ELb1ELb0EEv18rocblas_operation_llT0_T1_lllT2_lllib.has_recursion, 0
	.set _ZL39rocblas_trsm_block_forward_substitutionIddPKdPdLb0ELb1ELb0EEv18rocblas_operation_llT0_T1_lllT2_lllib.has_indirect_call, 0
	.section	.AMDGPU.csdata,"",@progbits
; Kernel info:
; codeLenInByte = 1324
; TotalNumSgprs: 40
; NumVgprs: 21
; ScratchSize: 0
; MemoryBound: 1
; FloatMode: 240
; IeeeMode: 1
; LDSByteSize: 0 bytes/workgroup (compile time only)
; SGPRBlocks: 4
; VGPRBlocks: 5
; NumSGPRsForWavesPerEU: 40
; NumVGPRsForWavesPerEU: 21
; Occupancy: 10
; WaveLimiterHint : 1
; COMPUTE_PGM_RSRC2:SCRATCH_EN: 0
; COMPUTE_PGM_RSRC2:USER_SGPR: 6
; COMPUTE_PGM_RSRC2:TRAP_HANDLER: 0
; COMPUTE_PGM_RSRC2:TGID_X_EN: 1
; COMPUTE_PGM_RSRC2:TGID_Y_EN: 1
; COMPUTE_PGM_RSRC2:TGID_Z_EN: 1
; COMPUTE_PGM_RSRC2:TIDIG_COMP_CNT: 1
	.section	.text._ZL40rocblas_trsm_block_backward_substitutionIddPKdPdLb0ELb1ELb0EEv18rocblas_operation_llT0_T1_lllT2_lllib,"axG",@progbits,_ZL40rocblas_trsm_block_backward_substitutionIddPKdPdLb0ELb1ELb0EEv18rocblas_operation_llT0_T1_lllT2_lllib,comdat
	.globl	_ZL40rocblas_trsm_block_backward_substitutionIddPKdPdLb0ELb1ELb0EEv18rocblas_operation_llT0_T1_lllT2_lllib ; -- Begin function _ZL40rocblas_trsm_block_backward_substitutionIddPKdPdLb0ELb1ELb0EEv18rocblas_operation_llT0_T1_lllT2_lllib
	.p2align	8
	.type	_ZL40rocblas_trsm_block_backward_substitutionIddPKdPdLb0ELb1ELb0EEv18rocblas_operation_llT0_T1_lllT2_lllib,@function
_ZL40rocblas_trsm_block_backward_substitutionIddPKdPdLb0ELb1ELb0EEv18rocblas_operation_llT0_T1_lllT2_lllib: ; @_ZL40rocblas_trsm_block_backward_substitutionIddPKdPdLb0ELb1ELb0EEv18rocblas_operation_llT0_T1_lllT2_lllib
; %bb.0:
	s_load_dword s9, s[4:5], 0x64
	s_load_dwordx16 s[12:27], s[4:5], 0x8
	s_load_dword s6, s[4:5], 0x74
	v_mov_b32_e32 v2, v1
	s_waitcnt lgkmcnt(0)
	s_bitcmp1_b32 s9, 0
	s_mul_i32 s2, s25, s8
	s_mul_hi_u32 s3, s24, s8
	s_cselect_b64 s[0:1], -1, 0
	s_add_i32 s3, s3, s2
	s_mul_i32 s2, s24, s8
	s_lshl_b64 s[2:3], s[2:3], 3
	s_add_u32 s10, s18, s2
	s_addc_u32 s11, s19, s3
	s_lshl_b64 s[2:3], s[20:21], 3
	s_add_u32 s10, s10, s2
	s_addc_u32 s11, s11, s3
	s_add_u32 s20, s4, 0x68
	s_addc_u32 s21, s5, 0
	s_lshr_b32 s6, s6, 16
	s_bitcmp0_b32 s9, 0
	s_mov_b64 s[2:3], 1
	s_cbranch_scc1 .LBB117_14
; %bb.1:
	s_lshl_b32 s2, s6, 3
	s_add_i32 s24, s2, 0
	v_cmp_lt_i64_e64 s[2:3], s[12:13], 1
	s_mov_b64 s[18:19], 1
	s_and_b64 vcc, exec, s[2:3]
	s_cbranch_vccnz .LBB117_15
; %bb.2:
	v_mad_u64_u32 v[3:4], s[2:3], s22, v0, 0
	v_lshlrev_b32_e32 v6, 3, v0
	v_add_u32_e32 v9, s24, v6
	v_mov_b32_e32 v1, v4
	v_mad_u64_u32 v[4:5], s[2:3], s23, v0, v[1:2]
	v_mov_b32_e32 v1, 0
	v_cmp_le_u64_e64 s[22:23], s[12:13], v[0:1]
	v_lshlrev_b64 v[3:4], 3, v[3:4]
	v_cmp_gt_u64_e64 s[2:3], s[12:13], v[0:1]
	v_mov_b32_e32 v5, s11
	v_add_co_u32_e32 v1, vcc, s10, v3
	v_addc_co_u32_e32 v10, vcc, v5, v4, vcc
	v_add_co_u32_e32 v3, vcc, v1, v6
	v_addc_co_u32_e32 v4, vcc, 0, v10, vcc
	s_xor_b64 s[28:29], s[22:23], -1
	s_mov_b32 s9, s6
	v_mov_b32_e32 v5, v2
	s_branch .LBB117_4
.LBB117_3:                              ;   in Loop: Header=BB117_4 Depth=1
	s_or_b64 exec, exec, s[30:31]
	s_ashr_i32 s10, s9, 31
	v_mov_b32_e32 v6, s9
	s_waitcnt vmcnt(0)
	v_mov_b32_e32 v7, s10
	v_cmp_le_i64_e32 vcc, s[12:13], v[6:7]
	v_add_u32_e32 v5, s6, v5
	s_add_i32 s9, s9, s6
	s_cbranch_vccnz .LBB117_15
.LBB117_4:                              ; =>This Inner Loop Header: Depth=1
	s_mov_b64 s[10:11], 0
	s_mov_b64 s[34:35], s[22:23]
                                        ; implicit-def: $vgpr7_vgpr8
	s_and_saveexec_b64 s[30:31], s[2:3]
	s_cbranch_execnz .LBB117_7
; %bb.5:                                ;   in Loop: Header=BB117_4 Depth=1
	s_or_b64 exec, exec, s[30:31]
	v_mov_b32_e32 v6, v5
	s_and_saveexec_b64 s[30:31], s[34:35]
	s_cbranch_execnz .LBB117_10
.LBB117_6:                              ;   in Loop: Header=BB117_4 Depth=1
	s_or_b64 exec, exec, s[30:31]
	s_and_saveexec_b64 s[30:31], s[10:11]
	s_cbranch_execz .LBB117_3
	s_branch .LBB117_13
.LBB117_7:                              ;   in Loop: Header=BB117_4 Depth=1
	v_ashrrev_i32_e32 v6, 31, v5
	v_cmp_gt_i64_e32 vcc, s[12:13], v[5:6]
	v_cmp_lt_i32_e64 s[10:11], v0, v5
	s_and_b64 s[38:39], s[10:11], vcc
	s_mov_b64 s[34:35], -1
	s_mov_b64 s[10:11], 0
                                        ; implicit-def: $vgpr7_vgpr8
	s_and_saveexec_b64 s[36:37], s[38:39]
	s_cbranch_execz .LBB117_9
; %bb.8:                                ;   in Loop: Header=BB117_4 Depth=1
	v_lshlrev_b64 v[6:7], 3, v[5:6]
	s_mov_b64 s[10:11], exec
	v_add_co_u32_e32 v6, vcc, v1, v6
	v_addc_co_u32_e32 v7, vcc, v10, v7, vcc
	global_load_dwordx2 v[7:8], v[6:7], off
	s_xor_b64 s[34:35], exec, -1
.LBB117_9:                              ;   in Loop: Header=BB117_4 Depth=1
	s_or_b64 exec, exec, s[36:37]
	s_andn2_b64 s[36:37], s[22:23], exec
	s_and_b64 s[34:35], s[34:35], exec
	s_and_b64 s[10:11], s[10:11], exec
	s_or_b64 s[34:35], s[36:37], s[34:35]
	s_or_b64 exec, exec, s[30:31]
	v_mov_b32_e32 v6, v5
	s_and_saveexec_b64 s[30:31], s[34:35]
	s_cbranch_execz .LBB117_6
.LBB117_10:                             ;   in Loop: Header=BB117_4 Depth=1
	v_cmp_eq_u32_e32 vcc, v0, v5
	s_and_b64 s[38:39], s[28:29], vcc
	s_mov_b64 s[36:37], s[10:11]
                                        ; implicit-def: $vgpr7_vgpr8
	s_and_saveexec_b64 s[34:35], s[38:39]
	s_cbranch_execz .LBB117_12
; %bb.11:                               ;   in Loop: Header=BB117_4 Depth=1
	global_load_dwordx2 v[6:7], v[3:4], off
	s_waitcnt vmcnt(0)
	v_div_scale_f64 v[11:12], s[36:37], v[6:7], v[6:7], 1.0
	v_div_scale_f64 v[17:18], vcc, 1.0, v[6:7], 1.0
	s_or_b64 s[36:37], s[10:11], exec
	v_rcp_f64_e32 v[13:14], v[11:12]
	v_fma_f64 v[15:16], -v[11:12], v[13:14], 1.0
	v_fma_f64 v[13:14], v[13:14], v[15:16], v[13:14]
	v_fma_f64 v[15:16], -v[11:12], v[13:14], 1.0
	v_fma_f64 v[13:14], v[13:14], v[15:16], v[13:14]
	v_mul_f64 v[15:16], v[17:18], v[13:14]
	v_fma_f64 v[11:12], -v[11:12], v[15:16], v[17:18]
	v_div_fmas_f64 v[11:12], v[11:12], v[13:14], v[15:16]
	v_div_fixup_f64 v[7:8], v[11:12], v[6:7], 1.0
.LBB117_12:                             ;   in Loop: Header=BB117_4 Depth=1
	s_or_b64 exec, exec, s[34:35]
	s_andn2_b64 s[10:11], s[10:11], exec
	s_and_b64 s[34:35], s[36:37], exec
	s_or_b64 s[10:11], s[10:11], s[34:35]
	v_mov_b32_e32 v6, v0
	s_or_b64 exec, exec, s[30:31]
	s_and_saveexec_b64 s[30:31], s[10:11]
	s_cbranch_execz .LBB117_3
.LBB117_13:                             ;   in Loop: Header=BB117_4 Depth=1
	s_load_dword s10, s[20:21], 0xc
	s_waitcnt lgkmcnt(0)
	s_and_b32 s10, s10, 0xffff
	v_mul_lo_u32 v6, v6, s10
	v_lshl_add_u32 v6, v6, 3, v9
	s_waitcnt vmcnt(0)
	ds_write_b64 v6, v[7:8]
	s_branch .LBB117_3
.LBB117_14:
	s_mov_b64 s[18:19], s[22:23]
	s_branch .LBB117_16
.LBB117_15:
	s_load_dword s2, s[20:21], 0xc
	s_mov_b64 s[10:11], src_shared_base
	s_mov_b32 s25, s11
	s_mov_b32 s3, 0
	s_mov_b64 s[10:11], s[24:25]
	s_waitcnt lgkmcnt(0)
	s_and_b32 s2, s2, 0xffff
.LBB117_16:
	s_mul_i32 s7, s7, s6
	v_add_u32_e32 v3, s7, v2
	v_mov_b32_e32 v4, 0
	v_cmp_gt_i64_e32 vcc, s[14:15], v[3:4]
	s_and_saveexec_b64 s[6:7], vcc
	s_cbranch_execz .LBB117_29
; %bb.17:
	v_mov_b32_e32 v1, v4
	v_cmp_gt_i64_e32 vcc, s[12:13], v[0:1]
	s_and_b64 exec, exec, vcc
	s_cbranch_execz .LBB117_29
; %bb.18:
	s_load_dwordx2 s[6:7], s[4:5], 0x58
	s_load_dwordx4 s[20:23], s[4:5], 0x48
	s_waitcnt lgkmcnt(0)
	s_mul_i32 s5, s7, s8
	s_mul_hi_u32 s7, s6, s8
	s_mul_i32 s4, s6, s8
	s_add_i32 s5, s7, s5
	v_mad_u64_u32 v[4:5], s[6:7], s22, v3, 0
	s_lshl_b64 s[4:5], s[4:5], 3
	s_add_u32 s6, s26, s4
	s_addc_u32 s7, s27, s5
	v_mad_u64_u32 v[5:6], s[4:5], s23, v3, v[5:6]
	s_lshl_b64 s[4:5], s[20:21], 3
	s_add_u32 s4, s6, s4
	v_lshlrev_b64 v[3:4], 3, v[4:5]
	s_addc_u32 s5, s7, s5
	v_mov_b32_e32 v5, s5
	v_add_co_u32_e32 v3, vcc, s4, v3
	v_addc_co_u32_e32 v4, vcc, v5, v4, vcc
	v_lshlrev_b32_e32 v5, 3, v0
	v_add_co_u32_e32 v3, vcc, v3, v5
	v_addc_co_u32_e32 v4, vcc, 0, v4, vcc
	global_load_dwordx2 v[5:6], v[3:4], off
	v_cmp_lt_u64_e64 s[4:5], s[12:13], 2
	s_and_b64 vcc, exec, s[4:5]
	s_waitcnt vmcnt(0)
	v_mul_f64 v[5:6], s[16:17], v[5:6]
	s_cbranch_vccnz .LBB117_26
; %bb.19:
	s_add_u32 s4, s2, s18
	v_mad_u64_u32 v[7:8], s[4:5], s4, v0, 0
	s_addc_u32 s4, s3, s19
	v_mov_b32_e32 v12, s11
	v_mad_u64_u32 v[8:9], s[4:5], s4, v0, v[8:9]
	v_mad_u64_u32 v[9:10], s[4:5], s18, v0, 0
	v_lshlrev_b64 v[7:8], 3, v[7:8]
	v_lshl_add_u32 v2, v2, 3, 0
	v_mad_u64_u32 v[10:11], s[4:5], s19, v0, v[10:11]
	s_add_u32 s4, s12, -1
	s_addc_u32 s5, s13, -1
	s_mul_i32 s6, s2, s5
	s_mul_hi_u32 s7, s2, s4
	s_add_i32 s7, s7, s6
	s_mul_i32 s6, s2, s4
	v_add_co_u32_e32 v7, vcc, s10, v7
	s_lshl_b64 s[6:7], s[6:7], 3
	v_lshlrev_b64 v[9:10], 3, v[9:10]
	v_addc_co_u32_e32 v8, vcc, v12, v8, vcc
	s_add_u32 s6, s10, s6
	s_addc_u32 s7, s11, s7
	v_add_co_u32_e32 v9, vcc, s6, v9
	s_lshl_b32 s6, s2, 3
	v_mov_b32_e32 v11, s7
	s_sub_u32 s8, 0, s6
	v_addc_co_u32_e32 v10, vcc, v11, v10, vcc
	s_subb_u32 s9, 0, 0
.LBB117_20:                             ; =>This Inner Loop Header: Depth=1
	v_cmp_eq_u64_e32 vcc, s[4:5], v[0:1]
	s_barrier
	s_and_saveexec_b64 s[6:7], vcc
	s_cbranch_execz .LBB117_22
; %bb.21:                               ;   in Loop: Header=BB117_20 Depth=1
	flat_load_dwordx2 v[11:12], v[7:8]
	s_waitcnt vmcnt(0) lgkmcnt(0)
	v_div_scale_f64 v[13:14], s[12:13], v[11:12], v[11:12], 1.0
	v_rcp_f64_e32 v[15:16], v[13:14]
	v_fma_f64 v[17:18], -v[13:14], v[15:16], 1.0
	v_fma_f64 v[15:16], v[15:16], v[17:18], v[15:16]
	v_div_scale_f64 v[17:18], vcc, 1.0, v[11:12], 1.0
	v_fma_f64 v[19:20], -v[13:14], v[15:16], 1.0
	v_fma_f64 v[15:16], v[15:16], v[19:20], v[15:16]
	v_mul_f64 v[19:20], v[17:18], v[15:16]
	v_fma_f64 v[13:14], -v[13:14], v[19:20], v[17:18]
	v_div_fmas_f64 v[13:14], v[13:14], v[15:16], v[19:20]
	v_div_fixup_f64 v[13:14], v[13:14], v[11:12], 1.0
	v_cndmask_b32_e64 v12, v14, v12, s[0:1]
	v_cndmask_b32_e64 v11, v13, v11, s[0:1]
	v_mul_f64 v[5:6], v[5:6], v[11:12]
	ds_write_b64 v2, v[5:6]
.LBB117_22:                             ;   in Loop: Header=BB117_20 Depth=1
	s_or_b64 exec, exec, s[6:7]
	v_cmp_gt_i64_e32 vcc, s[4:5], v[0:1]
	s_waitcnt lgkmcnt(0)
	s_barrier
	s_and_saveexec_b64 s[6:7], vcc
	s_cbranch_execz .LBB117_24
; %bb.23:                               ;   in Loop: Header=BB117_20 Depth=1
	flat_load_dwordx2 v[11:12], v[9:10]
	ds_read_b64 v[13:14], v2
	s_waitcnt vmcnt(0) lgkmcnt(0)
	v_fma_f64 v[5:6], -v[11:12], v[13:14], v[5:6]
.LBB117_24:                             ;   in Loop: Header=BB117_20 Depth=1
	s_or_b64 exec, exec, s[6:7]
	s_add_u32 s6, s4, -1
	s_addc_u32 s7, s5, -1
	s_add_u32 s4, s4, 1
	s_addc_u32 s5, s5, 0
	v_mov_b32_e32 v11, s9
	v_cmp_lt_u64_e64 s[4:5], s[4:5], 3
	v_add_co_u32_e32 v9, vcc, s8, v9
	v_addc_co_u32_e32 v10, vcc, v10, v11, vcc
	s_and_b64 vcc, exec, s[4:5]
	s_cbranch_vccnz .LBB117_26
; %bb.25:                               ;   in Loop: Header=BB117_20 Depth=1
	s_mov_b64 s[4:5], s[6:7]
	s_branch .LBB117_20
.LBB117_26:
	v_cmp_eq_u32_e32 vcc, 0, v0
	s_and_saveexec_b64 s[4:5], vcc
	s_cbranch_execz .LBB117_28
; %bb.27:
	s_add_u32 s2, s2, s18
	v_mad_u64_u32 v[1:2], s[6:7], s2, v0, 0
	s_addc_u32 s2, s3, s19
	v_mad_u64_u32 v[7:8], s[2:3], s2, v0, v[2:3]
	v_mov_b32_e32 v8, s11
	v_mov_b32_e32 v2, v7
	v_lshlrev_b64 v[0:1], 3, v[1:2]
	v_add_co_u32_e32 v0, vcc, s10, v0
	v_addc_co_u32_e32 v1, vcc, v8, v1, vcc
	flat_load_dwordx2 v[0:1], v[0:1]
	s_waitcnt vmcnt(0) lgkmcnt(0)
	v_div_scale_f64 v[7:8], s[2:3], v[0:1], v[0:1], 1.0
	v_rcp_f64_e32 v[9:10], v[7:8]
	v_fma_f64 v[11:12], -v[7:8], v[9:10], 1.0
	v_fma_f64 v[9:10], v[9:10], v[11:12], v[9:10]
	v_div_scale_f64 v[11:12], vcc, 1.0, v[0:1], 1.0
	v_fma_f64 v[13:14], -v[7:8], v[9:10], 1.0
	v_fma_f64 v[9:10], v[9:10], v[13:14], v[9:10]
	v_mul_f64 v[13:14], v[11:12], v[9:10]
	v_fma_f64 v[7:8], -v[7:8], v[13:14], v[11:12]
	v_div_fmas_f64 v[7:8], v[7:8], v[9:10], v[13:14]
	v_div_fixup_f64 v[7:8], v[7:8], v[0:1], 1.0
	v_cndmask_b32_e64 v1, v8, v1, s[0:1]
	v_cndmask_b32_e64 v0, v7, v0, s[0:1]
	v_mul_f64 v[5:6], v[5:6], v[0:1]
.LBB117_28:
	s_or_b64 exec, exec, s[4:5]
	global_store_dwordx2 v[3:4], v[5:6], off
.LBB117_29:
	s_endpgm
	.section	.rodata,"a",@progbits
	.p2align	6, 0x0
	.amdhsa_kernel _ZL40rocblas_trsm_block_backward_substitutionIddPKdPdLb0ELb1ELb0EEv18rocblas_operation_llT0_T1_lllT2_lllib
		.amdhsa_group_segment_fixed_size 0
		.amdhsa_private_segment_fixed_size 0
		.amdhsa_kernarg_size 360
		.amdhsa_user_sgpr_count 6
		.amdhsa_user_sgpr_private_segment_buffer 1
		.amdhsa_user_sgpr_dispatch_ptr 0
		.amdhsa_user_sgpr_queue_ptr 0
		.amdhsa_user_sgpr_kernarg_segment_ptr 1
		.amdhsa_user_sgpr_dispatch_id 0
		.amdhsa_user_sgpr_flat_scratch_init 0
		.amdhsa_user_sgpr_private_segment_size 0
		.amdhsa_uses_dynamic_stack 0
		.amdhsa_system_sgpr_private_segment_wavefront_offset 0
		.amdhsa_system_sgpr_workgroup_id_x 1
		.amdhsa_system_sgpr_workgroup_id_y 1
		.amdhsa_system_sgpr_workgroup_id_z 1
		.amdhsa_system_sgpr_workgroup_info 0
		.amdhsa_system_vgpr_workitem_id 1
		.amdhsa_next_free_vgpr 21
		.amdhsa_next_free_sgpr 40
		.amdhsa_reserve_vcc 1
		.amdhsa_reserve_flat_scratch 0
		.amdhsa_float_round_mode_32 0
		.amdhsa_float_round_mode_16_64 0
		.amdhsa_float_denorm_mode_32 3
		.amdhsa_float_denorm_mode_16_64 3
		.amdhsa_dx10_clamp 1
		.amdhsa_ieee_mode 1
		.amdhsa_fp16_overflow 0
		.amdhsa_exception_fp_ieee_invalid_op 0
		.amdhsa_exception_fp_denorm_src 0
		.amdhsa_exception_fp_ieee_div_zero 0
		.amdhsa_exception_fp_ieee_overflow 0
		.amdhsa_exception_fp_ieee_underflow 0
		.amdhsa_exception_fp_ieee_inexact 0
		.amdhsa_exception_int_div_zero 0
	.end_amdhsa_kernel
	.section	.text._ZL40rocblas_trsm_block_backward_substitutionIddPKdPdLb0ELb1ELb0EEv18rocblas_operation_llT0_T1_lllT2_lllib,"axG",@progbits,_ZL40rocblas_trsm_block_backward_substitutionIddPKdPdLb0ELb1ELb0EEv18rocblas_operation_llT0_T1_lllT2_lllib,comdat
.Lfunc_end117:
	.size	_ZL40rocblas_trsm_block_backward_substitutionIddPKdPdLb0ELb1ELb0EEv18rocblas_operation_llT0_T1_lllT2_lllib, .Lfunc_end117-_ZL40rocblas_trsm_block_backward_substitutionIddPKdPdLb0ELb1ELb0EEv18rocblas_operation_llT0_T1_lllT2_lllib
                                        ; -- End function
	.set _ZL40rocblas_trsm_block_backward_substitutionIddPKdPdLb0ELb1ELb0EEv18rocblas_operation_llT0_T1_lllT2_lllib.num_vgpr, 21
	.set _ZL40rocblas_trsm_block_backward_substitutionIddPKdPdLb0ELb1ELb0EEv18rocblas_operation_llT0_T1_lllT2_lllib.num_agpr, 0
	.set _ZL40rocblas_trsm_block_backward_substitutionIddPKdPdLb0ELb1ELb0EEv18rocblas_operation_llT0_T1_lllT2_lllib.numbered_sgpr, 40
	.set _ZL40rocblas_trsm_block_backward_substitutionIddPKdPdLb0ELb1ELb0EEv18rocblas_operation_llT0_T1_lllT2_lllib.num_named_barrier, 0
	.set _ZL40rocblas_trsm_block_backward_substitutionIddPKdPdLb0ELb1ELb0EEv18rocblas_operation_llT0_T1_lllT2_lllib.private_seg_size, 0
	.set _ZL40rocblas_trsm_block_backward_substitutionIddPKdPdLb0ELb1ELb0EEv18rocblas_operation_llT0_T1_lllT2_lllib.uses_vcc, 1
	.set _ZL40rocblas_trsm_block_backward_substitutionIddPKdPdLb0ELb1ELb0EEv18rocblas_operation_llT0_T1_lllT2_lllib.uses_flat_scratch, 0
	.set _ZL40rocblas_trsm_block_backward_substitutionIddPKdPdLb0ELb1ELb0EEv18rocblas_operation_llT0_T1_lllT2_lllib.has_dyn_sized_stack, 0
	.set _ZL40rocblas_trsm_block_backward_substitutionIddPKdPdLb0ELb1ELb0EEv18rocblas_operation_llT0_T1_lllT2_lllib.has_recursion, 0
	.set _ZL40rocblas_trsm_block_backward_substitutionIddPKdPdLb0ELb1ELb0EEv18rocblas_operation_llT0_T1_lllT2_lllib.has_indirect_call, 0
	.section	.AMDGPU.csdata,"",@progbits
; Kernel info:
; codeLenInByte = 1432
; TotalNumSgprs: 44
; NumVgprs: 21
; ScratchSize: 0
; MemoryBound: 1
; FloatMode: 240
; IeeeMode: 1
; LDSByteSize: 0 bytes/workgroup (compile time only)
; SGPRBlocks: 5
; VGPRBlocks: 5
; NumSGPRsForWavesPerEU: 44
; NumVGPRsForWavesPerEU: 21
; Occupancy: 10
; WaveLimiterHint : 1
; COMPUTE_PGM_RSRC2:SCRATCH_EN: 0
; COMPUTE_PGM_RSRC2:USER_SGPR: 6
; COMPUTE_PGM_RSRC2:TRAP_HANDLER: 0
; COMPUTE_PGM_RSRC2:TGID_X_EN: 1
; COMPUTE_PGM_RSRC2:TGID_Y_EN: 1
; COMPUTE_PGM_RSRC2:TGID_Z_EN: 1
; COMPUTE_PGM_RSRC2:TIDIG_COMP_CNT: 1
	.section	.text._ZL39rocblas_trsm_block_forward_substitutionIddPKdPdLb0ELb1ELb1EEv18rocblas_operation_llT0_T1_lllT2_lllib,"axG",@progbits,_ZL39rocblas_trsm_block_forward_substitutionIddPKdPdLb0ELb1ELb1EEv18rocblas_operation_llT0_T1_lllT2_lllib,comdat
	.globl	_ZL39rocblas_trsm_block_forward_substitutionIddPKdPdLb0ELb1ELb1EEv18rocblas_operation_llT0_T1_lllT2_lllib ; -- Begin function _ZL39rocblas_trsm_block_forward_substitutionIddPKdPdLb0ELb1ELb1EEv18rocblas_operation_llT0_T1_lllT2_lllib
	.p2align	8
	.type	_ZL39rocblas_trsm_block_forward_substitutionIddPKdPdLb0ELb1ELb1EEv18rocblas_operation_llT0_T1_lllT2_lllib,@function
_ZL39rocblas_trsm_block_forward_substitutionIddPKdPdLb0ELb1ELb1EEv18rocblas_operation_llT0_T1_lllT2_lllib: ; @_ZL39rocblas_trsm_block_forward_substitutionIddPKdPdLb0ELb1ELb1EEv18rocblas_operation_llT0_T1_lllT2_lllib
; %bb.0:
	s_load_dwordx16 s[12:27], s[4:5], 0x8
	s_load_dword s9, s[4:5], 0x64
	s_load_dword s6, s[4:5], 0x74
	v_mov_b32_e32 v2, v1
	s_waitcnt lgkmcnt(0)
	s_mul_i32 s0, s25, s8
	s_mul_hi_u32 s1, s24, s8
	s_add_i32 s1, s1, s0
	s_mul_i32 s0, s24, s8
	s_lshl_b64 s[0:1], s[0:1], 3
	s_add_u32 s2, s18, s0
	s_addc_u32 s3, s19, s1
	s_lshl_b64 s[0:1], s[20:21], 3
	s_add_u32 s2, s2, s0
	s_addc_u32 s3, s3, s1
	s_add_u32 s10, s4, 0x68
	s_addc_u32 s11, s5, 0
	s_lshr_b32 s6, s6, 16
	s_bitcmp0_b32 s9, 0
	s_cbranch_scc1 .LBB118_7
; %bb.1:
	v_cmp_lt_i64_e64 s[0:1], s[12:13], 1
	s_lshl_b32 s9, s6, 3
	s_add_i32 s18, s9, 0
	s_and_b64 vcc, exec, s[0:1]
	s_cbranch_vccnz .LBB118_6
; %bb.2:
	v_lshlrev_b32_e32 v4, 3, v0
	v_mov_b32_e32 v1, 0
	v_cmp_gt_u64_e64 s[0:1], s[12:13], v[0:1]
	v_mov_b32_e32 v5, s3
	v_add_co_u32_e32 v1, vcc, s2, v4
	v_add_u32_e32 v3, s18, v4
	v_addc_co_u32_e32 v4, vcc, 0, v5, vcc
	s_mov_b32 s9, 0
	s_branch .LBB118_4
.LBB118_3:                              ;   in Loop: Header=BB118_4 Depth=1
	s_or_b64 exec, exec, s[2:3]
	s_add_i32 s9, s9, s6
	s_ashr_i32 s2, s9, 31
	v_mov_b32_e32 v5, s9
	v_mov_b32_e32 v6, s2
	v_cmp_le_i64_e32 vcc, s[12:13], v[5:6]
	s_cbranch_vccnz .LBB118_6
.LBB118_4:                              ; =>This Inner Loop Header: Depth=1
	v_add_u32_e32 v5, s9, v2
	v_cmp_gt_i32_e32 vcc, v0, v5
	s_and_b64 s[20:21], s[0:1], vcc
	s_and_saveexec_b64 s[2:3], s[20:21]
	s_cbranch_execz .LBB118_3
; %bb.5:                                ;   in Loop: Header=BB118_4 Depth=1
	v_ashrrev_i32_e32 v8, 31, v5
	v_mul_lo_u32 v9, s23, v5
	v_mad_u64_u32 v[6:7], s[20:21], s22, v5, 0
	v_mul_lo_u32 v8, s22, v8
	s_load_dword s19, s[10:11], 0xc
	v_add3_u32 v7, v7, v8, v9
	v_lshlrev_b64 v[6:7], 3, v[6:7]
	s_waitcnt lgkmcnt(0)
	s_and_b32 s19, s19, 0xffff
	v_add_co_u32_e32 v6, vcc, v1, v6
	v_addc_co_u32_e32 v7, vcc, v4, v7, vcc
	global_load_dwordx2 v[6:7], v[6:7], off
	v_mul_lo_u32 v5, v5, s19
	v_lshl_add_u32 v5, v5, 3, v3
	s_waitcnt vmcnt(0)
	ds_write_b64 v5, v[6:7]
	s_branch .LBB118_3
.LBB118_6:
	s_mov_b64 s[0:1], src_shared_base
	s_load_dword s0, s[10:11], 0xc
	s_mov_b32 s19, s1
	s_mov_b32 s23, 0
	s_mov_b64 s[2:3], s[18:19]
	s_waitcnt lgkmcnt(0)
	s_and_b32 s22, s0, 0xffff
.LBB118_7:
	s_mul_i32 s7, s7, s6
	v_add_u32_e32 v3, s7, v2
	v_mov_b32_e32 v4, 0
	v_cmp_gt_i64_e32 vcc, s[14:15], v[3:4]
	s_and_saveexec_b64 s[0:1], vcc
	s_cbranch_execz .LBB118_17
; %bb.8:
	v_mov_b32_e32 v1, v4
	v_cmp_gt_i64_e32 vcc, s[12:13], v[0:1]
	s_and_b64 exec, exec, vcc
	s_cbranch_execz .LBB118_17
; %bb.9:
	s_load_dwordx2 s[0:1], s[4:5], 0x58
	s_load_dwordx4 s[28:31], s[4:5], 0x48
	v_lshlrev_b64 v[3:4], 3, v[3:4]
	s_waitcnt lgkmcnt(0)
	s_mul_i32 s1, s1, s8
	s_mul_hi_u32 s4, s0, s8
	s_add_i32 s1, s4, s1
	v_mad_u64_u32 v[5:6], s[4:5], s30, v0, 0
	s_mul_i32 s0, s0, s8
	s_lshl_b64 s[0:1], s[0:1], 3
	s_add_u32 s4, s26, s0
	s_addc_u32 s5, s27, s1
	v_mad_u64_u32 v[6:7], s[0:1], s31, v0, v[6:7]
	s_lshl_b64 s[0:1], s[28:29], 3
	s_add_u32 s0, s4, s0
	v_lshlrev_b64 v[5:6], 3, v[5:6]
	s_addc_u32 s1, s5, s1
	v_mov_b32_e32 v7, s1
	v_add_co_u32_e32 v5, vcc, s0, v5
	v_addc_co_u32_e32 v6, vcc, v7, v6, vcc
	v_add_co_u32_e32 v3, vcc, v5, v3
	v_addc_co_u32_e32 v4, vcc, v6, v4, vcc
	global_load_dwordx2 v[5:6], v[3:4], off
	v_cmp_lt_u64_e64 s[0:1], s[12:13], 2
	s_and_b64 vcc, exec, s[0:1]
	s_waitcnt vmcnt(0)
	v_mul_f64 v[5:6], s[16:17], v[5:6]
	s_cbranch_vccnz .LBB118_16
; %bb.10:
	v_lshlrev_b32_e32 v7, 3, v0
	s_add_u32 s0, s12, -1
	v_mov_b32_e32 v8, s3
	v_add_co_u32_e32 v7, vcc, s2, v7
	s_addc_u32 s1, s13, -1
	s_lshl_b64 s[2:3], s[22:23], 3
	v_addc_co_u32_e32 v8, vcc, 0, v8, vcc
	v_lshl_add_u32 v2, v2, 3, 0
	s_mov_b64 s[4:5], 0
	v_mov_b32_e32 v9, s3
	s_branch .LBB118_12
.LBB118_11:                             ;   in Loop: Header=BB118_12 Depth=1
	s_or_b64 exec, exec, s[6:7]
	s_add_u32 s4, s4, 1
	s_addc_u32 s5, s5, 0
	v_add_co_u32_e32 v7, vcc, s2, v7
	s_cmp_eq_u64 s[0:1], s[4:5]
	v_addc_co_u32_e32 v8, vcc, v8, v9, vcc
	s_cbranch_scc1 .LBB118_16
.LBB118_12:                             ; =>This Inner Loop Header: Depth=1
	v_cmp_eq_u64_e32 vcc, s[4:5], v[0:1]
	s_barrier
	s_and_saveexec_b64 s[6:7], vcc
; %bb.13:                               ;   in Loop: Header=BB118_12 Depth=1
	ds_write_b64 v2, v[5:6]
; %bb.14:                               ;   in Loop: Header=BB118_12 Depth=1
	s_or_b64 exec, exec, s[6:7]
	v_cmp_lt_u64_e32 vcc, s[4:5], v[0:1]
	s_waitcnt lgkmcnt(0)
	s_barrier
	s_and_saveexec_b64 s[6:7], vcc
	s_cbranch_execz .LBB118_11
; %bb.15:                               ;   in Loop: Header=BB118_12 Depth=1
	flat_load_dwordx2 v[10:11], v[7:8]
	ds_read_b64 v[12:13], v2
	s_waitcnt vmcnt(0) lgkmcnt(0)
	v_fma_f64 v[5:6], -v[10:11], v[12:13], v[5:6]
	s_branch .LBB118_11
.LBB118_16:
	global_store_dwordx2 v[3:4], v[5:6], off
.LBB118_17:
	s_endpgm
	.section	.rodata,"a",@progbits
	.p2align	6, 0x0
	.amdhsa_kernel _ZL39rocblas_trsm_block_forward_substitutionIddPKdPdLb0ELb1ELb1EEv18rocblas_operation_llT0_T1_lllT2_lllib
		.amdhsa_group_segment_fixed_size 0
		.amdhsa_private_segment_fixed_size 0
		.amdhsa_kernarg_size 360
		.amdhsa_user_sgpr_count 6
		.amdhsa_user_sgpr_private_segment_buffer 1
		.amdhsa_user_sgpr_dispatch_ptr 0
		.amdhsa_user_sgpr_queue_ptr 0
		.amdhsa_user_sgpr_kernarg_segment_ptr 1
		.amdhsa_user_sgpr_dispatch_id 0
		.amdhsa_user_sgpr_flat_scratch_init 0
		.amdhsa_user_sgpr_private_segment_size 0
		.amdhsa_uses_dynamic_stack 0
		.amdhsa_system_sgpr_private_segment_wavefront_offset 0
		.amdhsa_system_sgpr_workgroup_id_x 1
		.amdhsa_system_sgpr_workgroup_id_y 1
		.amdhsa_system_sgpr_workgroup_id_z 1
		.amdhsa_system_sgpr_workgroup_info 0
		.amdhsa_system_vgpr_workitem_id 1
		.amdhsa_next_free_vgpr 14
		.amdhsa_next_free_sgpr 32
		.amdhsa_reserve_vcc 1
		.amdhsa_reserve_flat_scratch 0
		.amdhsa_float_round_mode_32 0
		.amdhsa_float_round_mode_16_64 0
		.amdhsa_float_denorm_mode_32 3
		.amdhsa_float_denorm_mode_16_64 3
		.amdhsa_dx10_clamp 1
		.amdhsa_ieee_mode 1
		.amdhsa_fp16_overflow 0
		.amdhsa_exception_fp_ieee_invalid_op 0
		.amdhsa_exception_fp_denorm_src 0
		.amdhsa_exception_fp_ieee_div_zero 0
		.amdhsa_exception_fp_ieee_overflow 0
		.amdhsa_exception_fp_ieee_underflow 0
		.amdhsa_exception_fp_ieee_inexact 0
		.amdhsa_exception_int_div_zero 0
	.end_amdhsa_kernel
	.section	.text._ZL39rocblas_trsm_block_forward_substitutionIddPKdPdLb0ELb1ELb1EEv18rocblas_operation_llT0_T1_lllT2_lllib,"axG",@progbits,_ZL39rocblas_trsm_block_forward_substitutionIddPKdPdLb0ELb1ELb1EEv18rocblas_operation_llT0_T1_lllT2_lllib,comdat
.Lfunc_end118:
	.size	_ZL39rocblas_trsm_block_forward_substitutionIddPKdPdLb0ELb1ELb1EEv18rocblas_operation_llT0_T1_lllT2_lllib, .Lfunc_end118-_ZL39rocblas_trsm_block_forward_substitutionIddPKdPdLb0ELb1ELb1EEv18rocblas_operation_llT0_T1_lllT2_lllib
                                        ; -- End function
	.set _ZL39rocblas_trsm_block_forward_substitutionIddPKdPdLb0ELb1ELb1EEv18rocblas_operation_llT0_T1_lllT2_lllib.num_vgpr, 14
	.set _ZL39rocblas_trsm_block_forward_substitutionIddPKdPdLb0ELb1ELb1EEv18rocblas_operation_llT0_T1_lllT2_lllib.num_agpr, 0
	.set _ZL39rocblas_trsm_block_forward_substitutionIddPKdPdLb0ELb1ELb1EEv18rocblas_operation_llT0_T1_lllT2_lllib.numbered_sgpr, 32
	.set _ZL39rocblas_trsm_block_forward_substitutionIddPKdPdLb0ELb1ELb1EEv18rocblas_operation_llT0_T1_lllT2_lllib.num_named_barrier, 0
	.set _ZL39rocblas_trsm_block_forward_substitutionIddPKdPdLb0ELb1ELb1EEv18rocblas_operation_llT0_T1_lllT2_lllib.private_seg_size, 0
	.set _ZL39rocblas_trsm_block_forward_substitutionIddPKdPdLb0ELb1ELb1EEv18rocblas_operation_llT0_T1_lllT2_lllib.uses_vcc, 1
	.set _ZL39rocblas_trsm_block_forward_substitutionIddPKdPdLb0ELb1ELb1EEv18rocblas_operation_llT0_T1_lllT2_lllib.uses_flat_scratch, 0
	.set _ZL39rocblas_trsm_block_forward_substitutionIddPKdPdLb0ELb1ELb1EEv18rocblas_operation_llT0_T1_lllT2_lllib.has_dyn_sized_stack, 0
	.set _ZL39rocblas_trsm_block_forward_substitutionIddPKdPdLb0ELb1ELb1EEv18rocblas_operation_llT0_T1_lllT2_lllib.has_recursion, 0
	.set _ZL39rocblas_trsm_block_forward_substitutionIddPKdPdLb0ELb1ELb1EEv18rocblas_operation_llT0_T1_lllT2_lllib.has_indirect_call, 0
	.section	.AMDGPU.csdata,"",@progbits
; Kernel info:
; codeLenInByte = 708
; TotalNumSgprs: 36
; NumVgprs: 14
; ScratchSize: 0
; MemoryBound: 0
; FloatMode: 240
; IeeeMode: 1
; LDSByteSize: 0 bytes/workgroup (compile time only)
; SGPRBlocks: 4
; VGPRBlocks: 3
; NumSGPRsForWavesPerEU: 36
; NumVGPRsForWavesPerEU: 14
; Occupancy: 10
; WaveLimiterHint : 1
; COMPUTE_PGM_RSRC2:SCRATCH_EN: 0
; COMPUTE_PGM_RSRC2:USER_SGPR: 6
; COMPUTE_PGM_RSRC2:TRAP_HANDLER: 0
; COMPUTE_PGM_RSRC2:TGID_X_EN: 1
; COMPUTE_PGM_RSRC2:TGID_Y_EN: 1
; COMPUTE_PGM_RSRC2:TGID_Z_EN: 1
; COMPUTE_PGM_RSRC2:TIDIG_COMP_CNT: 1
	.section	.text._ZL40rocblas_trsm_block_backward_substitutionIddPKdPdLb0ELb1ELb1EEv18rocblas_operation_llT0_T1_lllT2_lllib,"axG",@progbits,_ZL40rocblas_trsm_block_backward_substitutionIddPKdPdLb0ELb1ELb1EEv18rocblas_operation_llT0_T1_lllT2_lllib,comdat
	.globl	_ZL40rocblas_trsm_block_backward_substitutionIddPKdPdLb0ELb1ELb1EEv18rocblas_operation_llT0_T1_lllT2_lllib ; -- Begin function _ZL40rocblas_trsm_block_backward_substitutionIddPKdPdLb0ELb1ELb1EEv18rocblas_operation_llT0_T1_lllT2_lllib
	.p2align	8
	.type	_ZL40rocblas_trsm_block_backward_substitutionIddPKdPdLb0ELb1ELb1EEv18rocblas_operation_llT0_T1_lllT2_lllib,@function
_ZL40rocblas_trsm_block_backward_substitutionIddPKdPdLb0ELb1ELb1EEv18rocblas_operation_llT0_T1_lllT2_lllib: ; @_ZL40rocblas_trsm_block_backward_substitutionIddPKdPdLb0ELb1ELb1EEv18rocblas_operation_llT0_T1_lllT2_lllib
; %bb.0:
	s_load_dwordx16 s[12:27], s[4:5], 0x8
	s_load_dword s9, s[4:5], 0x64
	s_load_dword s6, s[4:5], 0x74
	v_mov_b32_e32 v2, v1
	s_waitcnt lgkmcnt(0)
	s_mul_i32 s0, s25, s8
	s_mul_hi_u32 s1, s24, s8
	s_add_i32 s1, s1, s0
	s_mul_i32 s0, s24, s8
	s_lshl_b64 s[0:1], s[0:1], 3
	s_add_u32 s2, s18, s0
	s_addc_u32 s3, s19, s1
	s_lshl_b64 s[0:1], s[20:21], 3
	s_add_u32 s2, s2, s0
	s_addc_u32 s3, s3, s1
	s_add_u32 s18, s4, 0x68
	s_addc_u32 s19, s5, 0
	s_lshr_b32 s6, s6, 16
	s_bitcmp0_b32 s9, 0
	s_mov_b64 s[0:1], 1
	s_cbranch_scc1 .LBB119_6
; %bb.1:
	s_lshl_b32 s0, s6, 3
	s_add_i32 s20, s0, 0
	v_cmp_lt_i64_e64 s[0:1], s[12:13], 1
	s_mov_b64 s[10:11], 1
	s_and_b64 vcc, exec, s[0:1]
	s_cbranch_vccnz .LBB119_7
; %bb.2:
	v_mad_u64_u32 v[3:4], s[0:1], s22, v0, 0
	v_lshl_add_u32 v5, v0, 3, s20
	s_mov_b32 s9, 0
	v_mov_b32_e32 v1, v4
	v_mad_u64_u32 v[6:7], s[0:1], s23, v0, v[1:2]
	v_mov_b32_e32 v1, 0
	v_mov_b32_e32 v7, s3
	;; [unrolled: 1-line block ×3, first 2 shown]
	v_lshlrev_b64 v[3:4], 3, v[3:4]
	v_cmp_gt_u64_e64 s[0:1], s[12:13], v[0:1]
	v_add_co_u32_e32 v1, vcc, s2, v3
	v_addc_co_u32_e32 v6, vcc, v7, v4, vcc
	s_branch .LBB119_4
.LBB119_3:                              ;   in Loop: Header=BB119_4 Depth=1
	s_or_b64 exec, exec, s[2:3]
	s_add_i32 s9, s9, s6
	s_ashr_i32 s2, s9, 31
	v_mov_b32_e32 v3, s9
	v_mov_b32_e32 v4, s2
	v_cmp_le_i64_e32 vcc, s[12:13], v[3:4]
	s_cbranch_vccnz .LBB119_7
.LBB119_4:                              ; =>This Inner Loop Header: Depth=1
	v_add_u32_e32 v3, s9, v2
	v_ashrrev_i32_e32 v4, 31, v3
	v_cmp_gt_i64_e32 vcc, s[12:13], v[3:4]
	v_cmp_lt_i32_e64 s[2:3], v0, v3
	s_and_b64 s[2:3], s[2:3], vcc
	s_and_b64 s[22:23], s[0:1], s[2:3]
	s_and_saveexec_b64 s[2:3], s[22:23]
	s_cbranch_execz .LBB119_3
; %bb.5:                                ;   in Loop: Header=BB119_4 Depth=1
	v_lshlrev_b64 v[7:8], 3, v[3:4]
	s_load_dword s21, s[18:19], 0xc
	v_add_co_u32_e32 v7, vcc, v1, v7
	v_addc_co_u32_e32 v8, vcc, v6, v8, vcc
	global_load_dwordx2 v[7:8], v[7:8], off
	s_waitcnt lgkmcnt(0)
	s_and_b32 s21, s21, 0xffff
	v_mul_lo_u32 v3, v3, s21
	v_lshl_add_u32 v3, v3, 3, v5
	s_waitcnt vmcnt(0)
	ds_write_b64 v3, v[7:8]
	s_branch .LBB119_3
.LBB119_6:
	s_mov_b64 s[10:11], s[22:23]
	s_branch .LBB119_8
.LBB119_7:
	s_mov_b64 s[0:1], src_shared_base
	s_load_dword s0, s[18:19], 0xc
	s_mov_b32 s21, s1
	s_mov_b64 s[2:3], s[20:21]
	s_waitcnt lgkmcnt(0)
	s_and_b32 s0, s0, 0xffff
.LBB119_8:
	s_mul_i32 s7, s7, s6
	v_add_u32_e32 v3, s7, v2
	v_mov_b32_e32 v4, 0
	v_cmp_gt_i64_e32 vcc, s[14:15], v[3:4]
	s_and_saveexec_b64 s[6:7], vcc
	s_cbranch_execz .LBB119_19
; %bb.9:
	v_mov_b32_e32 v1, v4
	v_cmp_gt_i64_e32 vcc, s[12:13], v[0:1]
	s_and_b64 exec, exec, vcc
	s_cbranch_execz .LBB119_19
; %bb.10:
	s_load_dwordx2 s[6:7], s[4:5], 0x58
	s_load_dwordx4 s[20:23], s[4:5], 0x48
	s_waitcnt lgkmcnt(0)
	s_mul_i32 s1, s7, s8
	s_mul_hi_u32 s5, s6, s8
	s_mul_i32 s4, s6, s8
	v_mad_u64_u32 v[4:5], s[6:7], s22, v3, 0
	s_add_i32 s5, s5, s1
	s_lshl_b64 s[4:5], s[4:5], 3
	s_add_u32 s1, s26, s4
	s_addc_u32 s6, s27, s5
	v_mad_u64_u32 v[5:6], s[4:5], s23, v3, v[5:6]
	s_lshl_b64 s[4:5], s[20:21], 3
	s_add_u32 s1, s1, s4
	v_lshlrev_b64 v[3:4], 3, v[4:5]
	s_addc_u32 s4, s6, s5
	v_mov_b32_e32 v5, s4
	v_add_co_u32_e32 v3, vcc, s1, v3
	v_addc_co_u32_e32 v4, vcc, v5, v4, vcc
	v_lshlrev_b32_e32 v5, 3, v0
	v_add_co_u32_e32 v3, vcc, v3, v5
	v_addc_co_u32_e32 v4, vcc, 0, v4, vcc
	global_load_dwordx2 v[5:6], v[3:4], off
	v_cmp_lt_u64_e64 s[4:5], s[12:13], 2
	s_and_b64 vcc, exec, s[4:5]
	s_waitcnt vmcnt(0)
	v_mul_f64 v[5:6], s[16:17], v[5:6]
	s_cbranch_vccnz .LBB119_18
; %bb.11:
	v_mad_u64_u32 v[7:8], s[4:5], s10, v0, 0
	v_lshl_add_u32 v2, v2, 3, 0
	v_mad_u64_u32 v[8:9], s[4:5], s11, v0, v[8:9]
	s_add_u32 s4, s12, -1
	s_addc_u32 s5, s13, -1
	s_mul_i32 s1, s0, s5
	s_mul_hi_u32 s6, s0, s4
	s_add_i32 s7, s6, s1
	s_mul_i32 s6, s0, s4
	s_lshl_b64 s[6:7], s[6:7], 3
	s_add_u32 s1, s2, s6
	v_lshlrev_b64 v[7:8], 3, v[7:8]
	s_addc_u32 s2, s3, s7
	s_lshl_b32 s0, s0, 3
	v_mov_b32_e32 v9, s2
	s_sub_u32 s2, 0, s0
	v_add_co_u32_e32 v7, vcc, s1, v7
	s_subb_u32 s0, 0, 0
	v_addc_co_u32_e32 v8, vcc, v9, v8, vcc
	v_mov_b32_e32 v9, s0
.LBB119_12:                             ; =>This Inner Loop Header: Depth=1
	v_cmp_eq_u64_e32 vcc, s[4:5], v[0:1]
	s_barrier
	s_and_saveexec_b64 s[0:1], vcc
; %bb.13:                               ;   in Loop: Header=BB119_12 Depth=1
	ds_write_b64 v2, v[5:6]
; %bb.14:                               ;   in Loop: Header=BB119_12 Depth=1
	s_or_b64 exec, exec, s[0:1]
	v_cmp_gt_i64_e32 vcc, s[4:5], v[0:1]
	s_waitcnt lgkmcnt(0)
	s_barrier
	s_and_saveexec_b64 s[0:1], vcc
	s_cbranch_execz .LBB119_16
; %bb.15:                               ;   in Loop: Header=BB119_12 Depth=1
	flat_load_dwordx2 v[10:11], v[7:8]
	ds_read_b64 v[12:13], v2
	s_waitcnt vmcnt(0) lgkmcnt(0)
	v_fma_f64 v[5:6], -v[10:11], v[12:13], v[5:6]
.LBB119_16:                             ;   in Loop: Header=BB119_12 Depth=1
	s_or_b64 exec, exec, s[0:1]
	s_add_u32 s0, s4, -1
	s_addc_u32 s1, s5, -1
	s_add_u32 s4, s4, 1
	s_addc_u32 s5, s5, 0
	v_cmp_lt_u64_e64 s[4:5], s[4:5], 3
	v_add_co_u32_e32 v7, vcc, s2, v7
	v_addc_co_u32_e32 v8, vcc, v8, v9, vcc
	s_and_b64 vcc, exec, s[4:5]
	s_cbranch_vccnz .LBB119_18
; %bb.17:                               ;   in Loop: Header=BB119_12 Depth=1
	s_mov_b64 s[4:5], s[0:1]
	s_branch .LBB119_12
.LBB119_18:
	global_store_dwordx2 v[3:4], v[5:6], off
.LBB119_19:
	s_endpgm
	.section	.rodata,"a",@progbits
	.p2align	6, 0x0
	.amdhsa_kernel _ZL40rocblas_trsm_block_backward_substitutionIddPKdPdLb0ELb1ELb1EEv18rocblas_operation_llT0_T1_lllT2_lllib
		.amdhsa_group_segment_fixed_size 0
		.amdhsa_private_segment_fixed_size 0
		.amdhsa_kernarg_size 360
		.amdhsa_user_sgpr_count 6
		.amdhsa_user_sgpr_private_segment_buffer 1
		.amdhsa_user_sgpr_dispatch_ptr 0
		.amdhsa_user_sgpr_queue_ptr 0
		.amdhsa_user_sgpr_kernarg_segment_ptr 1
		.amdhsa_user_sgpr_dispatch_id 0
		.amdhsa_user_sgpr_flat_scratch_init 0
		.amdhsa_user_sgpr_private_segment_size 0
		.amdhsa_uses_dynamic_stack 0
		.amdhsa_system_sgpr_private_segment_wavefront_offset 0
		.amdhsa_system_sgpr_workgroup_id_x 1
		.amdhsa_system_sgpr_workgroup_id_y 1
		.amdhsa_system_sgpr_workgroup_id_z 1
		.amdhsa_system_sgpr_workgroup_info 0
		.amdhsa_system_vgpr_workitem_id 1
		.amdhsa_next_free_vgpr 14
		.amdhsa_next_free_sgpr 28
		.amdhsa_reserve_vcc 1
		.amdhsa_reserve_flat_scratch 0
		.amdhsa_float_round_mode_32 0
		.amdhsa_float_round_mode_16_64 0
		.amdhsa_float_denorm_mode_32 3
		.amdhsa_float_denorm_mode_16_64 3
		.amdhsa_dx10_clamp 1
		.amdhsa_ieee_mode 1
		.amdhsa_fp16_overflow 0
		.amdhsa_exception_fp_ieee_invalid_op 0
		.amdhsa_exception_fp_denorm_src 0
		.amdhsa_exception_fp_ieee_div_zero 0
		.amdhsa_exception_fp_ieee_overflow 0
		.amdhsa_exception_fp_ieee_underflow 0
		.amdhsa_exception_fp_ieee_inexact 0
		.amdhsa_exception_int_div_zero 0
	.end_amdhsa_kernel
	.section	.text._ZL40rocblas_trsm_block_backward_substitutionIddPKdPdLb0ELb1ELb1EEv18rocblas_operation_llT0_T1_lllT2_lllib,"axG",@progbits,_ZL40rocblas_trsm_block_backward_substitutionIddPKdPdLb0ELb1ELb1EEv18rocblas_operation_llT0_T1_lllT2_lllib,comdat
.Lfunc_end119:
	.size	_ZL40rocblas_trsm_block_backward_substitutionIddPKdPdLb0ELb1ELb1EEv18rocblas_operation_llT0_T1_lllT2_lllib, .Lfunc_end119-_ZL40rocblas_trsm_block_backward_substitutionIddPKdPdLb0ELb1ELb1EEv18rocblas_operation_llT0_T1_lllT2_lllib
                                        ; -- End function
	.set _ZL40rocblas_trsm_block_backward_substitutionIddPKdPdLb0ELb1ELb1EEv18rocblas_operation_llT0_T1_lllT2_lllib.num_vgpr, 14
	.set _ZL40rocblas_trsm_block_backward_substitutionIddPKdPdLb0ELb1ELb1EEv18rocblas_operation_llT0_T1_lllT2_lllib.num_agpr, 0
	.set _ZL40rocblas_trsm_block_backward_substitutionIddPKdPdLb0ELb1ELb1EEv18rocblas_operation_llT0_T1_lllT2_lllib.numbered_sgpr, 28
	.set _ZL40rocblas_trsm_block_backward_substitutionIddPKdPdLb0ELb1ELb1EEv18rocblas_operation_llT0_T1_lllT2_lllib.num_named_barrier, 0
	.set _ZL40rocblas_trsm_block_backward_substitutionIddPKdPdLb0ELb1ELb1EEv18rocblas_operation_llT0_T1_lllT2_lllib.private_seg_size, 0
	.set _ZL40rocblas_trsm_block_backward_substitutionIddPKdPdLb0ELb1ELb1EEv18rocblas_operation_llT0_T1_lllT2_lllib.uses_vcc, 1
	.set _ZL40rocblas_trsm_block_backward_substitutionIddPKdPdLb0ELb1ELb1EEv18rocblas_operation_llT0_T1_lllT2_lllib.uses_flat_scratch, 0
	.set _ZL40rocblas_trsm_block_backward_substitutionIddPKdPdLb0ELb1ELb1EEv18rocblas_operation_llT0_T1_lllT2_lllib.has_dyn_sized_stack, 0
	.set _ZL40rocblas_trsm_block_backward_substitutionIddPKdPdLb0ELb1ELb1EEv18rocblas_operation_llT0_T1_lllT2_lllib.has_recursion, 0
	.set _ZL40rocblas_trsm_block_backward_substitutionIddPKdPdLb0ELb1ELb1EEv18rocblas_operation_llT0_T1_lllT2_lllib.has_indirect_call, 0
	.section	.AMDGPU.csdata,"",@progbits
; Kernel info:
; codeLenInByte = 796
; TotalNumSgprs: 32
; NumVgprs: 14
; ScratchSize: 0
; MemoryBound: 0
; FloatMode: 240
; IeeeMode: 1
; LDSByteSize: 0 bytes/workgroup (compile time only)
; SGPRBlocks: 3
; VGPRBlocks: 3
; NumSGPRsForWavesPerEU: 32
; NumVGPRsForWavesPerEU: 14
; Occupancy: 10
; WaveLimiterHint : 1
; COMPUTE_PGM_RSRC2:SCRATCH_EN: 0
; COMPUTE_PGM_RSRC2:USER_SGPR: 6
; COMPUTE_PGM_RSRC2:TRAP_HANDLER: 0
; COMPUTE_PGM_RSRC2:TGID_X_EN: 1
; COMPUTE_PGM_RSRC2:TGID_Y_EN: 1
; COMPUTE_PGM_RSRC2:TGID_Z_EN: 1
; COMPUTE_PGM_RSRC2:TIDIG_COMP_CNT: 1
	.section	.text._ZL39rocblas_trsm_block_forward_substitutionIddPKdPdLb1ELb1ELb0EEv18rocblas_operation_llT0_T1_lllT2_lllib,"axG",@progbits,_ZL39rocblas_trsm_block_forward_substitutionIddPKdPdLb1ELb1ELb0EEv18rocblas_operation_llT0_T1_lllT2_lllib,comdat
	.globl	_ZL39rocblas_trsm_block_forward_substitutionIddPKdPdLb1ELb1ELb0EEv18rocblas_operation_llT0_T1_lllT2_lllib ; -- Begin function _ZL39rocblas_trsm_block_forward_substitutionIddPKdPdLb1ELb1ELb0EEv18rocblas_operation_llT0_T1_lllT2_lllib
	.p2align	8
	.type	_ZL39rocblas_trsm_block_forward_substitutionIddPKdPdLb1ELb1ELb0EEv18rocblas_operation_llT0_T1_lllT2_lllib,@function
_ZL39rocblas_trsm_block_forward_substitutionIddPKdPdLb1ELb1ELb0EEv18rocblas_operation_llT0_T1_lllT2_lllib: ; @_ZL39rocblas_trsm_block_forward_substitutionIddPKdPdLb1ELb1ELb0EEv18rocblas_operation_llT0_T1_lllT2_lllib
; %bb.0:
	s_load_dword s9, s[4:5], 0x64
	s_load_dwordx16 s[12:27], s[4:5], 0x8
	s_load_dword s6, s[4:5], 0x74
	v_mov_b32_e32 v2, v1
	s_waitcnt lgkmcnt(0)
	s_bitcmp1_b32 s9, 0
	s_mul_i32 s2, s25, s8
	s_mul_hi_u32 s3, s24, s8
	s_cselect_b64 s[0:1], -1, 0
	s_add_i32 s3, s3, s2
	s_mul_i32 s2, s24, s8
	s_lshl_b64 s[2:3], s[2:3], 3
	s_add_u32 s10, s18, s2
	s_addc_u32 s11, s19, s3
	s_lshl_b64 s[2:3], s[20:21], 3
	s_add_u32 s2, s10, s2
	s_addc_u32 s3, s11, s3
	s_add_u32 s20, s4, 0x68
	s_addc_u32 s21, s5, 0
	s_lshr_b32 s6, s6, 16
	s_bitcmp0_b32 s9, 0
	s_mov_b64 s[18:19], 1
	s_cbranch_scc1 .LBB120_12
; %bb.1:
	v_cmp_lt_i64_e64 s[18:19], s[12:13], 1
	s_lshl_b32 s9, s6, 3
	s_add_i32 s24, s9, 0
	s_mov_b64 s[10:11], 1
	s_and_b64 vcc, exec, s[18:19]
	s_cbranch_vccnz .LBB120_13
; %bb.2:
	v_mad_u64_u32 v[3:4], s[18:19], s22, v0, 0
	v_lshlrev_b32_e32 v6, 3, v0
	v_add_u32_e32 v8, s24, v6
	v_mov_b32_e32 v1, v4
	v_mad_u64_u32 v[4:5], s[18:19], s23, v0, v[1:2]
	v_mov_b32_e32 v1, 0
	v_cmp_le_u64_e32 vcc, s[12:13], v[0:1]
	v_lshlrev_b64 v[3:4], 3, v[3:4]
	v_mov_b32_e32 v5, s3
	v_add_co_u32_e64 v1, s[2:3], s2, v3
	v_addc_co_u32_e64 v9, s[2:3], v5, v4, s[2:3]
	v_add_co_u32_e64 v3, s[2:3], v1, v6
	v_addc_co_u32_e64 v4, s[2:3], 0, v9, s[2:3]
	s_xor_b64 s[2:3], vcc, -1
	s_mov_b32 s9, s6
	v_mov_b32_e32 v5, v2
	s_branch .LBB120_4
.LBB120_3:                              ;   in Loop: Header=BB120_4 Depth=1
	s_or_b64 exec, exec, s[22:23]
	s_ashr_i32 s18, s9, 31
	s_waitcnt vmcnt(0)
	v_mov_b32_e32 v6, s9
	v_mov_b32_e32 v7, s18
	v_cmp_le_i64_e32 vcc, s[12:13], v[6:7]
	v_add_u32_e32 v5, s6, v5
	s_add_i32 s9, s9, s6
	s_cbranch_vccnz .LBB120_13
.LBB120_4:                              ; =>This Inner Loop Header: Depth=1
	v_cmp_gt_i32_e32 vcc, v0, v5
	s_and_b64 s[22:23], s[2:3], vcc
	s_mov_b64 s[18:19], 0
                                        ; implicit-def: $vgpr6_vgpr7
	s_and_saveexec_b64 s[28:29], s[22:23]
	s_xor_b64 s[22:23], exec, s[28:29]
	s_cbranch_execnz .LBB120_7
; %bb.5:                                ;   in Loop: Header=BB120_4 Depth=1
	s_or_saveexec_b64 s[22:23], s[22:23]
	v_mov_b32_e32 v10, v5
	s_xor_b64 exec, exec, s[22:23]
	s_cbranch_execnz .LBB120_8
.LBB120_6:                              ;   in Loop: Header=BB120_4 Depth=1
	s_or_b64 exec, exec, s[22:23]
	s_and_saveexec_b64 s[22:23], s[18:19]
	s_cbranch_execz .LBB120_3
	s_branch .LBB120_11
.LBB120_7:                              ;   in Loop: Header=BB120_4 Depth=1
	v_ashrrev_i32_e32 v6, 31, v5
	v_lshlrev_b64 v[6:7], 3, v[5:6]
	s_mov_b64 s[18:19], exec
	v_add_co_u32_e32 v6, vcc, v1, v6
	v_addc_co_u32_e32 v7, vcc, v9, v7, vcc
	global_load_dwordx2 v[6:7], v[6:7], off
	s_or_saveexec_b64 s[22:23], s[22:23]
	v_mov_b32_e32 v10, v5
	s_xor_b64 exec, exec, s[22:23]
	s_cbranch_execz .LBB120_6
.LBB120_8:                              ;   in Loop: Header=BB120_4 Depth=1
	v_cmp_eq_u32_e32 vcc, v0, v5
	s_and_b64 s[34:35], s[2:3], vcc
	s_mov_b64 s[30:31], s[18:19]
                                        ; implicit-def: $vgpr6_vgpr7
	s_and_saveexec_b64 s[28:29], s[34:35]
	s_cbranch_execz .LBB120_10
; %bb.9:                                ;   in Loop: Header=BB120_4 Depth=1
	global_load_dwordx2 v[6:7], v[3:4], off
	s_waitcnt vmcnt(0)
	v_div_scale_f64 v[10:11], s[30:31], v[6:7], v[6:7], 1.0
	v_div_scale_f64 v[16:17], vcc, 1.0, v[6:7], 1.0
	s_or_b64 s[30:31], s[18:19], exec
	v_rcp_f64_e32 v[12:13], v[10:11]
	v_fma_f64 v[14:15], -v[10:11], v[12:13], 1.0
	v_fma_f64 v[12:13], v[12:13], v[14:15], v[12:13]
	v_fma_f64 v[14:15], -v[10:11], v[12:13], 1.0
	v_fma_f64 v[12:13], v[12:13], v[14:15], v[12:13]
	v_mul_f64 v[14:15], v[16:17], v[12:13]
	v_fma_f64 v[10:11], -v[10:11], v[14:15], v[16:17]
	v_div_fmas_f64 v[10:11], v[10:11], v[12:13], v[14:15]
	v_div_fixup_f64 v[6:7], v[10:11], v[6:7], 1.0
.LBB120_10:                             ;   in Loop: Header=BB120_4 Depth=1
	s_or_b64 exec, exec, s[28:29]
	s_andn2_b64 s[18:19], s[18:19], exec
	s_and_b64 s[28:29], s[30:31], exec
	s_or_b64 s[18:19], s[18:19], s[28:29]
	v_mov_b32_e32 v10, v0
	s_or_b64 exec, exec, s[22:23]
	s_and_saveexec_b64 s[22:23], s[18:19]
	s_cbranch_execz .LBB120_3
.LBB120_11:                             ;   in Loop: Header=BB120_4 Depth=1
	s_load_dword s18, s[20:21], 0xc
	s_waitcnt lgkmcnt(0)
	s_and_b32 s18, s18, 0xffff
	v_mul_lo_u32 v10, v10, s18
	v_lshl_add_u32 v10, v10, 3, v8
	s_waitcnt vmcnt(0)
	ds_write_b64 v10, v[6:7]
	s_branch .LBB120_3
.LBB120_12:
	s_mov_b64 s[10:11], s[22:23]
	s_branch .LBB120_14
.LBB120_13:
	s_mov_b64 s[2:3], src_shared_base
	s_load_dword s2, s[20:21], 0xc
	s_mov_b32 s25, s3
	s_mov_b32 s19, 0
	s_waitcnt lgkmcnt(0)
	s_and_b32 s18, s2, 0xffff
	s_mov_b64 s[2:3], s[24:25]
.LBB120_14:
	s_mul_i32 s7, s7, s6
	v_add_u32_e32 v3, s7, v2
	v_mov_b32_e32 v4, 0
	v_cmp_gt_i64_e32 vcc, s[14:15], v[3:4]
	s_and_saveexec_b64 s[6:7], vcc
	s_cbranch_execz .LBB120_26
; %bb.15:
	v_mov_b32_e32 v1, v4
	v_cmp_gt_i64_e32 vcc, s[12:13], v[0:1]
	s_and_b64 exec, exec, vcc
	s_cbranch_execz .LBB120_26
; %bb.16:
	s_load_dwordx2 s[6:7], s[4:5], 0x58
	s_load_dwordx4 s[20:23], s[4:5], 0x48
	v_lshlrev_b64 v[3:4], 3, v[3:4]
	s_waitcnt lgkmcnt(0)
	s_mul_i32 s5, s7, s8
	s_mul_hi_u32 s7, s6, s8
	s_mul_i32 s4, s6, s8
	s_add_i32 s5, s7, s5
	v_mad_u64_u32 v[5:6], s[6:7], s22, v0, 0
	s_lshl_b64 s[4:5], s[4:5], 3
	s_add_u32 s6, s26, s4
	s_addc_u32 s7, s27, s5
	v_mad_u64_u32 v[6:7], s[4:5], s23, v0, v[6:7]
	s_lshl_b64 s[4:5], s[20:21], 3
	s_add_u32 s4, s6, s4
	v_lshlrev_b64 v[5:6], 3, v[5:6]
	s_addc_u32 s5, s7, s5
	v_mov_b32_e32 v7, s5
	v_add_co_u32_e32 v5, vcc, s4, v5
	v_addc_co_u32_e32 v6, vcc, v7, v6, vcc
	v_add_co_u32_e32 v3, vcc, v5, v3
	v_addc_co_u32_e32 v4, vcc, v6, v4, vcc
	global_load_dwordx2 v[5:6], v[3:4], off
	v_cmp_lt_u64_e64 s[6:7], s[12:13], 2
	s_add_u32 s4, s12, -1
	s_addc_u32 s5, s13, -1
	s_and_b64 vcc, exec, s[6:7]
	s_waitcnt vmcnt(0)
	v_mul_f64 v[5:6], s[16:17], v[5:6]
	s_cbranch_vccnz .LBB120_23
; %bb.17:
	s_add_u32 s6, s18, s10
	v_mad_u64_u32 v[7:8], s[6:7], s6, v0, 0
	s_addc_u32 s6, s19, s11
	v_mov_b32_e32 v12, s3
	v_mad_u64_u32 v[8:9], s[6:7], s6, v0, v[8:9]
	v_mad_u64_u32 v[9:10], s[6:7], s10, v0, 0
	v_lshlrev_b64 v[7:8], 3, v[7:8]
	v_lshl_add_u32 v2, v2, 3, 0
	v_mad_u64_u32 v[10:11], s[6:7], s11, v0, v[10:11]
	v_add_co_u32_e32 v7, vcc, s2, v7
	v_lshlrev_b64 v[9:10], 3, v[9:10]
	v_addc_co_u32_e32 v8, vcc, v12, v8, vcc
	v_add_co_u32_e32 v9, vcc, s2, v9
	v_addc_co_u32_e32 v10, vcc, v12, v10, vcc
	s_lshl_b32 s12, s18, 3
	s_mov_b64 s[6:7], 0
	s_branch .LBB120_19
.LBB120_18:                             ;   in Loop: Header=BB120_19 Depth=1
	s_or_b64 exec, exec, s[8:9]
	s_add_u32 s6, s6, 1
	s_addc_u32 s7, s7, 0
	v_add_co_u32_e32 v9, vcc, s12, v9
	s_cmp_eq_u64 s[4:5], s[6:7]
	v_addc_co_u32_e32 v10, vcc, 0, v10, vcc
	s_cbranch_scc1 .LBB120_23
.LBB120_19:                             ; =>This Inner Loop Header: Depth=1
	v_cmp_eq_u64_e32 vcc, s[6:7], v[0:1]
	s_barrier
	s_and_saveexec_b64 s[8:9], vcc
	s_cbranch_execz .LBB120_21
; %bb.20:                               ;   in Loop: Header=BB120_19 Depth=1
	flat_load_dwordx2 v[11:12], v[7:8]
	s_waitcnt vmcnt(0) lgkmcnt(0)
	v_div_scale_f64 v[13:14], s[14:15], v[11:12], v[11:12], 1.0
	v_rcp_f64_e32 v[15:16], v[13:14]
	v_fma_f64 v[17:18], -v[13:14], v[15:16], 1.0
	v_fma_f64 v[15:16], v[15:16], v[17:18], v[15:16]
	v_div_scale_f64 v[17:18], vcc, 1.0, v[11:12], 1.0
	v_fma_f64 v[19:20], -v[13:14], v[15:16], 1.0
	v_fma_f64 v[15:16], v[15:16], v[19:20], v[15:16]
	v_mul_f64 v[19:20], v[17:18], v[15:16]
	v_fma_f64 v[13:14], -v[13:14], v[19:20], v[17:18]
	v_div_fmas_f64 v[13:14], v[13:14], v[15:16], v[19:20]
	v_div_fixup_f64 v[13:14], v[13:14], v[11:12], 1.0
	v_cndmask_b32_e64 v12, v14, v12, s[0:1]
	v_cndmask_b32_e64 v11, v13, v11, s[0:1]
	v_mul_f64 v[5:6], v[5:6], v[11:12]
	ds_write_b64 v2, v[5:6]
.LBB120_21:                             ;   in Loop: Header=BB120_19 Depth=1
	s_or_b64 exec, exec, s[8:9]
	v_cmp_lt_u64_e32 vcc, s[6:7], v[0:1]
	s_waitcnt lgkmcnt(0)
	s_barrier
	s_and_saveexec_b64 s[8:9], vcc
	s_cbranch_execz .LBB120_18
; %bb.22:                               ;   in Loop: Header=BB120_19 Depth=1
	flat_load_dwordx2 v[11:12], v[9:10]
	ds_read_b64 v[13:14], v2
	s_waitcnt vmcnt(0) lgkmcnt(0)
	v_fma_f64 v[5:6], -v[11:12], v[13:14], v[5:6]
	s_branch .LBB120_18
.LBB120_23:
	v_cmp_eq_u64_e32 vcc, s[4:5], v[0:1]
	s_and_saveexec_b64 s[4:5], vcc
	s_cbranch_execz .LBB120_25
; %bb.24:
	s_add_u32 s6, s18, s10
	v_mad_u64_u32 v[1:2], s[6:7], s6, v0, 0
	s_addc_u32 s6, s19, s11
	v_mad_u64_u32 v[7:8], s[6:7], s6, v0, v[2:3]
	v_mov_b32_e32 v8, s3
	v_mov_b32_e32 v2, v7
	v_lshlrev_b64 v[0:1], 3, v[1:2]
	v_add_co_u32_e32 v0, vcc, s2, v0
	v_addc_co_u32_e32 v1, vcc, v8, v1, vcc
	flat_load_dwordx2 v[0:1], v[0:1]
	s_waitcnt vmcnt(0) lgkmcnt(0)
	v_div_scale_f64 v[7:8], s[2:3], v[0:1], v[0:1], 1.0
	v_rcp_f64_e32 v[9:10], v[7:8]
	v_fma_f64 v[11:12], -v[7:8], v[9:10], 1.0
	v_fma_f64 v[9:10], v[9:10], v[11:12], v[9:10]
	v_div_scale_f64 v[11:12], vcc, 1.0, v[0:1], 1.0
	v_fma_f64 v[13:14], -v[7:8], v[9:10], 1.0
	v_fma_f64 v[9:10], v[9:10], v[13:14], v[9:10]
	v_mul_f64 v[13:14], v[11:12], v[9:10]
	v_fma_f64 v[7:8], -v[7:8], v[13:14], v[11:12]
	v_div_fmas_f64 v[7:8], v[7:8], v[9:10], v[13:14]
	v_div_fixup_f64 v[7:8], v[7:8], v[0:1], 1.0
	v_cndmask_b32_e64 v1, v8, v1, s[0:1]
	v_cndmask_b32_e64 v0, v7, v0, s[0:1]
	v_mul_f64 v[5:6], v[5:6], v[0:1]
.LBB120_25:
	s_or_b64 exec, exec, s[4:5]
	global_store_dwordx2 v[3:4], v[5:6], off
.LBB120_26:
	s_endpgm
	.section	.rodata,"a",@progbits
	.p2align	6, 0x0
	.amdhsa_kernel _ZL39rocblas_trsm_block_forward_substitutionIddPKdPdLb1ELb1ELb0EEv18rocblas_operation_llT0_T1_lllT2_lllib
		.amdhsa_group_segment_fixed_size 0
		.amdhsa_private_segment_fixed_size 0
		.amdhsa_kernarg_size 360
		.amdhsa_user_sgpr_count 6
		.amdhsa_user_sgpr_private_segment_buffer 1
		.amdhsa_user_sgpr_dispatch_ptr 0
		.amdhsa_user_sgpr_queue_ptr 0
		.amdhsa_user_sgpr_kernarg_segment_ptr 1
		.amdhsa_user_sgpr_dispatch_id 0
		.amdhsa_user_sgpr_flat_scratch_init 0
		.amdhsa_user_sgpr_private_segment_size 0
		.amdhsa_uses_dynamic_stack 0
		.amdhsa_system_sgpr_private_segment_wavefront_offset 0
		.amdhsa_system_sgpr_workgroup_id_x 1
		.amdhsa_system_sgpr_workgroup_id_y 1
		.amdhsa_system_sgpr_workgroup_id_z 1
		.amdhsa_system_sgpr_workgroup_info 0
		.amdhsa_system_vgpr_workitem_id 1
		.amdhsa_next_free_vgpr 21
		.amdhsa_next_free_sgpr 36
		.amdhsa_reserve_vcc 1
		.amdhsa_reserve_flat_scratch 0
		.amdhsa_float_round_mode_32 0
		.amdhsa_float_round_mode_16_64 0
		.amdhsa_float_denorm_mode_32 3
		.amdhsa_float_denorm_mode_16_64 3
		.amdhsa_dx10_clamp 1
		.amdhsa_ieee_mode 1
		.amdhsa_fp16_overflow 0
		.amdhsa_exception_fp_ieee_invalid_op 0
		.amdhsa_exception_fp_denorm_src 0
		.amdhsa_exception_fp_ieee_div_zero 0
		.amdhsa_exception_fp_ieee_overflow 0
		.amdhsa_exception_fp_ieee_underflow 0
		.amdhsa_exception_fp_ieee_inexact 0
		.amdhsa_exception_int_div_zero 0
	.end_amdhsa_kernel
	.section	.text._ZL39rocblas_trsm_block_forward_substitutionIddPKdPdLb1ELb1ELb0EEv18rocblas_operation_llT0_T1_lllT2_lllib,"axG",@progbits,_ZL39rocblas_trsm_block_forward_substitutionIddPKdPdLb1ELb1ELb0EEv18rocblas_operation_llT0_T1_lllT2_lllib,comdat
.Lfunc_end120:
	.size	_ZL39rocblas_trsm_block_forward_substitutionIddPKdPdLb1ELb1ELb0EEv18rocblas_operation_llT0_T1_lllT2_lllib, .Lfunc_end120-_ZL39rocblas_trsm_block_forward_substitutionIddPKdPdLb1ELb1ELb0EEv18rocblas_operation_llT0_T1_lllT2_lllib
                                        ; -- End function
	.set _ZL39rocblas_trsm_block_forward_substitutionIddPKdPdLb1ELb1ELb0EEv18rocblas_operation_llT0_T1_lllT2_lllib.num_vgpr, 21
	.set _ZL39rocblas_trsm_block_forward_substitutionIddPKdPdLb1ELb1ELb0EEv18rocblas_operation_llT0_T1_lllT2_lllib.num_agpr, 0
	.set _ZL39rocblas_trsm_block_forward_substitutionIddPKdPdLb1ELb1ELb0EEv18rocblas_operation_llT0_T1_lllT2_lllib.numbered_sgpr, 36
	.set _ZL39rocblas_trsm_block_forward_substitutionIddPKdPdLb1ELb1ELb0EEv18rocblas_operation_llT0_T1_lllT2_lllib.num_named_barrier, 0
	.set _ZL39rocblas_trsm_block_forward_substitutionIddPKdPdLb1ELb1ELb0EEv18rocblas_operation_llT0_T1_lllT2_lllib.private_seg_size, 0
	.set _ZL39rocblas_trsm_block_forward_substitutionIddPKdPdLb1ELb1ELb0EEv18rocblas_operation_llT0_T1_lllT2_lllib.uses_vcc, 1
	.set _ZL39rocblas_trsm_block_forward_substitutionIddPKdPdLb1ELb1ELb0EEv18rocblas_operation_llT0_T1_lllT2_lllib.uses_flat_scratch, 0
	.set _ZL39rocblas_trsm_block_forward_substitutionIddPKdPdLb1ELb1ELb0EEv18rocblas_operation_llT0_T1_lllT2_lllib.has_dyn_sized_stack, 0
	.set _ZL39rocblas_trsm_block_forward_substitutionIddPKdPdLb1ELb1ELb0EEv18rocblas_operation_llT0_T1_lllT2_lllib.has_recursion, 0
	.set _ZL39rocblas_trsm_block_forward_substitutionIddPKdPdLb1ELb1ELb0EEv18rocblas_operation_llT0_T1_lllT2_lllib.has_indirect_call, 0
	.section	.AMDGPU.csdata,"",@progbits
; Kernel info:
; codeLenInByte = 1336
; TotalNumSgprs: 40
; NumVgprs: 21
; ScratchSize: 0
; MemoryBound: 1
; FloatMode: 240
; IeeeMode: 1
; LDSByteSize: 0 bytes/workgroup (compile time only)
; SGPRBlocks: 4
; VGPRBlocks: 5
; NumSGPRsForWavesPerEU: 40
; NumVGPRsForWavesPerEU: 21
; Occupancy: 10
; WaveLimiterHint : 1
; COMPUTE_PGM_RSRC2:SCRATCH_EN: 0
; COMPUTE_PGM_RSRC2:USER_SGPR: 6
; COMPUTE_PGM_RSRC2:TRAP_HANDLER: 0
; COMPUTE_PGM_RSRC2:TGID_X_EN: 1
; COMPUTE_PGM_RSRC2:TGID_Y_EN: 1
; COMPUTE_PGM_RSRC2:TGID_Z_EN: 1
; COMPUTE_PGM_RSRC2:TIDIG_COMP_CNT: 1
	.section	.text._ZL40rocblas_trsm_block_backward_substitutionIddPKdPdLb1ELb1ELb0EEv18rocblas_operation_llT0_T1_lllT2_lllib,"axG",@progbits,_ZL40rocblas_trsm_block_backward_substitutionIddPKdPdLb1ELb1ELb0EEv18rocblas_operation_llT0_T1_lllT2_lllib,comdat
	.globl	_ZL40rocblas_trsm_block_backward_substitutionIddPKdPdLb1ELb1ELb0EEv18rocblas_operation_llT0_T1_lllT2_lllib ; -- Begin function _ZL40rocblas_trsm_block_backward_substitutionIddPKdPdLb1ELb1ELb0EEv18rocblas_operation_llT0_T1_lllT2_lllib
	.p2align	8
	.type	_ZL40rocblas_trsm_block_backward_substitutionIddPKdPdLb1ELb1ELb0EEv18rocblas_operation_llT0_T1_lllT2_lllib,@function
_ZL40rocblas_trsm_block_backward_substitutionIddPKdPdLb1ELb1ELb0EEv18rocblas_operation_llT0_T1_lllT2_lllib: ; @_ZL40rocblas_trsm_block_backward_substitutionIddPKdPdLb1ELb1ELb0EEv18rocblas_operation_llT0_T1_lllT2_lllib
; %bb.0:
	s_load_dword s9, s[4:5], 0x64
	s_load_dwordx16 s[12:27], s[4:5], 0x8
	s_load_dword s6, s[4:5], 0x74
	v_mov_b32_e32 v2, v1
	s_waitcnt lgkmcnt(0)
	s_bitcmp1_b32 s9, 0
	s_mul_i32 s2, s25, s8
	s_mul_hi_u32 s3, s24, s8
	s_cselect_b64 s[0:1], -1, 0
	s_add_i32 s3, s3, s2
	s_mul_i32 s2, s24, s8
	s_lshl_b64 s[2:3], s[2:3], 3
	s_add_u32 s10, s18, s2
	s_addc_u32 s11, s19, s3
	s_lshl_b64 s[2:3], s[20:21], 3
	s_add_u32 s10, s10, s2
	s_addc_u32 s11, s11, s3
	s_add_u32 s18, s4, 0x68
	s_addc_u32 s19, s5, 0
	s_lshr_b32 s6, s6, 16
	s_bitcmp0_b32 s9, 0
	s_cbranch_scc1 .LBB121_15
; %bb.1:
	v_cmp_lt_i64_e64 s[2:3], s[12:13], 1
	s_lshl_b32 s9, s6, 3
	s_add_i32 s20, s9, 0
	s_and_b64 vcc, exec, s[2:3]
	s_cbranch_vccnz .LBB121_14
; %bb.2:
	v_mad_u64_u32 v[3:4], s[2:3], s22, v0, 0
	v_mov_b32_e32 v1, 0
	v_cmp_le_u64_e64 s[24:25], s[12:13], v[0:1]
	v_cmp_gt_u64_e64 s[2:3], s[12:13], v[0:1]
	v_mov_b32_e32 v1, v4
	v_mad_u64_u32 v[4:5], s[28:29], s23, v0, v[1:2]
	v_lshlrev_b32_e32 v6, 3, v0
	v_mov_b32_e32 v7, s11
	v_add_co_u32_e32 v1, vcc, s10, v6
	v_lshlrev_b64 v[3:4], 3, v[3:4]
	v_addc_co_u32_e32 v10, vcc, 0, v7, vcc
	v_add_co_u32_e32 v3, vcc, v1, v3
	v_add_u32_e32 v9, s20, v6
	v_addc_co_u32_e32 v4, vcc, v10, v4, vcc
	s_xor_b64 s[28:29], s[24:25], -1
	s_mov_b32 s9, s6
	v_mov_b32_e32 v5, v2
	s_branch .LBB121_4
.LBB121_3:                              ;   in Loop: Header=BB121_4 Depth=1
	s_or_b64 exec, exec, s[30:31]
	s_ashr_i32 s10, s9, 31
	v_mov_b32_e32 v6, s9
	s_waitcnt vmcnt(0)
	v_mov_b32_e32 v7, s10
	v_cmp_le_i64_e32 vcc, s[12:13], v[6:7]
	v_add_u32_e32 v5, s6, v5
	s_add_i32 s9, s9, s6
	s_cbranch_vccnz .LBB121_14
.LBB121_4:                              ; =>This Inner Loop Header: Depth=1
	s_mov_b64 s[10:11], 0
	s_mov_b64 s[34:35], s[24:25]
                                        ; implicit-def: $vgpr7_vgpr8
	s_and_saveexec_b64 s[30:31], s[2:3]
	s_cbranch_execnz .LBB121_7
; %bb.5:                                ;   in Loop: Header=BB121_4 Depth=1
	s_or_b64 exec, exec, s[30:31]
	v_mov_b32_e32 v6, v5
	s_and_saveexec_b64 s[30:31], s[34:35]
	s_cbranch_execnz .LBB121_10
.LBB121_6:                              ;   in Loop: Header=BB121_4 Depth=1
	s_or_b64 exec, exec, s[30:31]
	s_and_saveexec_b64 s[30:31], s[10:11]
	s_cbranch_execz .LBB121_3
	s_branch .LBB121_13
.LBB121_7:                              ;   in Loop: Header=BB121_4 Depth=1
	v_ashrrev_i32_e32 v6, 31, v5
	v_cmp_gt_i64_e32 vcc, s[12:13], v[5:6]
	v_cmp_lt_i32_e64 s[10:11], v0, v5
	s_and_b64 s[38:39], s[10:11], vcc
	s_mov_b64 s[36:37], -1
	s_mov_b64 s[10:11], 0
                                        ; implicit-def: $vgpr7_vgpr8
	s_and_saveexec_b64 s[34:35], s[38:39]
	s_cbranch_execz .LBB121_9
; %bb.8:                                ;   in Loop: Header=BB121_4 Depth=1
	v_mul_lo_u32 v8, s23, v5
	v_mul_lo_u32 v11, s22, v6
	v_mad_u64_u32 v[6:7], s[36:37], s22, v5, 0
	s_mov_b64 s[10:11], exec
	s_xor_b64 s[36:37], exec, -1
	v_add3_u32 v7, v7, v11, v8
	v_lshlrev_b64 v[6:7], 3, v[6:7]
	v_add_co_u32_e32 v6, vcc, v1, v6
	v_addc_co_u32_e32 v7, vcc, v10, v7, vcc
	global_load_dwordx2 v[7:8], v[6:7], off
.LBB121_9:                              ;   in Loop: Header=BB121_4 Depth=1
	s_or_b64 exec, exec, s[34:35]
	s_andn2_b64 s[34:35], s[24:25], exec
	s_and_b64 s[36:37], s[36:37], exec
	s_and_b64 s[10:11], s[10:11], exec
	s_or_b64 s[34:35], s[34:35], s[36:37]
	s_or_b64 exec, exec, s[30:31]
	v_mov_b32_e32 v6, v5
	s_and_saveexec_b64 s[30:31], s[34:35]
	s_cbranch_execz .LBB121_6
.LBB121_10:                             ;   in Loop: Header=BB121_4 Depth=1
	v_cmp_eq_u32_e32 vcc, v0, v5
	s_and_b64 s[38:39], s[28:29], vcc
	s_mov_b64 s[36:37], s[10:11]
                                        ; implicit-def: $vgpr7_vgpr8
	s_and_saveexec_b64 s[34:35], s[38:39]
	s_cbranch_execz .LBB121_12
; %bb.11:                               ;   in Loop: Header=BB121_4 Depth=1
	global_load_dwordx2 v[6:7], v[3:4], off
	s_waitcnt vmcnt(0)
	v_div_scale_f64 v[11:12], s[36:37], v[6:7], v[6:7], 1.0
	v_div_scale_f64 v[17:18], vcc, 1.0, v[6:7], 1.0
	s_or_b64 s[36:37], s[10:11], exec
	v_rcp_f64_e32 v[13:14], v[11:12]
	v_fma_f64 v[15:16], -v[11:12], v[13:14], 1.0
	v_fma_f64 v[13:14], v[13:14], v[15:16], v[13:14]
	v_fma_f64 v[15:16], -v[11:12], v[13:14], 1.0
	v_fma_f64 v[13:14], v[13:14], v[15:16], v[13:14]
	v_mul_f64 v[15:16], v[17:18], v[13:14]
	v_fma_f64 v[11:12], -v[11:12], v[15:16], v[17:18]
	v_div_fmas_f64 v[11:12], v[11:12], v[13:14], v[15:16]
	v_div_fixup_f64 v[7:8], v[11:12], v[6:7], 1.0
.LBB121_12:                             ;   in Loop: Header=BB121_4 Depth=1
	s_or_b64 exec, exec, s[34:35]
	s_andn2_b64 s[10:11], s[10:11], exec
	s_and_b64 s[34:35], s[36:37], exec
	s_or_b64 s[10:11], s[10:11], s[34:35]
	v_mov_b32_e32 v6, v0
	s_or_b64 exec, exec, s[30:31]
	s_and_saveexec_b64 s[30:31], s[10:11]
	s_cbranch_execz .LBB121_3
.LBB121_13:                             ;   in Loop: Header=BB121_4 Depth=1
	s_load_dword s10, s[18:19], 0xc
	s_waitcnt lgkmcnt(0)
	s_and_b32 s10, s10, 0xffff
	v_mul_lo_u32 v6, v6, s10
	v_lshl_add_u32 v6, v6, 3, v9
	s_waitcnt vmcnt(0)
	ds_write_b64 v6, v[7:8]
	s_branch .LBB121_3
.LBB121_14:
	s_mov_b64 s[2:3], src_shared_base
	s_load_dword s2, s[18:19], 0xc
	s_mov_b32 s21, s3
	s_mov_b32 s23, 0
	s_mov_b64 s[10:11], s[20:21]
	s_waitcnt lgkmcnt(0)
	s_and_b32 s22, s2, 0xffff
.LBB121_15:
	s_mul_i32 s7, s7, s6
	v_add_u32_e32 v3, s7, v2
	v_mov_b32_e32 v4, 0
	v_cmp_gt_i64_e32 vcc, s[14:15], v[3:4]
	s_and_saveexec_b64 s[2:3], vcc
	s_cbranch_execz .LBB121_28
; %bb.16:
	v_mov_b32_e32 v1, v4
	v_cmp_gt_i64_e32 vcc, s[12:13], v[0:1]
	s_and_b64 exec, exec, vcc
	s_cbranch_execz .LBB121_28
; %bb.17:
	s_load_dwordx2 s[2:3], s[4:5], 0x58
	s_load_dwordx4 s[28:31], s[4:5], 0x48
	v_lshlrev_b32_e32 v9, 3, v0
	s_waitcnt lgkmcnt(0)
	s_mul_i32 s3, s3, s8
	s_mul_hi_u32 s4, s2, s8
	s_add_i32 s3, s4, s3
	v_mad_u64_u32 v[4:5], s[4:5], s30, v3, 0
	s_mul_i32 s2, s2, s8
	s_lshl_b64 s[2:3], s[2:3], 3
	s_add_u32 s4, s26, s2
	s_addc_u32 s5, s27, s3
	v_mad_u64_u32 v[5:6], s[2:3], s31, v3, v[5:6]
	s_lshl_b64 s[2:3], s[28:29], 3
	s_add_u32 s2, s4, s2
	v_lshlrev_b64 v[3:4], 3, v[4:5]
	s_addc_u32 s3, s5, s3
	v_mov_b32_e32 v5, s3
	v_add_co_u32_e32 v3, vcc, s2, v3
	v_addc_co_u32_e32 v4, vcc, v5, v4, vcc
	v_add_co_u32_e32 v3, vcc, v3, v9
	v_addc_co_u32_e32 v4, vcc, 0, v4, vcc
	global_load_dwordx2 v[5:6], v[3:4], off
	v_cmp_lt_u64_e64 s[2:3], s[12:13], 2
	s_and_b64 vcc, exec, s[2:3]
	s_waitcnt vmcnt(0)
	v_mul_f64 v[5:6], s[16:17], v[5:6]
	s_cbranch_vccnz .LBB121_25
; %bb.18:
	v_mad_u64_u32 v[7:8], s[2:3], v0, s22, v[0:1]
	v_lshl_add_u32 v2, v2, 3, 0
	v_mad_u64_u32 v[10:11], s[2:3], v0, s23, v[8:9]
	s_add_u32 s2, s12, -1
	s_addc_u32 s3, s13, -1
	s_mul_i32 s4, s22, s3
	s_mul_hi_u32 s5, s22, s2
	v_mov_b32_e32 v8, v10
	s_add_i32 s4, s5, s4
	s_mul_i32 s5, s23, s2
	v_lshlrev_b64 v[7:8], 3, v[7:8]
	s_add_i32 s5, s4, s5
	s_mul_i32 s4, s22, s2
	s_lshl_b64 s[4:5], s[4:5], 3
	v_mov_b32_e32 v11, s11
	v_add_co_u32_e32 v7, vcc, s10, v7
	s_add_u32 s4, s10, s4
	v_addc_co_u32_e32 v8, vcc, v11, v8, vcc
	s_addc_u32 s5, s11, s5
	v_mov_b32_e32 v10, s5
	v_add_co_u32_e32 v9, vcc, s4, v9
	s_lshl_b64 s[4:5], s[22:23], 3
	s_sub_u32 s6, 0, s4
	v_addc_co_u32_e32 v10, vcc, 0, v10, vcc
	s_subb_u32 s7, 0, s5
.LBB121_19:                             ; =>This Inner Loop Header: Depth=1
	v_cmp_eq_u64_e32 vcc, s[2:3], v[0:1]
	s_barrier
	s_and_saveexec_b64 s[4:5], vcc
	s_cbranch_execz .LBB121_21
; %bb.20:                               ;   in Loop: Header=BB121_19 Depth=1
	flat_load_dwordx2 v[11:12], v[7:8]
	s_waitcnt vmcnt(0) lgkmcnt(0)
	v_div_scale_f64 v[13:14], s[8:9], v[11:12], v[11:12], 1.0
	v_rcp_f64_e32 v[15:16], v[13:14]
	v_fma_f64 v[17:18], -v[13:14], v[15:16], 1.0
	v_fma_f64 v[15:16], v[15:16], v[17:18], v[15:16]
	v_div_scale_f64 v[17:18], vcc, 1.0, v[11:12], 1.0
	v_fma_f64 v[19:20], -v[13:14], v[15:16], 1.0
	v_fma_f64 v[15:16], v[15:16], v[19:20], v[15:16]
	v_mul_f64 v[19:20], v[17:18], v[15:16]
	v_fma_f64 v[13:14], -v[13:14], v[19:20], v[17:18]
	v_div_fmas_f64 v[13:14], v[13:14], v[15:16], v[19:20]
	v_div_fixup_f64 v[13:14], v[13:14], v[11:12], 1.0
	v_cndmask_b32_e64 v12, v14, v12, s[0:1]
	v_cndmask_b32_e64 v11, v13, v11, s[0:1]
	v_mul_f64 v[5:6], v[5:6], v[11:12]
	ds_write_b64 v2, v[5:6]
.LBB121_21:                             ;   in Loop: Header=BB121_19 Depth=1
	s_or_b64 exec, exec, s[4:5]
	v_cmp_gt_i64_e32 vcc, s[2:3], v[0:1]
	s_waitcnt lgkmcnt(0)
	s_barrier
	s_and_saveexec_b64 s[4:5], vcc
	s_cbranch_execz .LBB121_23
; %bb.22:                               ;   in Loop: Header=BB121_19 Depth=1
	flat_load_dwordx2 v[11:12], v[9:10]
	ds_read_b64 v[13:14], v2
	s_waitcnt vmcnt(0) lgkmcnt(0)
	v_fma_f64 v[5:6], -v[11:12], v[13:14], v[5:6]
.LBB121_23:                             ;   in Loop: Header=BB121_19 Depth=1
	s_or_b64 exec, exec, s[4:5]
	s_add_u32 s4, s2, -1
	s_addc_u32 s5, s3, -1
	s_add_u32 s2, s2, 1
	s_addc_u32 s3, s3, 0
	v_mov_b32_e32 v11, s7
	v_cmp_lt_u64_e64 s[2:3], s[2:3], 3
	v_add_co_u32_e32 v9, vcc, s6, v9
	v_addc_co_u32_e32 v10, vcc, v10, v11, vcc
	s_and_b64 vcc, exec, s[2:3]
	s_cbranch_vccnz .LBB121_25
; %bb.24:                               ;   in Loop: Header=BB121_19 Depth=1
	s_mov_b64 s[2:3], s[4:5]
	s_branch .LBB121_19
.LBB121_25:
	v_cmp_eq_u32_e32 vcc, 0, v0
	s_and_saveexec_b64 s[2:3], vcc
	s_cbranch_execz .LBB121_27
; %bb.26:
	v_mad_u64_u32 v[1:2], s[4:5], v0, s22, v[0:1]
	v_mad_u64_u32 v[7:8], s[4:5], v0, s23, v[2:3]
	v_mov_b32_e32 v8, s11
	v_mov_b32_e32 v2, v7
	v_lshlrev_b64 v[0:1], 3, v[1:2]
	v_add_co_u32_e32 v0, vcc, s10, v0
	v_addc_co_u32_e32 v1, vcc, v8, v1, vcc
	flat_load_dwordx2 v[0:1], v[0:1]
	s_waitcnt vmcnt(0) lgkmcnt(0)
	v_div_scale_f64 v[7:8], s[4:5], v[0:1], v[0:1], 1.0
	v_rcp_f64_e32 v[9:10], v[7:8]
	v_fma_f64 v[11:12], -v[7:8], v[9:10], 1.0
	v_fma_f64 v[9:10], v[9:10], v[11:12], v[9:10]
	v_div_scale_f64 v[11:12], vcc, 1.0, v[0:1], 1.0
	v_fma_f64 v[13:14], -v[7:8], v[9:10], 1.0
	v_fma_f64 v[9:10], v[9:10], v[13:14], v[9:10]
	v_mul_f64 v[13:14], v[11:12], v[9:10]
	v_fma_f64 v[7:8], -v[7:8], v[13:14], v[11:12]
	v_div_fmas_f64 v[7:8], v[7:8], v[9:10], v[13:14]
	v_div_fixup_f64 v[7:8], v[7:8], v[0:1], 1.0
	v_cndmask_b32_e64 v1, v8, v1, s[0:1]
	v_cndmask_b32_e64 v0, v7, v0, s[0:1]
	v_mul_f64 v[5:6], v[5:6], v[0:1]
.LBB121_27:
	s_or_b64 exec, exec, s[2:3]
	global_store_dwordx2 v[3:4], v[5:6], off
.LBB121_28:
	s_endpgm
	.section	.rodata,"a",@progbits
	.p2align	6, 0x0
	.amdhsa_kernel _ZL40rocblas_trsm_block_backward_substitutionIddPKdPdLb1ELb1ELb0EEv18rocblas_operation_llT0_T1_lllT2_lllib
		.amdhsa_group_segment_fixed_size 0
		.amdhsa_private_segment_fixed_size 0
		.amdhsa_kernarg_size 360
		.amdhsa_user_sgpr_count 6
		.amdhsa_user_sgpr_private_segment_buffer 1
		.amdhsa_user_sgpr_dispatch_ptr 0
		.amdhsa_user_sgpr_queue_ptr 0
		.amdhsa_user_sgpr_kernarg_segment_ptr 1
		.amdhsa_user_sgpr_dispatch_id 0
		.amdhsa_user_sgpr_flat_scratch_init 0
		.amdhsa_user_sgpr_private_segment_size 0
		.amdhsa_uses_dynamic_stack 0
		.amdhsa_system_sgpr_private_segment_wavefront_offset 0
		.amdhsa_system_sgpr_workgroup_id_x 1
		.amdhsa_system_sgpr_workgroup_id_y 1
		.amdhsa_system_sgpr_workgroup_id_z 1
		.amdhsa_system_sgpr_workgroup_info 0
		.amdhsa_system_vgpr_workitem_id 1
		.amdhsa_next_free_vgpr 21
		.amdhsa_next_free_sgpr 40
		.amdhsa_reserve_vcc 1
		.amdhsa_reserve_flat_scratch 0
		.amdhsa_float_round_mode_32 0
		.amdhsa_float_round_mode_16_64 0
		.amdhsa_float_denorm_mode_32 3
		.amdhsa_float_denorm_mode_16_64 3
		.amdhsa_dx10_clamp 1
		.amdhsa_ieee_mode 1
		.amdhsa_fp16_overflow 0
		.amdhsa_exception_fp_ieee_invalid_op 0
		.amdhsa_exception_fp_denorm_src 0
		.amdhsa_exception_fp_ieee_div_zero 0
		.amdhsa_exception_fp_ieee_overflow 0
		.amdhsa_exception_fp_ieee_underflow 0
		.amdhsa_exception_fp_ieee_inexact 0
		.amdhsa_exception_int_div_zero 0
	.end_amdhsa_kernel
	.section	.text._ZL40rocblas_trsm_block_backward_substitutionIddPKdPdLb1ELb1ELb0EEv18rocblas_operation_llT0_T1_lllT2_lllib,"axG",@progbits,_ZL40rocblas_trsm_block_backward_substitutionIddPKdPdLb1ELb1ELb0EEv18rocblas_operation_llT0_T1_lllT2_lllib,comdat
.Lfunc_end121:
	.size	_ZL40rocblas_trsm_block_backward_substitutionIddPKdPdLb1ELb1ELb0EEv18rocblas_operation_llT0_T1_lllT2_lllib, .Lfunc_end121-_ZL40rocblas_trsm_block_backward_substitutionIddPKdPdLb1ELb1ELb0EEv18rocblas_operation_llT0_T1_lllT2_lllib
                                        ; -- End function
	.set _ZL40rocblas_trsm_block_backward_substitutionIddPKdPdLb1ELb1ELb0EEv18rocblas_operation_llT0_T1_lllT2_lllib.num_vgpr, 21
	.set _ZL40rocblas_trsm_block_backward_substitutionIddPKdPdLb1ELb1ELb0EEv18rocblas_operation_llT0_T1_lllT2_lllib.num_agpr, 0
	.set _ZL40rocblas_trsm_block_backward_substitutionIddPKdPdLb1ELb1ELb0EEv18rocblas_operation_llT0_T1_lllT2_lllib.numbered_sgpr, 40
	.set _ZL40rocblas_trsm_block_backward_substitutionIddPKdPdLb1ELb1ELb0EEv18rocblas_operation_llT0_T1_lllT2_lllib.num_named_barrier, 0
	.set _ZL40rocblas_trsm_block_backward_substitutionIddPKdPdLb1ELb1ELb0EEv18rocblas_operation_llT0_T1_lllT2_lllib.private_seg_size, 0
	.set _ZL40rocblas_trsm_block_backward_substitutionIddPKdPdLb1ELb1ELb0EEv18rocblas_operation_llT0_T1_lllT2_lllib.uses_vcc, 1
	.set _ZL40rocblas_trsm_block_backward_substitutionIddPKdPdLb1ELb1ELb0EEv18rocblas_operation_llT0_T1_lllT2_lllib.uses_flat_scratch, 0
	.set _ZL40rocblas_trsm_block_backward_substitutionIddPKdPdLb1ELb1ELb0EEv18rocblas_operation_llT0_T1_lllT2_lllib.has_dyn_sized_stack, 0
	.set _ZL40rocblas_trsm_block_backward_substitutionIddPKdPdLb1ELb1ELb0EEv18rocblas_operation_llT0_T1_lllT2_lllib.has_recursion, 0
	.set _ZL40rocblas_trsm_block_backward_substitutionIddPKdPdLb1ELb1ELb0EEv18rocblas_operation_llT0_T1_lllT2_lllib.has_indirect_call, 0
	.section	.AMDGPU.csdata,"",@progbits
; Kernel info:
; codeLenInByte = 1420
; TotalNumSgprs: 44
; NumVgprs: 21
; ScratchSize: 0
; MemoryBound: 1
; FloatMode: 240
; IeeeMode: 1
; LDSByteSize: 0 bytes/workgroup (compile time only)
; SGPRBlocks: 5
; VGPRBlocks: 5
; NumSGPRsForWavesPerEU: 44
; NumVGPRsForWavesPerEU: 21
; Occupancy: 10
; WaveLimiterHint : 1
; COMPUTE_PGM_RSRC2:SCRATCH_EN: 0
; COMPUTE_PGM_RSRC2:USER_SGPR: 6
; COMPUTE_PGM_RSRC2:TRAP_HANDLER: 0
; COMPUTE_PGM_RSRC2:TGID_X_EN: 1
; COMPUTE_PGM_RSRC2:TGID_Y_EN: 1
; COMPUTE_PGM_RSRC2:TGID_Z_EN: 1
; COMPUTE_PGM_RSRC2:TIDIG_COMP_CNT: 1
	.section	.text._ZL39rocblas_trsm_block_forward_substitutionIddPKdPdLb1ELb1ELb1EEv18rocblas_operation_llT0_T1_lllT2_lllib,"axG",@progbits,_ZL39rocblas_trsm_block_forward_substitutionIddPKdPdLb1ELb1ELb1EEv18rocblas_operation_llT0_T1_lllT2_lllib,comdat
	.globl	_ZL39rocblas_trsm_block_forward_substitutionIddPKdPdLb1ELb1ELb1EEv18rocblas_operation_llT0_T1_lllT2_lllib ; -- Begin function _ZL39rocblas_trsm_block_forward_substitutionIddPKdPdLb1ELb1ELb1EEv18rocblas_operation_llT0_T1_lllT2_lllib
	.p2align	8
	.type	_ZL39rocblas_trsm_block_forward_substitutionIddPKdPdLb1ELb1ELb1EEv18rocblas_operation_llT0_T1_lllT2_lllib,@function
_ZL39rocblas_trsm_block_forward_substitutionIddPKdPdLb1ELb1ELb1EEv18rocblas_operation_llT0_T1_lllT2_lllib: ; @_ZL39rocblas_trsm_block_forward_substitutionIddPKdPdLb1ELb1ELb1EEv18rocblas_operation_llT0_T1_lllT2_lllib
; %bb.0:
	s_load_dwordx16 s[12:27], s[4:5], 0x8
	s_load_dword s9, s[4:5], 0x64
	s_load_dword s6, s[4:5], 0x74
	v_mov_b32_e32 v2, v1
	s_waitcnt lgkmcnt(0)
	s_mul_i32 s0, s25, s8
	s_mul_hi_u32 s1, s24, s8
	s_add_i32 s1, s1, s0
	s_mul_i32 s0, s24, s8
	s_lshl_b64 s[0:1], s[0:1], 3
	s_add_u32 s2, s18, s0
	s_addc_u32 s3, s19, s1
	s_lshl_b64 s[0:1], s[20:21], 3
	s_add_u32 s10, s2, s0
	s_addc_u32 s11, s3, s1
	s_add_u32 s18, s4, 0x68
	s_addc_u32 s19, s5, 0
	s_lshr_b32 s6, s6, 16
	s_bitcmp0_b32 s9, 0
	s_mov_b64 s[0:1], 1
	s_cbranch_scc1 .LBB122_6
; %bb.1:
	s_lshl_b32 s0, s6, 3
	s_add_i32 s20, s0, 0
	v_cmp_lt_i64_e64 s[0:1], s[12:13], 1
	s_mov_b64 s[2:3], 1
	s_and_b64 vcc, exec, s[0:1]
	s_cbranch_vccnz .LBB122_7
; %bb.2:
	v_mad_u64_u32 v[3:4], s[0:1], s22, v0, 0
	v_lshl_add_u32 v5, v0, 3, s20
	s_mov_b32 s9, 0
	v_mov_b32_e32 v1, v4
	v_mad_u64_u32 v[6:7], s[0:1], s23, v0, v[1:2]
	v_mov_b32_e32 v1, 0
	v_mov_b32_e32 v7, s11
	;; [unrolled: 1-line block ×3, first 2 shown]
	v_lshlrev_b64 v[3:4], 3, v[3:4]
	v_cmp_gt_u64_e64 s[0:1], s[12:13], v[0:1]
	v_add_co_u32_e32 v1, vcc, s10, v3
	v_addc_co_u32_e32 v6, vcc, v7, v4, vcc
	s_branch .LBB122_4
.LBB122_3:                              ;   in Loop: Header=BB122_4 Depth=1
	s_or_b64 exec, exec, s[10:11]
	s_add_i32 s9, s9, s6
	s_ashr_i32 s10, s9, 31
	v_mov_b32_e32 v3, s9
	v_mov_b32_e32 v4, s10
	v_cmp_le_i64_e32 vcc, s[12:13], v[3:4]
	s_cbranch_vccnz .LBB122_7
.LBB122_4:                              ; =>This Inner Loop Header: Depth=1
	v_add_u32_e32 v3, s9, v2
	v_cmp_gt_i32_e32 vcc, v0, v3
	s_and_b64 s[22:23], s[0:1], vcc
	s_and_saveexec_b64 s[10:11], s[22:23]
	s_cbranch_execz .LBB122_3
; %bb.5:                                ;   in Loop: Header=BB122_4 Depth=1
	v_ashrrev_i32_e32 v4, 31, v3
	v_lshlrev_b64 v[7:8], 3, v[3:4]
	s_load_dword s21, s[18:19], 0xc
	v_add_co_u32_e32 v7, vcc, v1, v7
	v_addc_co_u32_e32 v8, vcc, v6, v8, vcc
	global_load_dwordx2 v[7:8], v[7:8], off
	s_waitcnt lgkmcnt(0)
	s_and_b32 s21, s21, 0xffff
	v_mul_lo_u32 v3, v3, s21
	v_lshl_add_u32 v3, v3, 3, v5
	s_waitcnt vmcnt(0)
	ds_write_b64 v3, v[7:8]
	s_branch .LBB122_3
.LBB122_6:
	s_mov_b64 s[2:3], s[22:23]
	s_branch .LBB122_8
.LBB122_7:
	s_mov_b64 s[0:1], src_shared_base
	s_load_dword s0, s[18:19], 0xc
	s_mov_b32 s21, s1
	s_mov_b64 s[10:11], s[20:21]
	s_waitcnt lgkmcnt(0)
	s_and_b32 s0, s0, 0xffff
.LBB122_8:
	s_mul_i32 s7, s7, s6
	v_add_u32_e32 v3, s7, v2
	v_mov_b32_e32 v4, 0
	v_cmp_gt_i64_e32 vcc, s[14:15], v[3:4]
	s_and_saveexec_b64 s[6:7], vcc
	s_cbranch_execz .LBB122_18
; %bb.9:
	v_mov_b32_e32 v1, v4
	v_cmp_gt_i64_e32 vcc, s[12:13], v[0:1]
	s_and_b64 exec, exec, vcc
	s_cbranch_execz .LBB122_18
; %bb.10:
	s_load_dwordx2 s[6:7], s[4:5], 0x58
	s_load_dwordx4 s[20:23], s[4:5], 0x48
	v_lshlrev_b64 v[3:4], 3, v[3:4]
	s_waitcnt lgkmcnt(0)
	s_mul_i32 s1, s7, s8
	s_mul_hi_u32 s5, s6, s8
	s_mul_i32 s4, s6, s8
	v_mad_u64_u32 v[5:6], s[6:7], s22, v0, 0
	s_add_i32 s5, s5, s1
	s_lshl_b64 s[4:5], s[4:5], 3
	s_add_u32 s1, s26, s4
	s_addc_u32 s6, s27, s5
	v_mad_u64_u32 v[6:7], s[4:5], s23, v0, v[6:7]
	s_lshl_b64 s[4:5], s[20:21], 3
	s_add_u32 s1, s1, s4
	v_lshlrev_b64 v[5:6], 3, v[5:6]
	s_addc_u32 s4, s6, s5
	v_mov_b32_e32 v7, s4
	v_add_co_u32_e32 v5, vcc, s1, v5
	v_addc_co_u32_e32 v6, vcc, v7, v6, vcc
	v_add_co_u32_e32 v3, vcc, v5, v3
	v_addc_co_u32_e32 v4, vcc, v6, v4, vcc
	global_load_dwordx2 v[5:6], v[3:4], off
	v_cmp_lt_u64_e64 s[4:5], s[12:13], 2
	s_and_b64 vcc, exec, s[4:5]
	s_waitcnt vmcnt(0)
	v_mul_f64 v[5:6], s[16:17], v[5:6]
	s_cbranch_vccnz .LBB122_17
; %bb.11:
	v_mad_u64_u32 v[7:8], s[4:5], s2, v0, 0
	v_lshl_add_u32 v2, v2, 3, 0
	v_mad_u64_u32 v[8:9], s[2:3], s3, v0, v[8:9]
	v_mov_b32_e32 v9, s11
	s_add_u32 s2, s12, -1
	v_lshlrev_b64 v[7:8], 3, v[7:8]
	s_addc_u32 s3, s13, -1
	v_add_co_u32_e32 v7, vcc, s10, v7
	v_addc_co_u32_e32 v8, vcc, v9, v8, vcc
	s_lshl_b32 s6, s0, 3
	s_mov_b64 s[0:1], 0
	s_branch .LBB122_13
.LBB122_12:                             ;   in Loop: Header=BB122_13 Depth=1
	s_or_b64 exec, exec, s[4:5]
	s_add_u32 s0, s0, 1
	s_addc_u32 s1, s1, 0
	v_add_co_u32_e32 v7, vcc, s6, v7
	s_cmp_eq_u64 s[2:3], s[0:1]
	v_addc_co_u32_e32 v8, vcc, 0, v8, vcc
	s_cbranch_scc1 .LBB122_17
.LBB122_13:                             ; =>This Inner Loop Header: Depth=1
	v_cmp_eq_u64_e32 vcc, s[0:1], v[0:1]
	s_barrier
	s_and_saveexec_b64 s[4:5], vcc
; %bb.14:                               ;   in Loop: Header=BB122_13 Depth=1
	ds_write_b64 v2, v[5:6]
; %bb.15:                               ;   in Loop: Header=BB122_13 Depth=1
	s_or_b64 exec, exec, s[4:5]
	v_cmp_lt_u64_e32 vcc, s[0:1], v[0:1]
	s_waitcnt lgkmcnt(0)
	s_barrier
	s_and_saveexec_b64 s[4:5], vcc
	s_cbranch_execz .LBB122_12
; %bb.16:                               ;   in Loop: Header=BB122_13 Depth=1
	flat_load_dwordx2 v[9:10], v[7:8]
	ds_read_b64 v[11:12], v2
	s_waitcnt vmcnt(0) lgkmcnt(0)
	v_fma_f64 v[5:6], -v[9:10], v[11:12], v[5:6]
	s_branch .LBB122_12
.LBB122_17:
	global_store_dwordx2 v[3:4], v[5:6], off
.LBB122_18:
	s_endpgm
	.section	.rodata,"a",@progbits
	.p2align	6, 0x0
	.amdhsa_kernel _ZL39rocblas_trsm_block_forward_substitutionIddPKdPdLb1ELb1ELb1EEv18rocblas_operation_llT0_T1_lllT2_lllib
		.amdhsa_group_segment_fixed_size 0
		.amdhsa_private_segment_fixed_size 0
		.amdhsa_kernarg_size 360
		.amdhsa_user_sgpr_count 6
		.amdhsa_user_sgpr_private_segment_buffer 1
		.amdhsa_user_sgpr_dispatch_ptr 0
		.amdhsa_user_sgpr_queue_ptr 0
		.amdhsa_user_sgpr_kernarg_segment_ptr 1
		.amdhsa_user_sgpr_dispatch_id 0
		.amdhsa_user_sgpr_flat_scratch_init 0
		.amdhsa_user_sgpr_private_segment_size 0
		.amdhsa_uses_dynamic_stack 0
		.amdhsa_system_sgpr_private_segment_wavefront_offset 0
		.amdhsa_system_sgpr_workgroup_id_x 1
		.amdhsa_system_sgpr_workgroup_id_y 1
		.amdhsa_system_sgpr_workgroup_id_z 1
		.amdhsa_system_sgpr_workgroup_info 0
		.amdhsa_system_vgpr_workitem_id 1
		.amdhsa_next_free_vgpr 13
		.amdhsa_next_free_sgpr 28
		.amdhsa_reserve_vcc 1
		.amdhsa_reserve_flat_scratch 0
		.amdhsa_float_round_mode_32 0
		.amdhsa_float_round_mode_16_64 0
		.amdhsa_float_denorm_mode_32 3
		.amdhsa_float_denorm_mode_16_64 3
		.amdhsa_dx10_clamp 1
		.amdhsa_ieee_mode 1
		.amdhsa_fp16_overflow 0
		.amdhsa_exception_fp_ieee_invalid_op 0
		.amdhsa_exception_fp_denorm_src 0
		.amdhsa_exception_fp_ieee_div_zero 0
		.amdhsa_exception_fp_ieee_overflow 0
		.amdhsa_exception_fp_ieee_underflow 0
		.amdhsa_exception_fp_ieee_inexact 0
		.amdhsa_exception_int_div_zero 0
	.end_amdhsa_kernel
	.section	.text._ZL39rocblas_trsm_block_forward_substitutionIddPKdPdLb1ELb1ELb1EEv18rocblas_operation_llT0_T1_lllT2_lllib,"axG",@progbits,_ZL39rocblas_trsm_block_forward_substitutionIddPKdPdLb1ELb1ELb1EEv18rocblas_operation_llT0_T1_lllT2_lllib,comdat
.Lfunc_end122:
	.size	_ZL39rocblas_trsm_block_forward_substitutionIddPKdPdLb1ELb1ELb1EEv18rocblas_operation_llT0_T1_lllT2_lllib, .Lfunc_end122-_ZL39rocblas_trsm_block_forward_substitutionIddPKdPdLb1ELb1ELb1EEv18rocblas_operation_llT0_T1_lllT2_lllib
                                        ; -- End function
	.set _ZL39rocblas_trsm_block_forward_substitutionIddPKdPdLb1ELb1ELb1EEv18rocblas_operation_llT0_T1_lllT2_lllib.num_vgpr, 13
	.set _ZL39rocblas_trsm_block_forward_substitutionIddPKdPdLb1ELb1ELb1EEv18rocblas_operation_llT0_T1_lllT2_lllib.num_agpr, 0
	.set _ZL39rocblas_trsm_block_forward_substitutionIddPKdPdLb1ELb1ELb1EEv18rocblas_operation_llT0_T1_lllT2_lllib.numbered_sgpr, 28
	.set _ZL39rocblas_trsm_block_forward_substitutionIddPKdPdLb1ELb1ELb1EEv18rocblas_operation_llT0_T1_lllT2_lllib.num_named_barrier, 0
	.set _ZL39rocblas_trsm_block_forward_substitutionIddPKdPdLb1ELb1ELb1EEv18rocblas_operation_llT0_T1_lllT2_lllib.private_seg_size, 0
	.set _ZL39rocblas_trsm_block_forward_substitutionIddPKdPdLb1ELb1ELb1EEv18rocblas_operation_llT0_T1_lllT2_lllib.uses_vcc, 1
	.set _ZL39rocblas_trsm_block_forward_substitutionIddPKdPdLb1ELb1ELb1EEv18rocblas_operation_llT0_T1_lllT2_lllib.uses_flat_scratch, 0
	.set _ZL39rocblas_trsm_block_forward_substitutionIddPKdPdLb1ELb1ELb1EEv18rocblas_operation_llT0_T1_lllT2_lllib.has_dyn_sized_stack, 0
	.set _ZL39rocblas_trsm_block_forward_substitutionIddPKdPdLb1ELb1ELb1EEv18rocblas_operation_llT0_T1_lllT2_lllib.has_recursion, 0
	.set _ZL39rocblas_trsm_block_forward_substitutionIddPKdPdLb1ELb1ELb1EEv18rocblas_operation_llT0_T1_lllT2_lllib.has_indirect_call, 0
	.section	.AMDGPU.csdata,"",@progbits
; Kernel info:
; codeLenInByte = 736
; TotalNumSgprs: 32
; NumVgprs: 13
; ScratchSize: 0
; MemoryBound: 0
; FloatMode: 240
; IeeeMode: 1
; LDSByteSize: 0 bytes/workgroup (compile time only)
; SGPRBlocks: 3
; VGPRBlocks: 3
; NumSGPRsForWavesPerEU: 32
; NumVGPRsForWavesPerEU: 13
; Occupancy: 10
; WaveLimiterHint : 1
; COMPUTE_PGM_RSRC2:SCRATCH_EN: 0
; COMPUTE_PGM_RSRC2:USER_SGPR: 6
; COMPUTE_PGM_RSRC2:TRAP_HANDLER: 0
; COMPUTE_PGM_RSRC2:TGID_X_EN: 1
; COMPUTE_PGM_RSRC2:TGID_Y_EN: 1
; COMPUTE_PGM_RSRC2:TGID_Z_EN: 1
; COMPUTE_PGM_RSRC2:TIDIG_COMP_CNT: 1
	.section	.text._ZL40rocblas_trsm_block_backward_substitutionIddPKdPdLb1ELb1ELb1EEv18rocblas_operation_llT0_T1_lllT2_lllib,"axG",@progbits,_ZL40rocblas_trsm_block_backward_substitutionIddPKdPdLb1ELb1ELb1EEv18rocblas_operation_llT0_T1_lllT2_lllib,comdat
	.globl	_ZL40rocblas_trsm_block_backward_substitutionIddPKdPdLb1ELb1ELb1EEv18rocblas_operation_llT0_T1_lllT2_lllib ; -- Begin function _ZL40rocblas_trsm_block_backward_substitutionIddPKdPdLb1ELb1ELb1EEv18rocblas_operation_llT0_T1_lllT2_lllib
	.p2align	8
	.type	_ZL40rocblas_trsm_block_backward_substitutionIddPKdPdLb1ELb1ELb1EEv18rocblas_operation_llT0_T1_lllT2_lllib,@function
_ZL40rocblas_trsm_block_backward_substitutionIddPKdPdLb1ELb1ELb1EEv18rocblas_operation_llT0_T1_lllT2_lllib: ; @_ZL40rocblas_trsm_block_backward_substitutionIddPKdPdLb1ELb1ELb1EEv18rocblas_operation_llT0_T1_lllT2_lllib
; %bb.0:
	s_load_dwordx16 s[12:27], s[4:5], 0x8
	s_load_dword s9, s[4:5], 0x64
	s_load_dword s6, s[4:5], 0x74
	v_mov_b32_e32 v2, v1
	s_waitcnt lgkmcnt(0)
	s_mul_i32 s0, s25, s8
	s_mul_hi_u32 s1, s24, s8
	s_add_i32 s1, s1, s0
	s_mul_i32 s0, s24, s8
	s_lshl_b64 s[0:1], s[0:1], 3
	s_add_u32 s2, s18, s0
	s_addc_u32 s3, s19, s1
	s_lshl_b64 s[0:1], s[20:21], 3
	s_add_u32 s2, s2, s0
	s_addc_u32 s3, s3, s1
	s_add_u32 s10, s4, 0x68
	s_addc_u32 s11, s5, 0
	s_lshr_b32 s6, s6, 16
	s_bitcmp0_b32 s9, 0
	s_cbranch_scc1 .LBB123_7
; %bb.1:
	v_cmp_lt_i64_e64 s[0:1], s[12:13], 1
	s_lshl_b32 s9, s6, 3
	s_add_i32 s18, s9, 0
	s_and_b64 vcc, exec, s[0:1]
	s_cbranch_vccnz .LBB123_6
; %bb.2:
	v_lshlrev_b32_e32 v3, 3, v0
	v_mov_b32_e32 v1, 0
	v_cmp_gt_u64_e64 s[0:1], s[12:13], v[0:1]
	v_mov_b32_e32 v4, s3
	v_add_co_u32_e32 v1, vcc, s2, v3
	v_add_u32_e32 v5, s18, v3
	v_addc_co_u32_e32 v6, vcc, 0, v4, vcc
	s_mov_b32 s9, 0
	s_branch .LBB123_4
.LBB123_3:                              ;   in Loop: Header=BB123_4 Depth=1
	s_or_b64 exec, exec, s[2:3]
	s_add_i32 s9, s9, s6
	s_ashr_i32 s2, s9, 31
	v_mov_b32_e32 v3, s9
	v_mov_b32_e32 v4, s2
	v_cmp_le_i64_e32 vcc, s[12:13], v[3:4]
	s_cbranch_vccnz .LBB123_6
.LBB123_4:                              ; =>This Inner Loop Header: Depth=1
	v_add_u32_e32 v3, s9, v2
	v_ashrrev_i32_e32 v4, 31, v3
	v_cmp_gt_i64_e32 vcc, s[12:13], v[3:4]
	v_cmp_lt_i32_e64 s[2:3], v0, v3
	s_and_b64 s[2:3], s[2:3], vcc
	s_and_b64 s[20:21], s[0:1], s[2:3]
	s_and_saveexec_b64 s[2:3], s[20:21]
	s_cbranch_execz .LBB123_3
; %bb.5:                                ;   in Loop: Header=BB123_4 Depth=1
	v_mul_lo_u32 v9, s23, v3
	v_mul_lo_u32 v4, s22, v4
	v_mad_u64_u32 v[7:8], s[20:21], s22, v3, 0
	s_load_dword s19, s[10:11], 0xc
	v_add3_u32 v8, v8, v4, v9
	v_lshlrev_b64 v[7:8], 3, v[7:8]
	v_add_co_u32_e32 v7, vcc, v1, v7
	v_addc_co_u32_e32 v8, vcc, v6, v8, vcc
	global_load_dwordx2 v[7:8], v[7:8], off
	s_waitcnt lgkmcnt(0)
	s_and_b32 s19, s19, 0xffff
	v_mul_lo_u32 v3, v3, s19
	v_lshl_add_u32 v3, v3, 3, v5
	s_waitcnt vmcnt(0)
	ds_write_b64 v3, v[7:8]
	s_branch .LBB123_3
.LBB123_6:
	s_mov_b64 s[0:1], src_shared_base
	s_load_dword s0, s[10:11], 0xc
	s_mov_b32 s19, s1
	s_mov_b32 s23, 0
	s_mov_b64 s[2:3], s[18:19]
	s_waitcnt lgkmcnt(0)
	s_and_b32 s22, s0, 0xffff
.LBB123_7:
	s_mul_i32 s7, s7, s6
	v_add_u32_e32 v3, s7, v2
	v_mov_b32_e32 v4, 0
	v_cmp_gt_i64_e32 vcc, s[14:15], v[3:4]
	s_and_saveexec_b64 s[0:1], vcc
	s_cbranch_execz .LBB123_18
; %bb.8:
	v_mov_b32_e32 v1, v4
	v_cmp_gt_i64_e32 vcc, s[12:13], v[0:1]
	s_and_b64 exec, exec, vcc
	s_cbranch_execz .LBB123_18
; %bb.9:
	s_load_dwordx2 s[0:1], s[4:5], 0x58
	s_load_dwordx4 s[28:31], s[4:5], 0x48
	v_lshlrev_b32_e32 v7, 3, v0
	s_waitcnt lgkmcnt(0)
	s_mul_i32 s1, s1, s8
	s_mul_hi_u32 s4, s0, s8
	s_add_i32 s1, s4, s1
	v_mad_u64_u32 v[4:5], s[4:5], s30, v3, 0
	s_mul_i32 s0, s0, s8
	s_lshl_b64 s[0:1], s[0:1], 3
	s_add_u32 s4, s26, s0
	s_addc_u32 s5, s27, s1
	v_mad_u64_u32 v[5:6], s[0:1], s31, v3, v[5:6]
	s_lshl_b64 s[0:1], s[28:29], 3
	s_add_u32 s0, s4, s0
	v_lshlrev_b64 v[3:4], 3, v[4:5]
	s_addc_u32 s1, s5, s1
	v_mov_b32_e32 v5, s1
	v_add_co_u32_e32 v3, vcc, s0, v3
	v_addc_co_u32_e32 v4, vcc, v5, v4, vcc
	v_add_co_u32_e32 v3, vcc, v3, v7
	v_addc_co_u32_e32 v4, vcc, 0, v4, vcc
	global_load_dwordx2 v[5:6], v[3:4], off
	v_cmp_lt_u64_e64 s[0:1], s[12:13], 2
	s_and_b64 vcc, exec, s[0:1]
	s_waitcnt vmcnt(0)
	v_mul_f64 v[5:6], s[16:17], v[5:6]
	s_cbranch_vccnz .LBB123_17
; %bb.10:
	s_add_u32 s0, s12, -1
	s_addc_u32 s1, s13, -1
	s_mul_i32 s4, s22, s1
	s_mul_hi_u32 s5, s22, s0
	s_add_i32 s4, s5, s4
	s_mul_i32 s5, s23, s0
	s_add_i32 s5, s4, s5
	s_mul_i32 s4, s22, s0
	s_lshl_b64 s[4:5], s[4:5], 3
	s_add_u32 s2, s2, s4
	s_addc_u32 s3, s3, s5
	v_mov_b32_e32 v8, s3
	v_add_co_u32_e32 v7, vcc, s2, v7
	s_lshl_b64 s[2:3], s[22:23], 3
	s_sub_u32 s4, 0, s2
	s_subb_u32 s2, 0, s3
	v_lshl_add_u32 v2, v2, 3, 0
	v_addc_co_u32_e32 v8, vcc, 0, v8, vcc
	v_mov_b32_e32 v9, s2
.LBB123_11:                             ; =>This Inner Loop Header: Depth=1
	v_cmp_eq_u64_e32 vcc, s[0:1], v[0:1]
	s_barrier
	s_and_saveexec_b64 s[2:3], vcc
; %bb.12:                               ;   in Loop: Header=BB123_11 Depth=1
	ds_write_b64 v2, v[5:6]
; %bb.13:                               ;   in Loop: Header=BB123_11 Depth=1
	s_or_b64 exec, exec, s[2:3]
	v_cmp_gt_i64_e32 vcc, s[0:1], v[0:1]
	s_waitcnt lgkmcnt(0)
	s_barrier
	s_and_saveexec_b64 s[2:3], vcc
	s_cbranch_execz .LBB123_15
; %bb.14:                               ;   in Loop: Header=BB123_11 Depth=1
	flat_load_dwordx2 v[10:11], v[7:8]
	ds_read_b64 v[12:13], v2
	s_waitcnt vmcnt(0) lgkmcnt(0)
	v_fma_f64 v[5:6], -v[10:11], v[12:13], v[5:6]
.LBB123_15:                             ;   in Loop: Header=BB123_11 Depth=1
	s_or_b64 exec, exec, s[2:3]
	s_add_u32 s2, s0, -1
	s_addc_u32 s3, s1, -1
	s_add_u32 s0, s0, 1
	s_addc_u32 s1, s1, 0
	v_cmp_lt_u64_e64 s[0:1], s[0:1], 3
	v_add_co_u32_e32 v7, vcc, s4, v7
	v_addc_co_u32_e32 v8, vcc, v8, v9, vcc
	s_and_b64 vcc, exec, s[0:1]
	s_cbranch_vccnz .LBB123_17
; %bb.16:                               ;   in Loop: Header=BB123_11 Depth=1
	s_mov_b64 s[0:1], s[2:3]
	s_branch .LBB123_11
.LBB123_17:
	global_store_dwordx2 v[3:4], v[5:6], off
.LBB123_18:
	s_endpgm
	.section	.rodata,"a",@progbits
	.p2align	6, 0x0
	.amdhsa_kernel _ZL40rocblas_trsm_block_backward_substitutionIddPKdPdLb1ELb1ELb1EEv18rocblas_operation_llT0_T1_lllT2_lllib
		.amdhsa_group_segment_fixed_size 0
		.amdhsa_private_segment_fixed_size 0
		.amdhsa_kernarg_size 360
		.amdhsa_user_sgpr_count 6
		.amdhsa_user_sgpr_private_segment_buffer 1
		.amdhsa_user_sgpr_dispatch_ptr 0
		.amdhsa_user_sgpr_queue_ptr 0
		.amdhsa_user_sgpr_kernarg_segment_ptr 1
		.amdhsa_user_sgpr_dispatch_id 0
		.amdhsa_user_sgpr_flat_scratch_init 0
		.amdhsa_user_sgpr_private_segment_size 0
		.amdhsa_uses_dynamic_stack 0
		.amdhsa_system_sgpr_private_segment_wavefront_offset 0
		.amdhsa_system_sgpr_workgroup_id_x 1
		.amdhsa_system_sgpr_workgroup_id_y 1
		.amdhsa_system_sgpr_workgroup_id_z 1
		.amdhsa_system_sgpr_workgroup_info 0
		.amdhsa_system_vgpr_workitem_id 1
		.amdhsa_next_free_vgpr 14
		.amdhsa_next_free_sgpr 32
		.amdhsa_reserve_vcc 1
		.amdhsa_reserve_flat_scratch 0
		.amdhsa_float_round_mode_32 0
		.amdhsa_float_round_mode_16_64 0
		.amdhsa_float_denorm_mode_32 3
		.amdhsa_float_denorm_mode_16_64 3
		.amdhsa_dx10_clamp 1
		.amdhsa_ieee_mode 1
		.amdhsa_fp16_overflow 0
		.amdhsa_exception_fp_ieee_invalid_op 0
		.amdhsa_exception_fp_denorm_src 0
		.amdhsa_exception_fp_ieee_div_zero 0
		.amdhsa_exception_fp_ieee_overflow 0
		.amdhsa_exception_fp_ieee_underflow 0
		.amdhsa_exception_fp_ieee_inexact 0
		.amdhsa_exception_int_div_zero 0
	.end_amdhsa_kernel
	.section	.text._ZL40rocblas_trsm_block_backward_substitutionIddPKdPdLb1ELb1ELb1EEv18rocblas_operation_llT0_T1_lllT2_lllib,"axG",@progbits,_ZL40rocblas_trsm_block_backward_substitutionIddPKdPdLb1ELb1ELb1EEv18rocblas_operation_llT0_T1_lllT2_lllib,comdat
.Lfunc_end123:
	.size	_ZL40rocblas_trsm_block_backward_substitutionIddPKdPdLb1ELb1ELb1EEv18rocblas_operation_llT0_T1_lllT2_lllib, .Lfunc_end123-_ZL40rocblas_trsm_block_backward_substitutionIddPKdPdLb1ELb1ELb1EEv18rocblas_operation_llT0_T1_lllT2_lllib
                                        ; -- End function
	.set _ZL40rocblas_trsm_block_backward_substitutionIddPKdPdLb1ELb1ELb1EEv18rocblas_operation_llT0_T1_lllT2_lllib.num_vgpr, 14
	.set _ZL40rocblas_trsm_block_backward_substitutionIddPKdPdLb1ELb1ELb1EEv18rocblas_operation_llT0_T1_lllT2_lllib.num_agpr, 0
	.set _ZL40rocblas_trsm_block_backward_substitutionIddPKdPdLb1ELb1ELb1EEv18rocblas_operation_llT0_T1_lllT2_lllib.numbered_sgpr, 32
	.set _ZL40rocblas_trsm_block_backward_substitutionIddPKdPdLb1ELb1ELb1EEv18rocblas_operation_llT0_T1_lllT2_lllib.num_named_barrier, 0
	.set _ZL40rocblas_trsm_block_backward_substitutionIddPKdPdLb1ELb1ELb1EEv18rocblas_operation_llT0_T1_lllT2_lllib.private_seg_size, 0
	.set _ZL40rocblas_trsm_block_backward_substitutionIddPKdPdLb1ELb1ELb1EEv18rocblas_operation_llT0_T1_lllT2_lllib.uses_vcc, 1
	.set _ZL40rocblas_trsm_block_backward_substitutionIddPKdPdLb1ELb1ELb1EEv18rocblas_operation_llT0_T1_lllT2_lllib.uses_flat_scratch, 0
	.set _ZL40rocblas_trsm_block_backward_substitutionIddPKdPdLb1ELb1ELb1EEv18rocblas_operation_llT0_T1_lllT2_lllib.has_dyn_sized_stack, 0
	.set _ZL40rocblas_trsm_block_backward_substitutionIddPKdPdLb1ELb1ELb1EEv18rocblas_operation_llT0_T1_lllT2_lllib.has_recursion, 0
	.set _ZL40rocblas_trsm_block_backward_substitutionIddPKdPdLb1ELb1ELb1EEv18rocblas_operation_llT0_T1_lllT2_lllib.has_indirect_call, 0
	.section	.AMDGPU.csdata,"",@progbits
; Kernel info:
; codeLenInByte = 768
; TotalNumSgprs: 36
; NumVgprs: 14
; ScratchSize: 0
; MemoryBound: 0
; FloatMode: 240
; IeeeMode: 1
; LDSByteSize: 0 bytes/workgroup (compile time only)
; SGPRBlocks: 4
; VGPRBlocks: 3
; NumSGPRsForWavesPerEU: 36
; NumVGPRsForWavesPerEU: 14
; Occupancy: 10
; WaveLimiterHint : 1
; COMPUTE_PGM_RSRC2:SCRATCH_EN: 0
; COMPUTE_PGM_RSRC2:USER_SGPR: 6
; COMPUTE_PGM_RSRC2:TRAP_HANDLER: 0
; COMPUTE_PGM_RSRC2:TGID_X_EN: 1
; COMPUTE_PGM_RSRC2:TGID_Y_EN: 1
; COMPUTE_PGM_RSRC2:TGID_Z_EN: 1
; COMPUTE_PGM_RSRC2:TIDIG_COMP_CNT: 1
	.section	.text._ZL39rocblas_trsm_block_forward_substitutionIddPKdPdLb1ELb0ELb0EEv18rocblas_operation_llT0_T1_lllT2_lllib,"axG",@progbits,_ZL39rocblas_trsm_block_forward_substitutionIddPKdPdLb1ELb0ELb0EEv18rocblas_operation_llT0_T1_lllT2_lllib,comdat
	.globl	_ZL39rocblas_trsm_block_forward_substitutionIddPKdPdLb1ELb0ELb0EEv18rocblas_operation_llT0_T1_lllT2_lllib ; -- Begin function _ZL39rocblas_trsm_block_forward_substitutionIddPKdPdLb1ELb0ELb0EEv18rocblas_operation_llT0_T1_lllT2_lllib
	.p2align	8
	.type	_ZL39rocblas_trsm_block_forward_substitutionIddPKdPdLb1ELb0ELb0EEv18rocblas_operation_llT0_T1_lllT2_lllib,@function
_ZL39rocblas_trsm_block_forward_substitutionIddPKdPdLb1ELb0ELb0EEv18rocblas_operation_llT0_T1_lllT2_lllib: ; @_ZL39rocblas_trsm_block_forward_substitutionIddPKdPdLb1ELb0ELb0EEv18rocblas_operation_llT0_T1_lllT2_lllib
; %bb.0:
	s_load_dword s9, s[4:5], 0x64
	s_load_dwordx16 s[12:27], s[4:5], 0x8
	s_load_dword s6, s[4:5], 0x74
	v_mov_b32_e32 v2, v1
	s_waitcnt lgkmcnt(0)
	s_bitcmp1_b32 s9, 0
	s_mul_i32 s2, s25, s8
	s_mul_hi_u32 s3, s24, s8
	s_cselect_b64 s[0:1], -1, 0
	s_add_i32 s3, s3, s2
	s_mul_i32 s2, s24, s8
	s_lshl_b64 s[2:3], s[2:3], 3
	s_add_u32 s10, s18, s2
	s_addc_u32 s11, s19, s3
	s_lshl_b64 s[2:3], s[20:21], 3
	s_add_u32 s2, s10, s2
	s_addc_u32 s3, s11, s3
	s_add_u32 s20, s4, 0x68
	s_addc_u32 s21, s5, 0
	s_lshr_b32 s6, s6, 16
	s_bitcmp0_b32 s9, 0
	s_mov_b64 s[18:19], 1
	s_cbranch_scc1 .LBB124_12
; %bb.1:
	v_cmp_lt_i64_e64 s[18:19], s[12:13], 1
	s_lshl_b32 s9, s6, 3
	s_add_i32 s24, s9, 0
	s_mov_b64 s[10:11], 1
	s_and_b64 vcc, exec, s[18:19]
	s_cbranch_vccnz .LBB124_13
; %bb.2:
	v_mad_u64_u32 v[3:4], s[18:19], s22, v0, 0
	v_lshlrev_b32_e32 v6, 3, v0
	v_add_u32_e32 v8, s24, v6
	v_mov_b32_e32 v1, v4
	v_mad_u64_u32 v[4:5], s[18:19], s23, v0, v[1:2]
	v_mov_b32_e32 v1, 0
	v_cmp_le_u64_e32 vcc, s[12:13], v[0:1]
	v_lshlrev_b64 v[3:4], 3, v[3:4]
	v_mov_b32_e32 v5, s3
	v_add_co_u32_e64 v1, s[2:3], s2, v3
	v_addc_co_u32_e64 v9, s[2:3], v5, v4, s[2:3]
	v_add_co_u32_e64 v3, s[2:3], v1, v6
	v_addc_co_u32_e64 v4, s[2:3], 0, v9, s[2:3]
	s_xor_b64 s[2:3], vcc, -1
	s_mov_b32 s9, s6
	v_mov_b32_e32 v5, v2
	s_branch .LBB124_4
.LBB124_3:                              ;   in Loop: Header=BB124_4 Depth=1
	s_or_b64 exec, exec, s[22:23]
	s_ashr_i32 s18, s9, 31
	s_waitcnt vmcnt(0)
	v_mov_b32_e32 v6, s9
	v_mov_b32_e32 v7, s18
	v_cmp_le_i64_e32 vcc, s[12:13], v[6:7]
	v_add_u32_e32 v5, s6, v5
	s_add_i32 s9, s9, s6
	s_cbranch_vccnz .LBB124_13
.LBB124_4:                              ; =>This Inner Loop Header: Depth=1
	v_cmp_gt_i32_e32 vcc, v0, v5
	s_and_b64 s[22:23], s[2:3], vcc
	s_mov_b64 s[18:19], 0
                                        ; implicit-def: $vgpr6_vgpr7
	s_and_saveexec_b64 s[28:29], s[22:23]
	s_xor_b64 s[22:23], exec, s[28:29]
	s_cbranch_execnz .LBB124_7
; %bb.5:                                ;   in Loop: Header=BB124_4 Depth=1
	s_or_saveexec_b64 s[22:23], s[22:23]
	v_mov_b32_e32 v10, v5
	s_xor_b64 exec, exec, s[22:23]
	s_cbranch_execnz .LBB124_8
.LBB124_6:                              ;   in Loop: Header=BB124_4 Depth=1
	s_or_b64 exec, exec, s[22:23]
	s_and_saveexec_b64 s[22:23], s[18:19]
	s_cbranch_execz .LBB124_3
	s_branch .LBB124_11
.LBB124_7:                              ;   in Loop: Header=BB124_4 Depth=1
	v_ashrrev_i32_e32 v6, 31, v5
	v_lshlrev_b64 v[6:7], 3, v[5:6]
	s_mov_b64 s[18:19], exec
	v_add_co_u32_e32 v6, vcc, v1, v6
	v_addc_co_u32_e32 v7, vcc, v9, v7, vcc
	global_load_dwordx2 v[6:7], v[6:7], off
	s_or_saveexec_b64 s[22:23], s[22:23]
	v_mov_b32_e32 v10, v5
	s_xor_b64 exec, exec, s[22:23]
	s_cbranch_execz .LBB124_6
.LBB124_8:                              ;   in Loop: Header=BB124_4 Depth=1
	v_cmp_eq_u32_e32 vcc, v0, v5
	s_and_b64 s[34:35], s[2:3], vcc
	s_mov_b64 s[30:31], s[18:19]
                                        ; implicit-def: $vgpr6_vgpr7
	s_and_saveexec_b64 s[28:29], s[34:35]
	s_cbranch_execz .LBB124_10
; %bb.9:                                ;   in Loop: Header=BB124_4 Depth=1
	global_load_dwordx2 v[6:7], v[3:4], off
	s_waitcnt vmcnt(0)
	v_div_scale_f64 v[10:11], s[30:31], v[6:7], v[6:7], 1.0
	v_div_scale_f64 v[16:17], vcc, 1.0, v[6:7], 1.0
	s_or_b64 s[30:31], s[18:19], exec
	v_rcp_f64_e32 v[12:13], v[10:11]
	v_fma_f64 v[14:15], -v[10:11], v[12:13], 1.0
	v_fma_f64 v[12:13], v[12:13], v[14:15], v[12:13]
	v_fma_f64 v[14:15], -v[10:11], v[12:13], 1.0
	v_fma_f64 v[12:13], v[12:13], v[14:15], v[12:13]
	v_mul_f64 v[14:15], v[16:17], v[12:13]
	v_fma_f64 v[10:11], -v[10:11], v[14:15], v[16:17]
	v_div_fmas_f64 v[10:11], v[10:11], v[12:13], v[14:15]
	v_div_fixup_f64 v[6:7], v[10:11], v[6:7], 1.0
.LBB124_10:                             ;   in Loop: Header=BB124_4 Depth=1
	s_or_b64 exec, exec, s[28:29]
	s_andn2_b64 s[18:19], s[18:19], exec
	s_and_b64 s[28:29], s[30:31], exec
	s_or_b64 s[18:19], s[18:19], s[28:29]
	v_mov_b32_e32 v10, v0
	s_or_b64 exec, exec, s[22:23]
	s_and_saveexec_b64 s[22:23], s[18:19]
	s_cbranch_execz .LBB124_3
.LBB124_11:                             ;   in Loop: Header=BB124_4 Depth=1
	s_load_dword s18, s[20:21], 0xc
	s_waitcnt lgkmcnt(0)
	s_and_b32 s18, s18, 0xffff
	v_mul_lo_u32 v10, v10, s18
	v_lshl_add_u32 v10, v10, 3, v8
	s_waitcnt vmcnt(0)
	ds_write_b64 v10, v[6:7]
	s_branch .LBB124_3
.LBB124_12:
	s_mov_b64 s[10:11], s[22:23]
	s_branch .LBB124_14
.LBB124_13:
	s_mov_b64 s[2:3], src_shared_base
	s_load_dword s2, s[20:21], 0xc
	s_mov_b32 s25, s3
	s_mov_b32 s19, 0
	s_waitcnt lgkmcnt(0)
	s_and_b32 s18, s2, 0xffff
	s_mov_b64 s[2:3], s[24:25]
.LBB124_14:
	s_mul_i32 s7, s7, s6
	v_add_u32_e32 v3, s7, v2
	v_mov_b32_e32 v4, 0
	v_cmp_gt_i64_e32 vcc, s[14:15], v[3:4]
	s_and_saveexec_b64 s[6:7], vcc
	s_cbranch_execz .LBB124_26
; %bb.15:
	v_mov_b32_e32 v1, v4
	v_cmp_gt_i64_e32 vcc, s[12:13], v[0:1]
	s_and_b64 exec, exec, vcc
	s_cbranch_execz .LBB124_26
; %bb.16:
	s_load_dwordx2 s[6:7], s[4:5], 0x58
	s_load_dwordx4 s[20:23], s[4:5], 0x48
	s_waitcnt lgkmcnt(0)
	s_mul_i32 s5, s7, s8
	s_mul_hi_u32 s7, s6, s8
	s_mul_i32 s4, s6, s8
	s_add_i32 s5, s7, s5
	v_mad_u64_u32 v[4:5], s[6:7], s22, v3, 0
	s_lshl_b64 s[4:5], s[4:5], 3
	s_add_u32 s6, s26, s4
	s_addc_u32 s7, s27, s5
	v_mad_u64_u32 v[5:6], s[4:5], s23, v3, v[5:6]
	s_lshl_b64 s[4:5], s[20:21], 3
	s_add_u32 s4, s6, s4
	v_lshlrev_b64 v[3:4], 3, v[4:5]
	s_addc_u32 s5, s7, s5
	v_mov_b32_e32 v5, s5
	v_add_co_u32_e32 v3, vcc, s4, v3
	v_addc_co_u32_e32 v4, vcc, v5, v4, vcc
	v_lshlrev_b32_e32 v5, 3, v0
	v_add_co_u32_e32 v3, vcc, v3, v5
	v_addc_co_u32_e32 v4, vcc, 0, v4, vcc
	global_load_dwordx2 v[5:6], v[3:4], off
	v_cmp_lt_u64_e64 s[6:7], s[12:13], 2
	s_add_u32 s4, s12, -1
	s_addc_u32 s5, s13, -1
	s_and_b64 vcc, exec, s[6:7]
	s_waitcnt vmcnt(0)
	v_mul_f64 v[5:6], s[16:17], v[5:6]
	s_cbranch_vccnz .LBB124_23
; %bb.17:
	s_add_u32 s6, s18, s10
	v_mad_u64_u32 v[7:8], s[6:7], s6, v0, 0
	s_addc_u32 s6, s19, s11
	v_mov_b32_e32 v12, s3
	v_mad_u64_u32 v[8:9], s[6:7], s6, v0, v[8:9]
	v_mad_u64_u32 v[9:10], s[6:7], s10, v0, 0
	v_lshlrev_b64 v[7:8], 3, v[7:8]
	v_lshl_add_u32 v2, v2, 3, 0
	v_mad_u64_u32 v[10:11], s[6:7], s11, v0, v[10:11]
	v_add_co_u32_e32 v7, vcc, s2, v7
	v_lshlrev_b64 v[9:10], 3, v[9:10]
	v_addc_co_u32_e32 v8, vcc, v12, v8, vcc
	v_add_co_u32_e32 v9, vcc, s2, v9
	v_addc_co_u32_e32 v10, vcc, v12, v10, vcc
	s_lshl_b32 s12, s18, 3
	s_mov_b64 s[6:7], 0
	s_branch .LBB124_19
.LBB124_18:                             ;   in Loop: Header=BB124_19 Depth=1
	s_or_b64 exec, exec, s[8:9]
	s_add_u32 s6, s6, 1
	s_addc_u32 s7, s7, 0
	v_add_co_u32_e32 v9, vcc, s12, v9
	s_cmp_eq_u64 s[4:5], s[6:7]
	v_addc_co_u32_e32 v10, vcc, 0, v10, vcc
	s_cbranch_scc1 .LBB124_23
.LBB124_19:                             ; =>This Inner Loop Header: Depth=1
	v_cmp_eq_u64_e32 vcc, s[6:7], v[0:1]
	s_barrier
	s_and_saveexec_b64 s[8:9], vcc
	s_cbranch_execz .LBB124_21
; %bb.20:                               ;   in Loop: Header=BB124_19 Depth=1
	flat_load_dwordx2 v[11:12], v[7:8]
	s_waitcnt vmcnt(0) lgkmcnt(0)
	v_div_scale_f64 v[13:14], s[14:15], v[11:12], v[11:12], 1.0
	v_rcp_f64_e32 v[15:16], v[13:14]
	v_fma_f64 v[17:18], -v[13:14], v[15:16], 1.0
	v_fma_f64 v[15:16], v[15:16], v[17:18], v[15:16]
	v_div_scale_f64 v[17:18], vcc, 1.0, v[11:12], 1.0
	v_fma_f64 v[19:20], -v[13:14], v[15:16], 1.0
	v_fma_f64 v[15:16], v[15:16], v[19:20], v[15:16]
	v_mul_f64 v[19:20], v[17:18], v[15:16]
	v_fma_f64 v[13:14], -v[13:14], v[19:20], v[17:18]
	v_div_fmas_f64 v[13:14], v[13:14], v[15:16], v[19:20]
	v_div_fixup_f64 v[13:14], v[13:14], v[11:12], 1.0
	v_cndmask_b32_e64 v12, v14, v12, s[0:1]
	v_cndmask_b32_e64 v11, v13, v11, s[0:1]
	v_mul_f64 v[5:6], v[5:6], v[11:12]
	ds_write_b64 v2, v[5:6]
.LBB124_21:                             ;   in Loop: Header=BB124_19 Depth=1
	s_or_b64 exec, exec, s[8:9]
	v_cmp_lt_u64_e32 vcc, s[6:7], v[0:1]
	s_waitcnt lgkmcnt(0)
	s_barrier
	s_and_saveexec_b64 s[8:9], vcc
	s_cbranch_execz .LBB124_18
; %bb.22:                               ;   in Loop: Header=BB124_19 Depth=1
	flat_load_dwordx2 v[11:12], v[9:10]
	ds_read_b64 v[13:14], v2
	s_waitcnt vmcnt(0) lgkmcnt(0)
	v_fma_f64 v[5:6], -v[11:12], v[13:14], v[5:6]
	s_branch .LBB124_18
.LBB124_23:
	v_cmp_eq_u64_e32 vcc, s[4:5], v[0:1]
	s_and_saveexec_b64 s[4:5], vcc
	s_cbranch_execz .LBB124_25
; %bb.24:
	s_add_u32 s6, s18, s10
	v_mad_u64_u32 v[1:2], s[6:7], s6, v0, 0
	s_addc_u32 s6, s19, s11
	v_mad_u64_u32 v[7:8], s[6:7], s6, v0, v[2:3]
	v_mov_b32_e32 v8, s3
	v_mov_b32_e32 v2, v7
	v_lshlrev_b64 v[0:1], 3, v[1:2]
	v_add_co_u32_e32 v0, vcc, s2, v0
	v_addc_co_u32_e32 v1, vcc, v8, v1, vcc
	flat_load_dwordx2 v[0:1], v[0:1]
	s_waitcnt vmcnt(0) lgkmcnt(0)
	v_div_scale_f64 v[7:8], s[2:3], v[0:1], v[0:1], 1.0
	v_rcp_f64_e32 v[9:10], v[7:8]
	v_fma_f64 v[11:12], -v[7:8], v[9:10], 1.0
	v_fma_f64 v[9:10], v[9:10], v[11:12], v[9:10]
	v_div_scale_f64 v[11:12], vcc, 1.0, v[0:1], 1.0
	v_fma_f64 v[13:14], -v[7:8], v[9:10], 1.0
	v_fma_f64 v[9:10], v[9:10], v[13:14], v[9:10]
	v_mul_f64 v[13:14], v[11:12], v[9:10]
	v_fma_f64 v[7:8], -v[7:8], v[13:14], v[11:12]
	v_div_fmas_f64 v[7:8], v[7:8], v[9:10], v[13:14]
	v_div_fixup_f64 v[7:8], v[7:8], v[0:1], 1.0
	v_cndmask_b32_e64 v1, v8, v1, s[0:1]
	v_cndmask_b32_e64 v0, v7, v0, s[0:1]
	v_mul_f64 v[5:6], v[5:6], v[0:1]
.LBB124_25:
	s_or_b64 exec, exec, s[4:5]
	global_store_dwordx2 v[3:4], v[5:6], off
.LBB124_26:
	s_endpgm
	.section	.rodata,"a",@progbits
	.p2align	6, 0x0
	.amdhsa_kernel _ZL39rocblas_trsm_block_forward_substitutionIddPKdPdLb1ELb0ELb0EEv18rocblas_operation_llT0_T1_lllT2_lllib
		.amdhsa_group_segment_fixed_size 0
		.amdhsa_private_segment_fixed_size 0
		.amdhsa_kernarg_size 360
		.amdhsa_user_sgpr_count 6
		.amdhsa_user_sgpr_private_segment_buffer 1
		.amdhsa_user_sgpr_dispatch_ptr 0
		.amdhsa_user_sgpr_queue_ptr 0
		.amdhsa_user_sgpr_kernarg_segment_ptr 1
		.amdhsa_user_sgpr_dispatch_id 0
		.amdhsa_user_sgpr_flat_scratch_init 0
		.amdhsa_user_sgpr_private_segment_size 0
		.amdhsa_uses_dynamic_stack 0
		.amdhsa_system_sgpr_private_segment_wavefront_offset 0
		.amdhsa_system_sgpr_workgroup_id_x 1
		.amdhsa_system_sgpr_workgroup_id_y 1
		.amdhsa_system_sgpr_workgroup_id_z 1
		.amdhsa_system_sgpr_workgroup_info 0
		.amdhsa_system_vgpr_workitem_id 1
		.amdhsa_next_free_vgpr 21
		.amdhsa_next_free_sgpr 36
		.amdhsa_reserve_vcc 1
		.amdhsa_reserve_flat_scratch 0
		.amdhsa_float_round_mode_32 0
		.amdhsa_float_round_mode_16_64 0
		.amdhsa_float_denorm_mode_32 3
		.amdhsa_float_denorm_mode_16_64 3
		.amdhsa_dx10_clamp 1
		.amdhsa_ieee_mode 1
		.amdhsa_fp16_overflow 0
		.amdhsa_exception_fp_ieee_invalid_op 0
		.amdhsa_exception_fp_denorm_src 0
		.amdhsa_exception_fp_ieee_div_zero 0
		.amdhsa_exception_fp_ieee_overflow 0
		.amdhsa_exception_fp_ieee_underflow 0
		.amdhsa_exception_fp_ieee_inexact 0
		.amdhsa_exception_int_div_zero 0
	.end_amdhsa_kernel
	.section	.text._ZL39rocblas_trsm_block_forward_substitutionIddPKdPdLb1ELb0ELb0EEv18rocblas_operation_llT0_T1_lllT2_lllib,"axG",@progbits,_ZL39rocblas_trsm_block_forward_substitutionIddPKdPdLb1ELb0ELb0EEv18rocblas_operation_llT0_T1_lllT2_lllib,comdat
.Lfunc_end124:
	.size	_ZL39rocblas_trsm_block_forward_substitutionIddPKdPdLb1ELb0ELb0EEv18rocblas_operation_llT0_T1_lllT2_lllib, .Lfunc_end124-_ZL39rocblas_trsm_block_forward_substitutionIddPKdPdLb1ELb0ELb0EEv18rocblas_operation_llT0_T1_lllT2_lllib
                                        ; -- End function
	.set _ZL39rocblas_trsm_block_forward_substitutionIddPKdPdLb1ELb0ELb0EEv18rocblas_operation_llT0_T1_lllT2_lllib.num_vgpr, 21
	.set _ZL39rocblas_trsm_block_forward_substitutionIddPKdPdLb1ELb0ELb0EEv18rocblas_operation_llT0_T1_lllT2_lllib.num_agpr, 0
	.set _ZL39rocblas_trsm_block_forward_substitutionIddPKdPdLb1ELb0ELb0EEv18rocblas_operation_llT0_T1_lllT2_lllib.numbered_sgpr, 36
	.set _ZL39rocblas_trsm_block_forward_substitutionIddPKdPdLb1ELb0ELb0EEv18rocblas_operation_llT0_T1_lllT2_lllib.num_named_barrier, 0
	.set _ZL39rocblas_trsm_block_forward_substitutionIddPKdPdLb1ELb0ELb0EEv18rocblas_operation_llT0_T1_lllT2_lllib.private_seg_size, 0
	.set _ZL39rocblas_trsm_block_forward_substitutionIddPKdPdLb1ELb0ELb0EEv18rocblas_operation_llT0_T1_lllT2_lllib.uses_vcc, 1
	.set _ZL39rocblas_trsm_block_forward_substitutionIddPKdPdLb1ELb0ELb0EEv18rocblas_operation_llT0_T1_lllT2_lllib.uses_flat_scratch, 0
	.set _ZL39rocblas_trsm_block_forward_substitutionIddPKdPdLb1ELb0ELb0EEv18rocblas_operation_llT0_T1_lllT2_lllib.has_dyn_sized_stack, 0
	.set _ZL39rocblas_trsm_block_forward_substitutionIddPKdPdLb1ELb0ELb0EEv18rocblas_operation_llT0_T1_lllT2_lllib.has_recursion, 0
	.set _ZL39rocblas_trsm_block_forward_substitutionIddPKdPdLb1ELb0ELb0EEv18rocblas_operation_llT0_T1_lllT2_lllib.has_indirect_call, 0
	.section	.AMDGPU.csdata,"",@progbits
; Kernel info:
; codeLenInByte = 1332
; TotalNumSgprs: 40
; NumVgprs: 21
; ScratchSize: 0
; MemoryBound: 1
; FloatMode: 240
; IeeeMode: 1
; LDSByteSize: 0 bytes/workgroup (compile time only)
; SGPRBlocks: 4
; VGPRBlocks: 5
; NumSGPRsForWavesPerEU: 40
; NumVGPRsForWavesPerEU: 21
; Occupancy: 10
; WaveLimiterHint : 1
; COMPUTE_PGM_RSRC2:SCRATCH_EN: 0
; COMPUTE_PGM_RSRC2:USER_SGPR: 6
; COMPUTE_PGM_RSRC2:TRAP_HANDLER: 0
; COMPUTE_PGM_RSRC2:TGID_X_EN: 1
; COMPUTE_PGM_RSRC2:TGID_Y_EN: 1
; COMPUTE_PGM_RSRC2:TGID_Z_EN: 1
; COMPUTE_PGM_RSRC2:TIDIG_COMP_CNT: 1
	.section	.text._ZL40rocblas_trsm_block_backward_substitutionIddPKdPdLb1ELb0ELb0EEv18rocblas_operation_llT0_T1_lllT2_lllib,"axG",@progbits,_ZL40rocblas_trsm_block_backward_substitutionIddPKdPdLb1ELb0ELb0EEv18rocblas_operation_llT0_T1_lllT2_lllib,comdat
	.globl	_ZL40rocblas_trsm_block_backward_substitutionIddPKdPdLb1ELb0ELb0EEv18rocblas_operation_llT0_T1_lllT2_lllib ; -- Begin function _ZL40rocblas_trsm_block_backward_substitutionIddPKdPdLb1ELb0ELb0EEv18rocblas_operation_llT0_T1_lllT2_lllib
	.p2align	8
	.type	_ZL40rocblas_trsm_block_backward_substitutionIddPKdPdLb1ELb0ELb0EEv18rocblas_operation_llT0_T1_lllT2_lllib,@function
_ZL40rocblas_trsm_block_backward_substitutionIddPKdPdLb1ELb0ELb0EEv18rocblas_operation_llT0_T1_lllT2_lllib: ; @_ZL40rocblas_trsm_block_backward_substitutionIddPKdPdLb1ELb0ELb0EEv18rocblas_operation_llT0_T1_lllT2_lllib
; %bb.0:
	s_load_dword s9, s[4:5], 0x64
	s_load_dwordx16 s[12:27], s[4:5], 0x8
	s_load_dword s6, s[4:5], 0x74
	v_mov_b32_e32 v2, v1
	s_waitcnt lgkmcnt(0)
	s_bitcmp1_b32 s9, 0
	s_mul_i32 s2, s25, s8
	s_mul_hi_u32 s3, s24, s8
	s_cselect_b64 s[0:1], -1, 0
	s_add_i32 s3, s3, s2
	s_mul_i32 s2, s24, s8
	s_lshl_b64 s[2:3], s[2:3], 3
	s_add_u32 s10, s18, s2
	s_addc_u32 s11, s19, s3
	s_lshl_b64 s[2:3], s[20:21], 3
	s_add_u32 s10, s10, s2
	s_addc_u32 s11, s11, s3
	s_add_u32 s18, s4, 0x68
	s_addc_u32 s19, s5, 0
	s_lshr_b32 s6, s6, 16
	s_bitcmp0_b32 s9, 0
	s_cbranch_scc1 .LBB125_15
; %bb.1:
	v_cmp_lt_i64_e64 s[2:3], s[12:13], 1
	s_lshl_b32 s9, s6, 3
	s_add_i32 s20, s9, 0
	s_and_b64 vcc, exec, s[2:3]
	s_cbranch_vccnz .LBB125_14
; %bb.2:
	v_mad_u64_u32 v[3:4], s[2:3], s22, v0, 0
	v_mov_b32_e32 v1, 0
	v_cmp_le_u64_e64 s[24:25], s[12:13], v[0:1]
	v_cmp_gt_u64_e64 s[2:3], s[12:13], v[0:1]
	v_mov_b32_e32 v1, v4
	v_mad_u64_u32 v[4:5], s[28:29], s23, v0, v[1:2]
	v_lshlrev_b32_e32 v6, 3, v0
	v_mov_b32_e32 v7, s11
	v_add_co_u32_e32 v1, vcc, s10, v6
	v_lshlrev_b64 v[3:4], 3, v[3:4]
	v_addc_co_u32_e32 v10, vcc, 0, v7, vcc
	v_add_co_u32_e32 v3, vcc, v1, v3
	v_add_u32_e32 v9, s20, v6
	v_addc_co_u32_e32 v4, vcc, v10, v4, vcc
	s_xor_b64 s[28:29], s[24:25], -1
	s_mov_b32 s9, s6
	v_mov_b32_e32 v5, v2
	s_branch .LBB125_4
.LBB125_3:                              ;   in Loop: Header=BB125_4 Depth=1
	s_or_b64 exec, exec, s[30:31]
	s_ashr_i32 s10, s9, 31
	v_mov_b32_e32 v6, s9
	s_waitcnt vmcnt(0)
	v_mov_b32_e32 v7, s10
	v_cmp_le_i64_e32 vcc, s[12:13], v[6:7]
	v_add_u32_e32 v5, s6, v5
	s_add_i32 s9, s9, s6
	s_cbranch_vccnz .LBB125_14
.LBB125_4:                              ; =>This Inner Loop Header: Depth=1
	s_mov_b64 s[10:11], 0
	s_mov_b64 s[34:35], s[24:25]
                                        ; implicit-def: $vgpr7_vgpr8
	s_and_saveexec_b64 s[30:31], s[2:3]
	s_cbranch_execnz .LBB125_7
; %bb.5:                                ;   in Loop: Header=BB125_4 Depth=1
	s_or_b64 exec, exec, s[30:31]
	v_mov_b32_e32 v6, v5
	s_and_saveexec_b64 s[30:31], s[34:35]
	s_cbranch_execnz .LBB125_10
.LBB125_6:                              ;   in Loop: Header=BB125_4 Depth=1
	s_or_b64 exec, exec, s[30:31]
	s_and_saveexec_b64 s[30:31], s[10:11]
	s_cbranch_execz .LBB125_3
	s_branch .LBB125_13
.LBB125_7:                              ;   in Loop: Header=BB125_4 Depth=1
	v_ashrrev_i32_e32 v6, 31, v5
	v_cmp_gt_i64_e32 vcc, s[12:13], v[5:6]
	v_cmp_lt_i32_e64 s[10:11], v0, v5
	s_and_b64 s[38:39], s[10:11], vcc
	s_mov_b64 s[36:37], -1
	s_mov_b64 s[10:11], 0
                                        ; implicit-def: $vgpr7_vgpr8
	s_and_saveexec_b64 s[34:35], s[38:39]
	s_cbranch_execz .LBB125_9
; %bb.8:                                ;   in Loop: Header=BB125_4 Depth=1
	v_mul_lo_u32 v8, s23, v5
	v_mul_lo_u32 v11, s22, v6
	v_mad_u64_u32 v[6:7], s[36:37], s22, v5, 0
	s_mov_b64 s[10:11], exec
	s_xor_b64 s[36:37], exec, -1
	v_add3_u32 v7, v7, v11, v8
	v_lshlrev_b64 v[6:7], 3, v[6:7]
	v_add_co_u32_e32 v6, vcc, v1, v6
	v_addc_co_u32_e32 v7, vcc, v10, v7, vcc
	global_load_dwordx2 v[7:8], v[6:7], off
.LBB125_9:                              ;   in Loop: Header=BB125_4 Depth=1
	s_or_b64 exec, exec, s[34:35]
	s_andn2_b64 s[34:35], s[24:25], exec
	s_and_b64 s[36:37], s[36:37], exec
	s_and_b64 s[10:11], s[10:11], exec
	s_or_b64 s[34:35], s[34:35], s[36:37]
	s_or_b64 exec, exec, s[30:31]
	v_mov_b32_e32 v6, v5
	s_and_saveexec_b64 s[30:31], s[34:35]
	s_cbranch_execz .LBB125_6
.LBB125_10:                             ;   in Loop: Header=BB125_4 Depth=1
	v_cmp_eq_u32_e32 vcc, v0, v5
	s_and_b64 s[38:39], s[28:29], vcc
	s_mov_b64 s[36:37], s[10:11]
                                        ; implicit-def: $vgpr7_vgpr8
	s_and_saveexec_b64 s[34:35], s[38:39]
	s_cbranch_execz .LBB125_12
; %bb.11:                               ;   in Loop: Header=BB125_4 Depth=1
	global_load_dwordx2 v[6:7], v[3:4], off
	s_waitcnt vmcnt(0)
	v_div_scale_f64 v[11:12], s[36:37], v[6:7], v[6:7], 1.0
	v_div_scale_f64 v[17:18], vcc, 1.0, v[6:7], 1.0
	s_or_b64 s[36:37], s[10:11], exec
	v_rcp_f64_e32 v[13:14], v[11:12]
	v_fma_f64 v[15:16], -v[11:12], v[13:14], 1.0
	v_fma_f64 v[13:14], v[13:14], v[15:16], v[13:14]
	v_fma_f64 v[15:16], -v[11:12], v[13:14], 1.0
	v_fma_f64 v[13:14], v[13:14], v[15:16], v[13:14]
	v_mul_f64 v[15:16], v[17:18], v[13:14]
	v_fma_f64 v[11:12], -v[11:12], v[15:16], v[17:18]
	v_div_fmas_f64 v[11:12], v[11:12], v[13:14], v[15:16]
	v_div_fixup_f64 v[7:8], v[11:12], v[6:7], 1.0
.LBB125_12:                             ;   in Loop: Header=BB125_4 Depth=1
	s_or_b64 exec, exec, s[34:35]
	s_andn2_b64 s[10:11], s[10:11], exec
	s_and_b64 s[34:35], s[36:37], exec
	s_or_b64 s[10:11], s[10:11], s[34:35]
	v_mov_b32_e32 v6, v0
	s_or_b64 exec, exec, s[30:31]
	s_and_saveexec_b64 s[30:31], s[10:11]
	s_cbranch_execz .LBB125_3
.LBB125_13:                             ;   in Loop: Header=BB125_4 Depth=1
	s_load_dword s10, s[18:19], 0xc
	s_waitcnt lgkmcnt(0)
	s_and_b32 s10, s10, 0xffff
	v_mul_lo_u32 v6, v6, s10
	v_lshl_add_u32 v6, v6, 3, v9
	s_waitcnt vmcnt(0)
	ds_write_b64 v6, v[7:8]
	s_branch .LBB125_3
.LBB125_14:
	s_mov_b64 s[2:3], src_shared_base
	s_load_dword s2, s[18:19], 0xc
	s_mov_b32 s21, s3
	s_mov_b32 s23, 0
	s_mov_b64 s[10:11], s[20:21]
	s_waitcnt lgkmcnt(0)
	s_and_b32 s22, s2, 0xffff
.LBB125_15:
	s_mul_i32 s7, s7, s6
	v_add_u32_e32 v3, s7, v2
	v_mov_b32_e32 v4, 0
	v_cmp_gt_i64_e32 vcc, s[14:15], v[3:4]
	s_and_saveexec_b64 s[2:3], vcc
	s_cbranch_execz .LBB125_28
; %bb.16:
	v_mov_b32_e32 v1, v4
	v_cmp_gt_i64_e32 vcc, s[12:13], v[0:1]
	s_and_b64 exec, exec, vcc
	s_cbranch_execz .LBB125_28
; %bb.17:
	s_load_dwordx2 s[2:3], s[4:5], 0x58
	s_load_dwordx4 s[28:31], s[4:5], 0x48
	v_lshlrev_b64 v[3:4], 3, v[3:4]
	s_waitcnt lgkmcnt(0)
	s_mul_i32 s3, s3, s8
	s_mul_hi_u32 s4, s2, s8
	s_add_i32 s3, s4, s3
	v_mad_u64_u32 v[5:6], s[4:5], s30, v0, 0
	s_mul_i32 s2, s2, s8
	s_lshl_b64 s[2:3], s[2:3], 3
	s_add_u32 s4, s26, s2
	s_addc_u32 s5, s27, s3
	v_mad_u64_u32 v[6:7], s[2:3], s31, v0, v[6:7]
	s_lshl_b64 s[2:3], s[28:29], 3
	s_add_u32 s2, s4, s2
	v_lshlrev_b64 v[5:6], 3, v[5:6]
	s_addc_u32 s3, s5, s3
	v_mov_b32_e32 v7, s3
	v_add_co_u32_e32 v5, vcc, s2, v5
	v_addc_co_u32_e32 v6, vcc, v7, v6, vcc
	v_add_co_u32_e32 v3, vcc, v5, v3
	v_addc_co_u32_e32 v4, vcc, v6, v4, vcc
	global_load_dwordx2 v[5:6], v[3:4], off
	v_cmp_lt_u64_e64 s[2:3], s[12:13], 2
	s_and_b64 vcc, exec, s[2:3]
	s_waitcnt vmcnt(0)
	v_mul_f64 v[5:6], s[16:17], v[5:6]
	s_cbranch_vccnz .LBB125_25
; %bb.18:
	v_mad_u64_u32 v[7:8], s[2:3], v0, s22, v[0:1]
	v_lshl_add_u32 v2, v2, 3, 0
	v_mad_u64_u32 v[8:9], s[2:3], v0, s23, v[8:9]
	s_add_u32 s2, s12, -1
	s_addc_u32 s3, s13, -1
	s_mul_i32 s4, s22, s3
	s_mul_hi_u32 s5, s22, s2
	s_add_i32 s4, s5, s4
	s_mul_i32 s5, s23, s2
	v_lshlrev_b64 v[7:8], 3, v[7:8]
	s_add_i32 s5, s4, s5
	s_mul_i32 s4, s22, s2
	s_lshl_b64 s[4:5], s[4:5], 3
	v_mov_b32_e32 v9, s11
	v_add_co_u32_e32 v7, vcc, s10, v7
	s_add_u32 s4, s10, s4
	v_addc_co_u32_e32 v8, vcc, v9, v8, vcc
	v_lshlrev_b32_e32 v9, 3, v0
	s_addc_u32 s5, s11, s5
	v_mov_b32_e32 v10, s5
	v_add_co_u32_e32 v9, vcc, s4, v9
	s_lshl_b64 s[4:5], s[22:23], 3
	s_sub_u32 s6, 0, s4
	v_addc_co_u32_e32 v10, vcc, 0, v10, vcc
	s_subb_u32 s7, 0, s5
.LBB125_19:                             ; =>This Inner Loop Header: Depth=1
	v_cmp_eq_u64_e32 vcc, s[2:3], v[0:1]
	s_barrier
	s_and_saveexec_b64 s[4:5], vcc
	s_cbranch_execz .LBB125_21
; %bb.20:                               ;   in Loop: Header=BB125_19 Depth=1
	flat_load_dwordx2 v[11:12], v[7:8]
	s_waitcnt vmcnt(0) lgkmcnt(0)
	v_div_scale_f64 v[13:14], s[8:9], v[11:12], v[11:12], 1.0
	v_rcp_f64_e32 v[15:16], v[13:14]
	v_fma_f64 v[17:18], -v[13:14], v[15:16], 1.0
	v_fma_f64 v[15:16], v[15:16], v[17:18], v[15:16]
	v_div_scale_f64 v[17:18], vcc, 1.0, v[11:12], 1.0
	v_fma_f64 v[19:20], -v[13:14], v[15:16], 1.0
	v_fma_f64 v[15:16], v[15:16], v[19:20], v[15:16]
	v_mul_f64 v[19:20], v[17:18], v[15:16]
	v_fma_f64 v[13:14], -v[13:14], v[19:20], v[17:18]
	v_div_fmas_f64 v[13:14], v[13:14], v[15:16], v[19:20]
	v_div_fixup_f64 v[13:14], v[13:14], v[11:12], 1.0
	v_cndmask_b32_e64 v12, v14, v12, s[0:1]
	v_cndmask_b32_e64 v11, v13, v11, s[0:1]
	v_mul_f64 v[5:6], v[5:6], v[11:12]
	ds_write_b64 v2, v[5:6]
.LBB125_21:                             ;   in Loop: Header=BB125_19 Depth=1
	s_or_b64 exec, exec, s[4:5]
	v_cmp_gt_i64_e32 vcc, s[2:3], v[0:1]
	s_waitcnt lgkmcnt(0)
	s_barrier
	s_and_saveexec_b64 s[4:5], vcc
	s_cbranch_execz .LBB125_23
; %bb.22:                               ;   in Loop: Header=BB125_19 Depth=1
	flat_load_dwordx2 v[11:12], v[9:10]
	ds_read_b64 v[13:14], v2
	s_waitcnt vmcnt(0) lgkmcnt(0)
	v_fma_f64 v[5:6], -v[11:12], v[13:14], v[5:6]
.LBB125_23:                             ;   in Loop: Header=BB125_19 Depth=1
	s_or_b64 exec, exec, s[4:5]
	s_add_u32 s4, s2, -1
	s_addc_u32 s5, s3, -1
	s_add_u32 s2, s2, 1
	s_addc_u32 s3, s3, 0
	v_mov_b32_e32 v11, s7
	v_cmp_lt_u64_e64 s[2:3], s[2:3], 3
	v_add_co_u32_e32 v9, vcc, s6, v9
	v_addc_co_u32_e32 v10, vcc, v10, v11, vcc
	s_and_b64 vcc, exec, s[2:3]
	s_cbranch_vccnz .LBB125_25
; %bb.24:                               ;   in Loop: Header=BB125_19 Depth=1
	s_mov_b64 s[2:3], s[4:5]
	s_branch .LBB125_19
.LBB125_25:
	v_cmp_eq_u32_e32 vcc, 0, v0
	s_and_saveexec_b64 s[2:3], vcc
	s_cbranch_execz .LBB125_27
; %bb.26:
	v_mad_u64_u32 v[1:2], s[4:5], v0, s22, v[0:1]
	v_mad_u64_u32 v[7:8], s[4:5], v0, s23, v[2:3]
	v_mov_b32_e32 v8, s11
	v_mov_b32_e32 v2, v7
	v_lshlrev_b64 v[0:1], 3, v[1:2]
	v_add_co_u32_e32 v0, vcc, s10, v0
	v_addc_co_u32_e32 v1, vcc, v8, v1, vcc
	flat_load_dwordx2 v[0:1], v[0:1]
	s_waitcnt vmcnt(0) lgkmcnt(0)
	v_div_scale_f64 v[7:8], s[4:5], v[0:1], v[0:1], 1.0
	v_rcp_f64_e32 v[9:10], v[7:8]
	v_fma_f64 v[11:12], -v[7:8], v[9:10], 1.0
	v_fma_f64 v[9:10], v[9:10], v[11:12], v[9:10]
	v_div_scale_f64 v[11:12], vcc, 1.0, v[0:1], 1.0
	v_fma_f64 v[13:14], -v[7:8], v[9:10], 1.0
	v_fma_f64 v[9:10], v[9:10], v[13:14], v[9:10]
	v_mul_f64 v[13:14], v[11:12], v[9:10]
	v_fma_f64 v[7:8], -v[7:8], v[13:14], v[11:12]
	v_div_fmas_f64 v[7:8], v[7:8], v[9:10], v[13:14]
	v_div_fixup_f64 v[7:8], v[7:8], v[0:1], 1.0
	v_cndmask_b32_e64 v1, v8, v1, s[0:1]
	v_cndmask_b32_e64 v0, v7, v0, s[0:1]
	v_mul_f64 v[5:6], v[5:6], v[0:1]
.LBB125_27:
	s_or_b64 exec, exec, s[2:3]
	global_store_dwordx2 v[3:4], v[5:6], off
.LBB125_28:
	s_endpgm
	.section	.rodata,"a",@progbits
	.p2align	6, 0x0
	.amdhsa_kernel _ZL40rocblas_trsm_block_backward_substitutionIddPKdPdLb1ELb0ELb0EEv18rocblas_operation_llT0_T1_lllT2_lllib
		.amdhsa_group_segment_fixed_size 0
		.amdhsa_private_segment_fixed_size 0
		.amdhsa_kernarg_size 360
		.amdhsa_user_sgpr_count 6
		.amdhsa_user_sgpr_private_segment_buffer 1
		.amdhsa_user_sgpr_dispatch_ptr 0
		.amdhsa_user_sgpr_queue_ptr 0
		.amdhsa_user_sgpr_kernarg_segment_ptr 1
		.amdhsa_user_sgpr_dispatch_id 0
		.amdhsa_user_sgpr_flat_scratch_init 0
		.amdhsa_user_sgpr_private_segment_size 0
		.amdhsa_uses_dynamic_stack 0
		.amdhsa_system_sgpr_private_segment_wavefront_offset 0
		.amdhsa_system_sgpr_workgroup_id_x 1
		.amdhsa_system_sgpr_workgroup_id_y 1
		.amdhsa_system_sgpr_workgroup_id_z 1
		.amdhsa_system_sgpr_workgroup_info 0
		.amdhsa_system_vgpr_workitem_id 1
		.amdhsa_next_free_vgpr 21
		.amdhsa_next_free_sgpr 40
		.amdhsa_reserve_vcc 1
		.amdhsa_reserve_flat_scratch 0
		.amdhsa_float_round_mode_32 0
		.amdhsa_float_round_mode_16_64 0
		.amdhsa_float_denorm_mode_32 3
		.amdhsa_float_denorm_mode_16_64 3
		.amdhsa_dx10_clamp 1
		.amdhsa_ieee_mode 1
		.amdhsa_fp16_overflow 0
		.amdhsa_exception_fp_ieee_invalid_op 0
		.amdhsa_exception_fp_denorm_src 0
		.amdhsa_exception_fp_ieee_div_zero 0
		.amdhsa_exception_fp_ieee_overflow 0
		.amdhsa_exception_fp_ieee_underflow 0
		.amdhsa_exception_fp_ieee_inexact 0
		.amdhsa_exception_int_div_zero 0
	.end_amdhsa_kernel
	.section	.text._ZL40rocblas_trsm_block_backward_substitutionIddPKdPdLb1ELb0ELb0EEv18rocblas_operation_llT0_T1_lllT2_lllib,"axG",@progbits,_ZL40rocblas_trsm_block_backward_substitutionIddPKdPdLb1ELb0ELb0EEv18rocblas_operation_llT0_T1_lllT2_lllib,comdat
.Lfunc_end125:
	.size	_ZL40rocblas_trsm_block_backward_substitutionIddPKdPdLb1ELb0ELb0EEv18rocblas_operation_llT0_T1_lllT2_lllib, .Lfunc_end125-_ZL40rocblas_trsm_block_backward_substitutionIddPKdPdLb1ELb0ELb0EEv18rocblas_operation_llT0_T1_lllT2_lllib
                                        ; -- End function
	.set _ZL40rocblas_trsm_block_backward_substitutionIddPKdPdLb1ELb0ELb0EEv18rocblas_operation_llT0_T1_lllT2_lllib.num_vgpr, 21
	.set _ZL40rocblas_trsm_block_backward_substitutionIddPKdPdLb1ELb0ELb0EEv18rocblas_operation_llT0_T1_lllT2_lllib.num_agpr, 0
	.set _ZL40rocblas_trsm_block_backward_substitutionIddPKdPdLb1ELb0ELb0EEv18rocblas_operation_llT0_T1_lllT2_lllib.numbered_sgpr, 40
	.set _ZL40rocblas_trsm_block_backward_substitutionIddPKdPdLb1ELb0ELb0EEv18rocblas_operation_llT0_T1_lllT2_lllib.num_named_barrier, 0
	.set _ZL40rocblas_trsm_block_backward_substitutionIddPKdPdLb1ELb0ELb0EEv18rocblas_operation_llT0_T1_lllT2_lllib.private_seg_size, 0
	.set _ZL40rocblas_trsm_block_backward_substitutionIddPKdPdLb1ELb0ELb0EEv18rocblas_operation_llT0_T1_lllT2_lllib.uses_vcc, 1
	.set _ZL40rocblas_trsm_block_backward_substitutionIddPKdPdLb1ELb0ELb0EEv18rocblas_operation_llT0_T1_lllT2_lllib.uses_flat_scratch, 0
	.set _ZL40rocblas_trsm_block_backward_substitutionIddPKdPdLb1ELb0ELb0EEv18rocblas_operation_llT0_T1_lllT2_lllib.has_dyn_sized_stack, 0
	.set _ZL40rocblas_trsm_block_backward_substitutionIddPKdPdLb1ELb0ELb0EEv18rocblas_operation_llT0_T1_lllT2_lllib.has_recursion, 0
	.set _ZL40rocblas_trsm_block_backward_substitutionIddPKdPdLb1ELb0ELb0EEv18rocblas_operation_llT0_T1_lllT2_lllib.has_indirect_call, 0
	.section	.AMDGPU.csdata,"",@progbits
; Kernel info:
; codeLenInByte = 1424
; TotalNumSgprs: 44
; NumVgprs: 21
; ScratchSize: 0
; MemoryBound: 1
; FloatMode: 240
; IeeeMode: 1
; LDSByteSize: 0 bytes/workgroup (compile time only)
; SGPRBlocks: 5
; VGPRBlocks: 5
; NumSGPRsForWavesPerEU: 44
; NumVGPRsForWavesPerEU: 21
; Occupancy: 10
; WaveLimiterHint : 1
; COMPUTE_PGM_RSRC2:SCRATCH_EN: 0
; COMPUTE_PGM_RSRC2:USER_SGPR: 6
; COMPUTE_PGM_RSRC2:TRAP_HANDLER: 0
; COMPUTE_PGM_RSRC2:TGID_X_EN: 1
; COMPUTE_PGM_RSRC2:TGID_Y_EN: 1
; COMPUTE_PGM_RSRC2:TGID_Z_EN: 1
; COMPUTE_PGM_RSRC2:TIDIG_COMP_CNT: 1
	.section	.text._ZL39rocblas_trsm_block_forward_substitutionIddPKdPdLb1ELb0ELb1EEv18rocblas_operation_llT0_T1_lllT2_lllib,"axG",@progbits,_ZL39rocblas_trsm_block_forward_substitutionIddPKdPdLb1ELb0ELb1EEv18rocblas_operation_llT0_T1_lllT2_lllib,comdat
	.globl	_ZL39rocblas_trsm_block_forward_substitutionIddPKdPdLb1ELb0ELb1EEv18rocblas_operation_llT0_T1_lllT2_lllib ; -- Begin function _ZL39rocblas_trsm_block_forward_substitutionIddPKdPdLb1ELb0ELb1EEv18rocblas_operation_llT0_T1_lllT2_lllib
	.p2align	8
	.type	_ZL39rocblas_trsm_block_forward_substitutionIddPKdPdLb1ELb0ELb1EEv18rocblas_operation_llT0_T1_lllT2_lllib,@function
_ZL39rocblas_trsm_block_forward_substitutionIddPKdPdLb1ELb0ELb1EEv18rocblas_operation_llT0_T1_lllT2_lllib: ; @_ZL39rocblas_trsm_block_forward_substitutionIddPKdPdLb1ELb0ELb1EEv18rocblas_operation_llT0_T1_lllT2_lllib
; %bb.0:
	s_load_dwordx16 s[12:27], s[4:5], 0x8
	s_load_dword s9, s[4:5], 0x64
	s_load_dword s6, s[4:5], 0x74
	v_mov_b32_e32 v2, v1
	s_waitcnt lgkmcnt(0)
	s_mul_i32 s0, s25, s8
	s_mul_hi_u32 s1, s24, s8
	s_add_i32 s1, s1, s0
	s_mul_i32 s0, s24, s8
	s_lshl_b64 s[0:1], s[0:1], 3
	s_add_u32 s2, s18, s0
	s_addc_u32 s3, s19, s1
	s_lshl_b64 s[0:1], s[20:21], 3
	s_add_u32 s10, s2, s0
	s_addc_u32 s11, s3, s1
	s_add_u32 s18, s4, 0x68
	s_addc_u32 s19, s5, 0
	s_lshr_b32 s6, s6, 16
	s_bitcmp0_b32 s9, 0
	s_mov_b64 s[0:1], 1
	s_cbranch_scc1 .LBB126_6
; %bb.1:
	s_lshl_b32 s0, s6, 3
	s_add_i32 s20, s0, 0
	v_cmp_lt_i64_e64 s[0:1], s[12:13], 1
	s_mov_b64 s[2:3], 1
	s_and_b64 vcc, exec, s[0:1]
	s_cbranch_vccnz .LBB126_7
; %bb.2:
	v_mad_u64_u32 v[3:4], s[0:1], s22, v0, 0
	v_lshl_add_u32 v5, v0, 3, s20
	s_mov_b32 s9, 0
	v_mov_b32_e32 v1, v4
	v_mad_u64_u32 v[6:7], s[0:1], s23, v0, v[1:2]
	v_mov_b32_e32 v1, 0
	v_mov_b32_e32 v7, s11
	;; [unrolled: 1-line block ×3, first 2 shown]
	v_lshlrev_b64 v[3:4], 3, v[3:4]
	v_cmp_gt_u64_e64 s[0:1], s[12:13], v[0:1]
	v_add_co_u32_e32 v1, vcc, s10, v3
	v_addc_co_u32_e32 v6, vcc, v7, v4, vcc
	s_branch .LBB126_4
.LBB126_3:                              ;   in Loop: Header=BB126_4 Depth=1
	s_or_b64 exec, exec, s[10:11]
	s_add_i32 s9, s9, s6
	s_ashr_i32 s10, s9, 31
	v_mov_b32_e32 v3, s9
	v_mov_b32_e32 v4, s10
	v_cmp_le_i64_e32 vcc, s[12:13], v[3:4]
	s_cbranch_vccnz .LBB126_7
.LBB126_4:                              ; =>This Inner Loop Header: Depth=1
	v_add_u32_e32 v3, s9, v2
	v_cmp_gt_i32_e32 vcc, v0, v3
	s_and_b64 s[22:23], s[0:1], vcc
	s_and_saveexec_b64 s[10:11], s[22:23]
	s_cbranch_execz .LBB126_3
; %bb.5:                                ;   in Loop: Header=BB126_4 Depth=1
	v_ashrrev_i32_e32 v4, 31, v3
	v_lshlrev_b64 v[7:8], 3, v[3:4]
	s_load_dword s21, s[18:19], 0xc
	v_add_co_u32_e32 v7, vcc, v1, v7
	v_addc_co_u32_e32 v8, vcc, v6, v8, vcc
	global_load_dwordx2 v[7:8], v[7:8], off
	s_waitcnt lgkmcnt(0)
	s_and_b32 s21, s21, 0xffff
	v_mul_lo_u32 v3, v3, s21
	v_lshl_add_u32 v3, v3, 3, v5
	s_waitcnt vmcnt(0)
	ds_write_b64 v3, v[7:8]
	s_branch .LBB126_3
.LBB126_6:
	s_mov_b64 s[2:3], s[22:23]
	s_branch .LBB126_8
.LBB126_7:
	s_mov_b64 s[0:1], src_shared_base
	s_load_dword s0, s[18:19], 0xc
	s_mov_b32 s21, s1
	s_mov_b64 s[10:11], s[20:21]
	s_waitcnt lgkmcnt(0)
	s_and_b32 s0, s0, 0xffff
.LBB126_8:
	s_mul_i32 s7, s7, s6
	v_add_u32_e32 v3, s7, v2
	v_mov_b32_e32 v4, 0
	v_cmp_gt_i64_e32 vcc, s[14:15], v[3:4]
	s_and_saveexec_b64 s[6:7], vcc
	s_cbranch_execz .LBB126_18
; %bb.9:
	v_mov_b32_e32 v1, v4
	v_cmp_gt_i64_e32 vcc, s[12:13], v[0:1]
	s_and_b64 exec, exec, vcc
	s_cbranch_execz .LBB126_18
; %bb.10:
	s_load_dwordx2 s[6:7], s[4:5], 0x58
	s_load_dwordx4 s[20:23], s[4:5], 0x48
	s_waitcnt lgkmcnt(0)
	s_mul_i32 s1, s7, s8
	s_mul_hi_u32 s5, s6, s8
	s_mul_i32 s4, s6, s8
	v_mad_u64_u32 v[4:5], s[6:7], s22, v3, 0
	s_add_i32 s5, s5, s1
	s_lshl_b64 s[4:5], s[4:5], 3
	s_add_u32 s1, s26, s4
	s_addc_u32 s6, s27, s5
	v_mad_u64_u32 v[5:6], s[4:5], s23, v3, v[5:6]
	s_lshl_b64 s[4:5], s[20:21], 3
	s_add_u32 s1, s1, s4
	v_lshlrev_b64 v[3:4], 3, v[4:5]
	s_addc_u32 s4, s6, s5
	v_mov_b32_e32 v5, s4
	v_add_co_u32_e32 v3, vcc, s1, v3
	v_addc_co_u32_e32 v4, vcc, v5, v4, vcc
	v_lshlrev_b32_e32 v5, 3, v0
	v_add_co_u32_e32 v3, vcc, v3, v5
	v_addc_co_u32_e32 v4, vcc, 0, v4, vcc
	global_load_dwordx2 v[5:6], v[3:4], off
	v_cmp_lt_u64_e64 s[4:5], s[12:13], 2
	s_and_b64 vcc, exec, s[4:5]
	s_waitcnt vmcnt(0)
	v_mul_f64 v[5:6], s[16:17], v[5:6]
	s_cbranch_vccnz .LBB126_17
; %bb.11:
	v_mad_u64_u32 v[7:8], s[4:5], s2, v0, 0
	v_lshl_add_u32 v2, v2, 3, 0
	v_mad_u64_u32 v[8:9], s[2:3], s3, v0, v[8:9]
	v_mov_b32_e32 v9, s11
	s_add_u32 s2, s12, -1
	v_lshlrev_b64 v[7:8], 3, v[7:8]
	s_addc_u32 s3, s13, -1
	v_add_co_u32_e32 v7, vcc, s10, v7
	v_addc_co_u32_e32 v8, vcc, v9, v8, vcc
	s_lshl_b32 s6, s0, 3
	s_mov_b64 s[0:1], 0
	s_branch .LBB126_13
.LBB126_12:                             ;   in Loop: Header=BB126_13 Depth=1
	s_or_b64 exec, exec, s[4:5]
	s_add_u32 s0, s0, 1
	s_addc_u32 s1, s1, 0
	v_add_co_u32_e32 v7, vcc, s6, v7
	s_cmp_eq_u64 s[2:3], s[0:1]
	v_addc_co_u32_e32 v8, vcc, 0, v8, vcc
	s_cbranch_scc1 .LBB126_17
.LBB126_13:                             ; =>This Inner Loop Header: Depth=1
	v_cmp_eq_u64_e32 vcc, s[0:1], v[0:1]
	s_barrier
	s_and_saveexec_b64 s[4:5], vcc
; %bb.14:                               ;   in Loop: Header=BB126_13 Depth=1
	ds_write_b64 v2, v[5:6]
; %bb.15:                               ;   in Loop: Header=BB126_13 Depth=1
	s_or_b64 exec, exec, s[4:5]
	v_cmp_lt_u64_e32 vcc, s[0:1], v[0:1]
	s_waitcnt lgkmcnt(0)
	s_barrier
	s_and_saveexec_b64 s[4:5], vcc
	s_cbranch_execz .LBB126_12
; %bb.16:                               ;   in Loop: Header=BB126_13 Depth=1
	flat_load_dwordx2 v[9:10], v[7:8]
	ds_read_b64 v[11:12], v2
	s_waitcnt vmcnt(0) lgkmcnt(0)
	v_fma_f64 v[5:6], -v[9:10], v[11:12], v[5:6]
	s_branch .LBB126_12
.LBB126_17:
	global_store_dwordx2 v[3:4], v[5:6], off
.LBB126_18:
	s_endpgm
	.section	.rodata,"a",@progbits
	.p2align	6, 0x0
	.amdhsa_kernel _ZL39rocblas_trsm_block_forward_substitutionIddPKdPdLb1ELb0ELb1EEv18rocblas_operation_llT0_T1_lllT2_lllib
		.amdhsa_group_segment_fixed_size 0
		.amdhsa_private_segment_fixed_size 0
		.amdhsa_kernarg_size 360
		.amdhsa_user_sgpr_count 6
		.amdhsa_user_sgpr_private_segment_buffer 1
		.amdhsa_user_sgpr_dispatch_ptr 0
		.amdhsa_user_sgpr_queue_ptr 0
		.amdhsa_user_sgpr_kernarg_segment_ptr 1
		.amdhsa_user_sgpr_dispatch_id 0
		.amdhsa_user_sgpr_flat_scratch_init 0
		.amdhsa_user_sgpr_private_segment_size 0
		.amdhsa_uses_dynamic_stack 0
		.amdhsa_system_sgpr_private_segment_wavefront_offset 0
		.amdhsa_system_sgpr_workgroup_id_x 1
		.amdhsa_system_sgpr_workgroup_id_y 1
		.amdhsa_system_sgpr_workgroup_id_z 1
		.amdhsa_system_sgpr_workgroup_info 0
		.amdhsa_system_vgpr_workitem_id 1
		.amdhsa_next_free_vgpr 13
		.amdhsa_next_free_sgpr 28
		.amdhsa_reserve_vcc 1
		.amdhsa_reserve_flat_scratch 0
		.amdhsa_float_round_mode_32 0
		.amdhsa_float_round_mode_16_64 0
		.amdhsa_float_denorm_mode_32 3
		.amdhsa_float_denorm_mode_16_64 3
		.amdhsa_dx10_clamp 1
		.amdhsa_ieee_mode 1
		.amdhsa_fp16_overflow 0
		.amdhsa_exception_fp_ieee_invalid_op 0
		.amdhsa_exception_fp_denorm_src 0
		.amdhsa_exception_fp_ieee_div_zero 0
		.amdhsa_exception_fp_ieee_overflow 0
		.amdhsa_exception_fp_ieee_underflow 0
		.amdhsa_exception_fp_ieee_inexact 0
		.amdhsa_exception_int_div_zero 0
	.end_amdhsa_kernel
	.section	.text._ZL39rocblas_trsm_block_forward_substitutionIddPKdPdLb1ELb0ELb1EEv18rocblas_operation_llT0_T1_lllT2_lllib,"axG",@progbits,_ZL39rocblas_trsm_block_forward_substitutionIddPKdPdLb1ELb0ELb1EEv18rocblas_operation_llT0_T1_lllT2_lllib,comdat
.Lfunc_end126:
	.size	_ZL39rocblas_trsm_block_forward_substitutionIddPKdPdLb1ELb0ELb1EEv18rocblas_operation_llT0_T1_lllT2_lllib, .Lfunc_end126-_ZL39rocblas_trsm_block_forward_substitutionIddPKdPdLb1ELb0ELb1EEv18rocblas_operation_llT0_T1_lllT2_lllib
                                        ; -- End function
	.set _ZL39rocblas_trsm_block_forward_substitutionIddPKdPdLb1ELb0ELb1EEv18rocblas_operation_llT0_T1_lllT2_lllib.num_vgpr, 13
	.set _ZL39rocblas_trsm_block_forward_substitutionIddPKdPdLb1ELb0ELb1EEv18rocblas_operation_llT0_T1_lllT2_lllib.num_agpr, 0
	.set _ZL39rocblas_trsm_block_forward_substitutionIddPKdPdLb1ELb0ELb1EEv18rocblas_operation_llT0_T1_lllT2_lllib.numbered_sgpr, 28
	.set _ZL39rocblas_trsm_block_forward_substitutionIddPKdPdLb1ELb0ELb1EEv18rocblas_operation_llT0_T1_lllT2_lllib.num_named_barrier, 0
	.set _ZL39rocblas_trsm_block_forward_substitutionIddPKdPdLb1ELb0ELb1EEv18rocblas_operation_llT0_T1_lllT2_lllib.private_seg_size, 0
	.set _ZL39rocblas_trsm_block_forward_substitutionIddPKdPdLb1ELb0ELb1EEv18rocblas_operation_llT0_T1_lllT2_lllib.uses_vcc, 1
	.set _ZL39rocblas_trsm_block_forward_substitutionIddPKdPdLb1ELb0ELb1EEv18rocblas_operation_llT0_T1_lllT2_lllib.uses_flat_scratch, 0
	.set _ZL39rocblas_trsm_block_forward_substitutionIddPKdPdLb1ELb0ELb1EEv18rocblas_operation_llT0_T1_lllT2_lllib.has_dyn_sized_stack, 0
	.set _ZL39rocblas_trsm_block_forward_substitutionIddPKdPdLb1ELb0ELb1EEv18rocblas_operation_llT0_T1_lllT2_lllib.has_recursion, 0
	.set _ZL39rocblas_trsm_block_forward_substitutionIddPKdPdLb1ELb0ELb1EEv18rocblas_operation_llT0_T1_lllT2_lllib.has_indirect_call, 0
	.section	.AMDGPU.csdata,"",@progbits
; Kernel info:
; codeLenInByte = 732
; TotalNumSgprs: 32
; NumVgprs: 13
; ScratchSize: 0
; MemoryBound: 0
; FloatMode: 240
; IeeeMode: 1
; LDSByteSize: 0 bytes/workgroup (compile time only)
; SGPRBlocks: 3
; VGPRBlocks: 3
; NumSGPRsForWavesPerEU: 32
; NumVGPRsForWavesPerEU: 13
; Occupancy: 10
; WaveLimiterHint : 1
; COMPUTE_PGM_RSRC2:SCRATCH_EN: 0
; COMPUTE_PGM_RSRC2:USER_SGPR: 6
; COMPUTE_PGM_RSRC2:TRAP_HANDLER: 0
; COMPUTE_PGM_RSRC2:TGID_X_EN: 1
; COMPUTE_PGM_RSRC2:TGID_Y_EN: 1
; COMPUTE_PGM_RSRC2:TGID_Z_EN: 1
; COMPUTE_PGM_RSRC2:TIDIG_COMP_CNT: 1
	.section	.text._ZL40rocblas_trsm_block_backward_substitutionIddPKdPdLb1ELb0ELb1EEv18rocblas_operation_llT0_T1_lllT2_lllib,"axG",@progbits,_ZL40rocblas_trsm_block_backward_substitutionIddPKdPdLb1ELb0ELb1EEv18rocblas_operation_llT0_T1_lllT2_lllib,comdat
	.globl	_ZL40rocblas_trsm_block_backward_substitutionIddPKdPdLb1ELb0ELb1EEv18rocblas_operation_llT0_T1_lllT2_lllib ; -- Begin function _ZL40rocblas_trsm_block_backward_substitutionIddPKdPdLb1ELb0ELb1EEv18rocblas_operation_llT0_T1_lllT2_lllib
	.p2align	8
	.type	_ZL40rocblas_trsm_block_backward_substitutionIddPKdPdLb1ELb0ELb1EEv18rocblas_operation_llT0_T1_lllT2_lllib,@function
_ZL40rocblas_trsm_block_backward_substitutionIddPKdPdLb1ELb0ELb1EEv18rocblas_operation_llT0_T1_lllT2_lllib: ; @_ZL40rocblas_trsm_block_backward_substitutionIddPKdPdLb1ELb0ELb1EEv18rocblas_operation_llT0_T1_lllT2_lllib
; %bb.0:
	s_load_dwordx16 s[12:27], s[4:5], 0x8
	s_load_dword s9, s[4:5], 0x64
	s_load_dword s6, s[4:5], 0x74
	v_mov_b32_e32 v2, v1
	s_waitcnt lgkmcnt(0)
	s_mul_i32 s0, s25, s8
	s_mul_hi_u32 s1, s24, s8
	s_add_i32 s1, s1, s0
	s_mul_i32 s0, s24, s8
	s_lshl_b64 s[0:1], s[0:1], 3
	s_add_u32 s2, s18, s0
	s_addc_u32 s3, s19, s1
	s_lshl_b64 s[0:1], s[20:21], 3
	s_add_u32 s2, s2, s0
	s_addc_u32 s3, s3, s1
	s_add_u32 s10, s4, 0x68
	s_addc_u32 s11, s5, 0
	s_lshr_b32 s6, s6, 16
	s_bitcmp0_b32 s9, 0
	s_cbranch_scc1 .LBB127_7
; %bb.1:
	v_cmp_lt_i64_e64 s[0:1], s[12:13], 1
	s_lshl_b32 s9, s6, 3
	s_add_i32 s18, s9, 0
	s_and_b64 vcc, exec, s[0:1]
	s_cbranch_vccnz .LBB127_6
; %bb.2:
	v_lshlrev_b32_e32 v3, 3, v0
	v_mov_b32_e32 v1, 0
	v_cmp_gt_u64_e64 s[0:1], s[12:13], v[0:1]
	v_mov_b32_e32 v4, s3
	v_add_co_u32_e32 v1, vcc, s2, v3
	v_add_u32_e32 v5, s18, v3
	v_addc_co_u32_e32 v6, vcc, 0, v4, vcc
	s_mov_b32 s9, 0
	s_branch .LBB127_4
.LBB127_3:                              ;   in Loop: Header=BB127_4 Depth=1
	s_or_b64 exec, exec, s[2:3]
	s_add_i32 s9, s9, s6
	s_ashr_i32 s2, s9, 31
	v_mov_b32_e32 v3, s9
	v_mov_b32_e32 v4, s2
	v_cmp_le_i64_e32 vcc, s[12:13], v[3:4]
	s_cbranch_vccnz .LBB127_6
.LBB127_4:                              ; =>This Inner Loop Header: Depth=1
	v_add_u32_e32 v3, s9, v2
	v_ashrrev_i32_e32 v4, 31, v3
	v_cmp_gt_i64_e32 vcc, s[12:13], v[3:4]
	v_cmp_lt_i32_e64 s[2:3], v0, v3
	s_and_b64 s[2:3], s[2:3], vcc
	s_and_b64 s[20:21], s[0:1], s[2:3]
	s_and_saveexec_b64 s[2:3], s[20:21]
	s_cbranch_execz .LBB127_3
; %bb.5:                                ;   in Loop: Header=BB127_4 Depth=1
	v_mul_lo_u32 v9, s23, v3
	v_mul_lo_u32 v4, s22, v4
	v_mad_u64_u32 v[7:8], s[20:21], s22, v3, 0
	s_load_dword s19, s[10:11], 0xc
	v_add3_u32 v8, v8, v4, v9
	v_lshlrev_b64 v[7:8], 3, v[7:8]
	v_add_co_u32_e32 v7, vcc, v1, v7
	v_addc_co_u32_e32 v8, vcc, v6, v8, vcc
	global_load_dwordx2 v[7:8], v[7:8], off
	s_waitcnt lgkmcnt(0)
	s_and_b32 s19, s19, 0xffff
	v_mul_lo_u32 v3, v3, s19
	v_lshl_add_u32 v3, v3, 3, v5
	s_waitcnt vmcnt(0)
	ds_write_b64 v3, v[7:8]
	s_branch .LBB127_3
.LBB127_6:
	s_mov_b64 s[0:1], src_shared_base
	s_load_dword s0, s[10:11], 0xc
	s_mov_b32 s19, s1
	s_mov_b32 s23, 0
	s_mov_b64 s[2:3], s[18:19]
	s_waitcnt lgkmcnt(0)
	s_and_b32 s22, s0, 0xffff
.LBB127_7:
	s_mul_i32 s7, s7, s6
	v_add_u32_e32 v3, s7, v2
	v_mov_b32_e32 v4, 0
	v_cmp_gt_i64_e32 vcc, s[14:15], v[3:4]
	s_and_saveexec_b64 s[0:1], vcc
	s_cbranch_execz .LBB127_18
; %bb.8:
	v_mov_b32_e32 v1, v4
	v_cmp_gt_i64_e32 vcc, s[12:13], v[0:1]
	s_and_b64 exec, exec, vcc
	s_cbranch_execz .LBB127_18
; %bb.9:
	s_load_dwordx2 s[0:1], s[4:5], 0x58
	s_load_dwordx4 s[28:31], s[4:5], 0x48
	v_lshlrev_b64 v[3:4], 3, v[3:4]
	s_waitcnt lgkmcnt(0)
	s_mul_i32 s1, s1, s8
	s_mul_hi_u32 s4, s0, s8
	s_add_i32 s1, s4, s1
	v_mad_u64_u32 v[5:6], s[4:5], s30, v0, 0
	s_mul_i32 s0, s0, s8
	s_lshl_b64 s[0:1], s[0:1], 3
	s_add_u32 s4, s26, s0
	s_addc_u32 s5, s27, s1
	v_mad_u64_u32 v[6:7], s[0:1], s31, v0, v[6:7]
	s_lshl_b64 s[0:1], s[28:29], 3
	s_add_u32 s0, s4, s0
	v_lshlrev_b64 v[5:6], 3, v[5:6]
	s_addc_u32 s1, s5, s1
	v_mov_b32_e32 v7, s1
	v_add_co_u32_e32 v5, vcc, s0, v5
	v_addc_co_u32_e32 v6, vcc, v7, v6, vcc
	v_add_co_u32_e32 v3, vcc, v5, v3
	v_addc_co_u32_e32 v4, vcc, v6, v4, vcc
	global_load_dwordx2 v[5:6], v[3:4], off
	v_cmp_lt_u64_e64 s[0:1], s[12:13], 2
	s_and_b64 vcc, exec, s[0:1]
	s_waitcnt vmcnt(0)
	v_mul_f64 v[5:6], s[16:17], v[5:6]
	s_cbranch_vccnz .LBB127_17
; %bb.10:
	s_add_u32 s0, s12, -1
	s_addc_u32 s1, s13, -1
	s_mul_i32 s4, s22, s1
	s_mul_hi_u32 s5, s22, s0
	s_add_i32 s4, s5, s4
	s_mul_i32 s5, s23, s0
	s_add_i32 s5, s4, s5
	s_mul_i32 s4, s22, s0
	s_lshl_b64 s[4:5], s[4:5], 3
	s_add_u32 s2, s2, s4
	v_lshlrev_b32_e32 v7, 3, v0
	s_addc_u32 s3, s3, s5
	v_mov_b32_e32 v8, s3
	v_add_co_u32_e32 v7, vcc, s2, v7
	s_lshl_b64 s[2:3], s[22:23], 3
	s_sub_u32 s4, 0, s2
	s_subb_u32 s2, 0, s3
	v_lshl_add_u32 v2, v2, 3, 0
	v_addc_co_u32_e32 v8, vcc, 0, v8, vcc
	v_mov_b32_e32 v9, s2
.LBB127_11:                             ; =>This Inner Loop Header: Depth=1
	v_cmp_eq_u64_e32 vcc, s[0:1], v[0:1]
	s_barrier
	s_and_saveexec_b64 s[2:3], vcc
; %bb.12:                               ;   in Loop: Header=BB127_11 Depth=1
	ds_write_b64 v2, v[5:6]
; %bb.13:                               ;   in Loop: Header=BB127_11 Depth=1
	s_or_b64 exec, exec, s[2:3]
	v_cmp_gt_i64_e32 vcc, s[0:1], v[0:1]
	s_waitcnt lgkmcnt(0)
	s_barrier
	s_and_saveexec_b64 s[2:3], vcc
	s_cbranch_execz .LBB127_15
; %bb.14:                               ;   in Loop: Header=BB127_11 Depth=1
	flat_load_dwordx2 v[10:11], v[7:8]
	ds_read_b64 v[12:13], v2
	s_waitcnt vmcnt(0) lgkmcnt(0)
	v_fma_f64 v[5:6], -v[10:11], v[12:13], v[5:6]
.LBB127_15:                             ;   in Loop: Header=BB127_11 Depth=1
	s_or_b64 exec, exec, s[2:3]
	s_add_u32 s2, s0, -1
	s_addc_u32 s3, s1, -1
	s_add_u32 s0, s0, 1
	s_addc_u32 s1, s1, 0
	v_cmp_lt_u64_e64 s[0:1], s[0:1], 3
	v_add_co_u32_e32 v7, vcc, s4, v7
	v_addc_co_u32_e32 v8, vcc, v8, v9, vcc
	s_and_b64 vcc, exec, s[0:1]
	s_cbranch_vccnz .LBB127_17
; %bb.16:                               ;   in Loop: Header=BB127_11 Depth=1
	s_mov_b64 s[0:1], s[2:3]
	s_branch .LBB127_11
.LBB127_17:
	global_store_dwordx2 v[3:4], v[5:6], off
.LBB127_18:
	s_endpgm
	.section	.rodata,"a",@progbits
	.p2align	6, 0x0
	.amdhsa_kernel _ZL40rocblas_trsm_block_backward_substitutionIddPKdPdLb1ELb0ELb1EEv18rocblas_operation_llT0_T1_lllT2_lllib
		.amdhsa_group_segment_fixed_size 0
		.amdhsa_private_segment_fixed_size 0
		.amdhsa_kernarg_size 360
		.amdhsa_user_sgpr_count 6
		.amdhsa_user_sgpr_private_segment_buffer 1
		.amdhsa_user_sgpr_dispatch_ptr 0
		.amdhsa_user_sgpr_queue_ptr 0
		.amdhsa_user_sgpr_kernarg_segment_ptr 1
		.amdhsa_user_sgpr_dispatch_id 0
		.amdhsa_user_sgpr_flat_scratch_init 0
		.amdhsa_user_sgpr_private_segment_size 0
		.amdhsa_uses_dynamic_stack 0
		.amdhsa_system_sgpr_private_segment_wavefront_offset 0
		.amdhsa_system_sgpr_workgroup_id_x 1
		.amdhsa_system_sgpr_workgroup_id_y 1
		.amdhsa_system_sgpr_workgroup_id_z 1
		.amdhsa_system_sgpr_workgroup_info 0
		.amdhsa_system_vgpr_workitem_id 1
		.amdhsa_next_free_vgpr 14
		.amdhsa_next_free_sgpr 32
		.amdhsa_reserve_vcc 1
		.amdhsa_reserve_flat_scratch 0
		.amdhsa_float_round_mode_32 0
		.amdhsa_float_round_mode_16_64 0
		.amdhsa_float_denorm_mode_32 3
		.amdhsa_float_denorm_mode_16_64 3
		.amdhsa_dx10_clamp 1
		.amdhsa_ieee_mode 1
		.amdhsa_fp16_overflow 0
		.amdhsa_exception_fp_ieee_invalid_op 0
		.amdhsa_exception_fp_denorm_src 0
		.amdhsa_exception_fp_ieee_div_zero 0
		.amdhsa_exception_fp_ieee_overflow 0
		.amdhsa_exception_fp_ieee_underflow 0
		.amdhsa_exception_fp_ieee_inexact 0
		.amdhsa_exception_int_div_zero 0
	.end_amdhsa_kernel
	.section	.text._ZL40rocblas_trsm_block_backward_substitutionIddPKdPdLb1ELb0ELb1EEv18rocblas_operation_llT0_T1_lllT2_lllib,"axG",@progbits,_ZL40rocblas_trsm_block_backward_substitutionIddPKdPdLb1ELb0ELb1EEv18rocblas_operation_llT0_T1_lllT2_lllib,comdat
.Lfunc_end127:
	.size	_ZL40rocblas_trsm_block_backward_substitutionIddPKdPdLb1ELb0ELb1EEv18rocblas_operation_llT0_T1_lllT2_lllib, .Lfunc_end127-_ZL40rocblas_trsm_block_backward_substitutionIddPKdPdLb1ELb0ELb1EEv18rocblas_operation_llT0_T1_lllT2_lllib
                                        ; -- End function
	.set _ZL40rocblas_trsm_block_backward_substitutionIddPKdPdLb1ELb0ELb1EEv18rocblas_operation_llT0_T1_lllT2_lllib.num_vgpr, 14
	.set _ZL40rocblas_trsm_block_backward_substitutionIddPKdPdLb1ELb0ELb1EEv18rocblas_operation_llT0_T1_lllT2_lllib.num_agpr, 0
	.set _ZL40rocblas_trsm_block_backward_substitutionIddPKdPdLb1ELb0ELb1EEv18rocblas_operation_llT0_T1_lllT2_lllib.numbered_sgpr, 32
	.set _ZL40rocblas_trsm_block_backward_substitutionIddPKdPdLb1ELb0ELb1EEv18rocblas_operation_llT0_T1_lllT2_lllib.num_named_barrier, 0
	.set _ZL40rocblas_trsm_block_backward_substitutionIddPKdPdLb1ELb0ELb1EEv18rocblas_operation_llT0_T1_lllT2_lllib.private_seg_size, 0
	.set _ZL40rocblas_trsm_block_backward_substitutionIddPKdPdLb1ELb0ELb1EEv18rocblas_operation_llT0_T1_lllT2_lllib.uses_vcc, 1
	.set _ZL40rocblas_trsm_block_backward_substitutionIddPKdPdLb1ELb0ELb1EEv18rocblas_operation_llT0_T1_lllT2_lllib.uses_flat_scratch, 0
	.set _ZL40rocblas_trsm_block_backward_substitutionIddPKdPdLb1ELb0ELb1EEv18rocblas_operation_llT0_T1_lllT2_lllib.has_dyn_sized_stack, 0
	.set _ZL40rocblas_trsm_block_backward_substitutionIddPKdPdLb1ELb0ELb1EEv18rocblas_operation_llT0_T1_lllT2_lllib.has_recursion, 0
	.set _ZL40rocblas_trsm_block_backward_substitutionIddPKdPdLb1ELb0ELb1EEv18rocblas_operation_llT0_T1_lllT2_lllib.has_indirect_call, 0
	.section	.AMDGPU.csdata,"",@progbits
; Kernel info:
; codeLenInByte = 776
; TotalNumSgprs: 36
; NumVgprs: 14
; ScratchSize: 0
; MemoryBound: 0
; FloatMode: 240
; IeeeMode: 1
; LDSByteSize: 0 bytes/workgroup (compile time only)
; SGPRBlocks: 4
; VGPRBlocks: 3
; NumSGPRsForWavesPerEU: 36
; NumVGPRsForWavesPerEU: 14
; Occupancy: 10
; WaveLimiterHint : 1
; COMPUTE_PGM_RSRC2:SCRATCH_EN: 0
; COMPUTE_PGM_RSRC2:USER_SGPR: 6
; COMPUTE_PGM_RSRC2:TRAP_HANDLER: 0
; COMPUTE_PGM_RSRC2:TGID_X_EN: 1
; COMPUTE_PGM_RSRC2:TGID_Y_EN: 1
; COMPUTE_PGM_RSRC2:TGID_Z_EN: 1
; COMPUTE_PGM_RSRC2:TIDIG_COMP_CNT: 1
	.section	.text._ZL26setup_batched_array_kernelILi128EdEvPT0_lPS1_,"axG",@progbits,_ZL26setup_batched_array_kernelILi128EdEvPT0_lPS1_,comdat
	.globl	_ZL26setup_batched_array_kernelILi128EdEvPT0_lPS1_ ; -- Begin function _ZL26setup_batched_array_kernelILi128EdEvPT0_lPS1_
	.p2align	8
	.type	_ZL26setup_batched_array_kernelILi128EdEvPT0_lPS1_,@function
_ZL26setup_batched_array_kernelILi128EdEvPT0_lPS1_: ; @_ZL26setup_batched_array_kernelILi128EdEvPT0_lPS1_
; %bb.0:
	s_load_dwordx4 s[0:3], s[4:5], 0x0
	s_mov_b32 s7, 0
	s_load_dwordx2 s[4:5], s[4:5], 0x10
	v_mov_b32_e32 v2, 0
	s_waitcnt lgkmcnt(0)
	s_mul_i32 s3, s3, s6
	s_mul_hi_u32 s8, s2, s6
	s_add_i32 s3, s8, s3
	s_mul_i32 s2, s2, s6
	s_lshl_b64 s[2:3], s[2:3], 3
	s_add_u32 s0, s0, s2
	s_addc_u32 s1, s1, s3
	s_lshl_b64 s[2:3], s[6:7], 3
	s_add_u32 s2, s4, s2
	v_mov_b32_e32 v0, s0
	s_addc_u32 s3, s5, s3
	v_mov_b32_e32 v1, s1
	global_store_dwordx2 v2, v[0:1], s[2:3]
	s_endpgm
	.section	.rodata,"a",@progbits
	.p2align	6, 0x0
	.amdhsa_kernel _ZL26setup_batched_array_kernelILi128EdEvPT0_lPS1_
		.amdhsa_group_segment_fixed_size 0
		.amdhsa_private_segment_fixed_size 0
		.amdhsa_kernarg_size 24
		.amdhsa_user_sgpr_count 6
		.amdhsa_user_sgpr_private_segment_buffer 1
		.amdhsa_user_sgpr_dispatch_ptr 0
		.amdhsa_user_sgpr_queue_ptr 0
		.amdhsa_user_sgpr_kernarg_segment_ptr 1
		.amdhsa_user_sgpr_dispatch_id 0
		.amdhsa_user_sgpr_flat_scratch_init 0
		.amdhsa_user_sgpr_private_segment_size 0
		.amdhsa_uses_dynamic_stack 0
		.amdhsa_system_sgpr_private_segment_wavefront_offset 0
		.amdhsa_system_sgpr_workgroup_id_x 1
		.amdhsa_system_sgpr_workgroup_id_y 0
		.amdhsa_system_sgpr_workgroup_id_z 0
		.amdhsa_system_sgpr_workgroup_info 0
		.amdhsa_system_vgpr_workitem_id 0
		.amdhsa_next_free_vgpr 3
		.amdhsa_next_free_sgpr 9
		.amdhsa_reserve_vcc 0
		.amdhsa_reserve_flat_scratch 0
		.amdhsa_float_round_mode_32 0
		.amdhsa_float_round_mode_16_64 0
		.amdhsa_float_denorm_mode_32 3
		.amdhsa_float_denorm_mode_16_64 3
		.amdhsa_dx10_clamp 1
		.amdhsa_ieee_mode 1
		.amdhsa_fp16_overflow 0
		.amdhsa_exception_fp_ieee_invalid_op 0
		.amdhsa_exception_fp_denorm_src 0
		.amdhsa_exception_fp_ieee_div_zero 0
		.amdhsa_exception_fp_ieee_overflow 0
		.amdhsa_exception_fp_ieee_underflow 0
		.amdhsa_exception_fp_ieee_inexact 0
		.amdhsa_exception_int_div_zero 0
	.end_amdhsa_kernel
	.section	.text._ZL26setup_batched_array_kernelILi128EdEvPT0_lPS1_,"axG",@progbits,_ZL26setup_batched_array_kernelILi128EdEvPT0_lPS1_,comdat
.Lfunc_end128:
	.size	_ZL26setup_batched_array_kernelILi128EdEvPT0_lPS1_, .Lfunc_end128-_ZL26setup_batched_array_kernelILi128EdEvPT0_lPS1_
                                        ; -- End function
	.set _ZL26setup_batched_array_kernelILi128EdEvPT0_lPS1_.num_vgpr, 3
	.set _ZL26setup_batched_array_kernelILi128EdEvPT0_lPS1_.num_agpr, 0
	.set _ZL26setup_batched_array_kernelILi128EdEvPT0_lPS1_.numbered_sgpr, 9
	.set _ZL26setup_batched_array_kernelILi128EdEvPT0_lPS1_.num_named_barrier, 0
	.set _ZL26setup_batched_array_kernelILi128EdEvPT0_lPS1_.private_seg_size, 0
	.set _ZL26setup_batched_array_kernelILi128EdEvPT0_lPS1_.uses_vcc, 0
	.set _ZL26setup_batched_array_kernelILi128EdEvPT0_lPS1_.uses_flat_scratch, 0
	.set _ZL26setup_batched_array_kernelILi128EdEvPT0_lPS1_.has_dyn_sized_stack, 0
	.set _ZL26setup_batched_array_kernelILi128EdEvPT0_lPS1_.has_recursion, 0
	.set _ZL26setup_batched_array_kernelILi128EdEvPT0_lPS1_.has_indirect_call, 0
	.section	.AMDGPU.csdata,"",@progbits
; Kernel info:
; codeLenInByte = 88
; TotalNumSgprs: 13
; NumVgprs: 3
; ScratchSize: 0
; MemoryBound: 0
; FloatMode: 240
; IeeeMode: 1
; LDSByteSize: 0 bytes/workgroup (compile time only)
; SGPRBlocks: 1
; VGPRBlocks: 0
; NumSGPRsForWavesPerEU: 13
; NumVGPRsForWavesPerEU: 3
; Occupancy: 10
; WaveLimiterHint : 0
; COMPUTE_PGM_RSRC2:SCRATCH_EN: 0
; COMPUTE_PGM_RSRC2:USER_SGPR: 6
; COMPUTE_PGM_RSRC2:TRAP_HANDLER: 0
; COMPUTE_PGM_RSRC2:TGID_X_EN: 1
; COMPUTE_PGM_RSRC2:TGID_Y_EN: 0
; COMPUTE_PGM_RSRC2:TGID_Z_EN: 0
; COMPUTE_PGM_RSRC2:TIDIG_COMP_CNT: 0
	.section	.text._ZL25rocblas_trtri_trsm_kernelILi128ELi16ELi8EdPKdPdEv13rocblas_fill_17rocblas_diagonal_T3_lilT4_lli,"axG",@progbits,_ZL25rocblas_trtri_trsm_kernelILi128ELi16ELi8EdPKdPdEv13rocblas_fill_17rocblas_diagonal_T3_lilT4_lli,comdat
	.globl	_ZL25rocblas_trtri_trsm_kernelILi128ELi16ELi8EdPKdPdEv13rocblas_fill_17rocblas_diagonal_T3_lilT4_lli ; -- Begin function _ZL25rocblas_trtri_trsm_kernelILi128ELi16ELi8EdPKdPdEv13rocblas_fill_17rocblas_diagonal_T3_lilT4_lli
	.p2align	8
	.type	_ZL25rocblas_trtri_trsm_kernelILi128ELi16ELi8EdPKdPdEv13rocblas_fill_17rocblas_diagonal_T3_lilT4_lli,@function
_ZL25rocblas_trtri_trsm_kernelILi128ELi16ELi8EdPKdPdEv13rocblas_fill_17rocblas_diagonal_T3_lilT4_lli: ; @_ZL25rocblas_trtri_trsm_kernelILi128ELi16ELi8EdPKdPdEv13rocblas_fill_17rocblas_diagonal_T3_lilT4_lli
; %bb.0:
	v_cmp_gt_u32_e64 s[0:1], 16, v0
	v_cmp_lt_u32_e64 s[8:9], 15, v0
	v_cmp_gt_u32_e64 s[2:3], 32, v0
	v_cmp_lt_u32_e32 vcc, 31, v0
	v_mov_b32_e32 v1, v0
	s_and_saveexec_b64 s[10:11], s[8:9]
	s_cbranch_execz .LBB129_6
; %bb.1:
                                        ; implicit-def: $vgpr1
	s_and_saveexec_b64 s[8:9], vcc
	s_xor_b64 s[8:9], exec, s[8:9]
; %bb.2:
	v_subrev_u32_e32 v1, 32, v0
; %bb.3:
	s_andn2_saveexec_b64 s[8:9], s[8:9]
; %bb.4:
	v_add_u32_e32 v1, -16, v0
; %bb.5:
	s_or_b64 exec, exec, s[8:9]
.LBB129_6:
	s_or_b64 exec, exec, s[10:11]
	s_load_dword s18, s[4:5], 0x18
	s_load_dwordx2 s[16:17], s[4:5], 0x0
	s_load_dwordx4 s[20:23], s[4:5], 0x8
	s_load_dwordx8 s[8:15], s[4:5], 0x20
	s_lshl_b32 s24, s6, 1
	s_waitcnt lgkmcnt(0)
	s_ashr_i32 s19, s18, 31
	s_lshl_b64 s[4:5], s[18:19], 4
	s_add_u32 s27, s4, 16
	s_addc_u32 s28, s5, 0
	s_mul_i32 s25, s28, s24
	s_mul_hi_u32 s26, s27, s24
	s_add_i32 s31, s26, s25
	s_mul_i32 s9, s9, s7
	s_mul_hi_u32 s25, s8, s7
	s_add_i32 s9, s25, s9
	s_mul_i32 s8, s8, s7
	s_lshl_b64 s[8:9], s[8:9], 3
	s_mul_i32 s30, s27, s24
	s_add_u32 s20, s20, s8
	s_addc_u32 s21, s21, s9
	s_lshl_b64 s[8:9], s[30:31], 3
	s_add_u32 s20, s20, s8
	s_addc_u32 s21, s21, s9
	s_lshl_b64 s[8:9], s[22:23], 3
	s_add_u32 s25, s20, s8
	v_mov_b32_e32 v2, 0x1800
	s_addc_u32 s26, s21, s9
	v_cndmask_b32_e64 v4, 0, v2, s[2:3]
	v_mov_b32_e32 v5, 0x1000
	s_and_saveexec_b64 s[8:9], vcc
	s_xor_b64 s[8:9], exec, s[8:9]
	s_cbranch_execz .LBB129_13
; %bb.7:
	v_cmp_gt_u32_e32 vcc, 48, v0
	s_and_saveexec_b64 s[20:21], vcc
	s_cbranch_execz .LBB129_12
; %bb.8:
	v_mov_b32_e32 v2, 0
	v_lshlrev_b64 v[2:3], 3, v[1:2]
	s_cmpk_eq_i32 s16, 0x7a
	s_mov_b64 s[22:23], -1
	s_cbranch_scc1 .LBB129_10
; %bb.9:
	s_lshl_b64 s[22:23], s[18:19], 7
	s_add_u32 s22, s25, s22
	s_addc_u32 s23, s26, s23
	v_mov_b32_e32 v7, s23
	v_add_co_u32_e32 v6, vcc, s22, v2
	v_addc_co_u32_e32 v7, vcc, v7, v3, vcc
	v_mov_b32_e32 v8, 0x78
	v_mad_i64_i32 v[8:9], s[22:23], s18, v8, v[6:7]
	s_lshl_b64 s[22:23], s[18:19], 3
	s_sub_u32 s22, 0, s22
	s_subb_u32 s23, 0, s23
	v_mov_b32_e32 v11, s23
	v_add_co_u32_e32 v10, vcc, s22, v8
	v_addc_co_u32_e32 v11, vcc, v9, v11, vcc
	global_load_dwordx2 v[12:13], v[8:9], off
	global_load_dwordx2 v[14:15], v[10:11], off
	v_mov_b32_e32 v9, s23
	v_add_co_u32_e32 v8, vcc, s22, v10
	v_addc_co_u32_e32 v9, vcc, v11, v9, vcc
	global_load_dwordx2 v[10:11], v[8:9], off
	v_mov_b32_e32 v16, s23
	global_load_dwordx2 v[6:7], v[6:7], off
	v_add_co_u32_e32 v8, vcc, s22, v8
	v_addc_co_u32_e32 v9, vcc, v9, v16, vcc
	global_load_dwordx2 v[16:17], v[8:9], off
	v_mov_b32_e32 v18, s23
	v_add_co_u32_e32 v8, vcc, s22, v8
	v_addc_co_u32_e32 v9, vcc, v9, v18, vcc
	global_load_dwordx2 v[18:19], v[8:9], off
	v_mov_b32_e32 v20, s23
	;; [unrolled: 4-line block ×3, first 2 shown]
	v_add_co_u32_e32 v8, vcc, s22, v8
	v_addc_co_u32_e32 v9, vcc, v9, v22, vcc
	v_mov_b32_e32 v23, s23
	v_add_co_u32_e32 v22, vcc, s22, v8
	v_lshlrev_b32_e32 v30, 3, v1
	v_addc_co_u32_e32 v23, vcc, v9, v23, vcc
	v_mov_b32_e32 v24, s23
	v_mov_b32_e32 v25, s23
	;; [unrolled: 1-line block ×6, first 2 shown]
	s_waitcnt vmcnt(5)
	ds_write2_b64 v30, v[14:15], v[12:13] offset0:224 offset1:240
	v_add_co_u32_e32 v12, vcc, s22, v22
	v_addc_co_u32_e32 v13, vcc, v23, v24, vcc
	v_add_co_u32_e32 v14, vcc, s22, v12
	v_addc_co_u32_e32 v15, vcc, v13, v25, vcc
	v_add_co_u32_e32 v24, vcc, s22, v14
	v_addc_co_u32_e32 v25, vcc, v15, v26, vcc
	global_load_dwordx2 v[8:9], v[8:9], off
	s_nop 0
	global_load_dwordx2 v[22:23], v[22:23], off
	s_nop 0
	;; [unrolled: 2-line block ×3, first 2 shown]
	global_load_dwordx2 v[14:15], v[14:15], off
	s_waitcnt vmcnt(6)
	ds_write2_b64 v30, v[16:17], v[10:11] offset0:192 offset1:208
	v_add_co_u32_e32 v16, vcc, s22, v24
	v_addc_co_u32_e32 v17, vcc, v25, v27, vcc
	global_load_dwordx2 v[10:11], v[24:25], off
	v_add_co_u32_e32 v24, vcc, s22, v16
	v_addc_co_u32_e32 v25, vcc, v17, v28, vcc
	global_load_dwordx2 v[26:27], v[16:17], off
	global_load_dwordx2 v[28:29], v[24:25], off
	v_add_co_u32_e32 v16, vcc, s22, v24
	v_addc_co_u32_e32 v17, vcc, v25, v31, vcc
	s_waitcnt vmcnt(7)
	ds_write2_b64 v30, v[20:21], v[18:19] offset0:160 offset1:176
	global_load_dwordx2 v[18:19], v[16:17], off
	v_mov_b32_e32 v20, s23
	v_add_co_u32_e32 v16, vcc, s22, v16
	v_addc_co_u32_e32 v17, vcc, v17, v20, vcc
	global_load_dwordx2 v[16:17], v[16:17], off
	s_mov_b64 s[22:23], 0
	s_waitcnt vmcnt(7)
	ds_write2_b64 v30, v[22:23], v[8:9] offset0:128 offset1:144
	s_waitcnt vmcnt(5)
	ds_write2_b64 v30, v[14:15], v[12:13] offset0:96 offset1:112
	;; [unrolled: 2-line block ×4, first 2 shown]
	s_waitcnt vmcnt(0)
	ds_write2_b64 v30, v[6:7], v[16:17] offset1:16
.LBB129_10:
	s_andn2_b64 vcc, exec, s[22:23]
	s_cbranch_vccnz .LBB129_12
; %bb.11:
	v_mov_b32_e32 v6, s26
	v_add_co_u32_e32 v2, vcc, s25, v2
	v_addc_co_u32_e32 v3, vcc, v6, v3, vcc
	s_lshl_b64 s[22:23], s[18:19], 3
	v_mov_b32_e32 v28, s23
	v_add_co_u32_e32 v6, vcc, s22, v2
	v_addc_co_u32_e32 v7, vcc, v3, v28, vcc
	global_load_dwordx2 v[8:9], v[2:3], off offset:128
	global_load_dwordx2 v[10:11], v[6:7], off offset:128
	v_add_co_u32_e32 v2, vcc, s22, v6
	v_addc_co_u32_e32 v3, vcc, v7, v28, vcc
	v_add_co_u32_e32 v6, vcc, s22, v2
	v_addc_co_u32_e32 v7, vcc, v3, v28, vcc
	global_load_dwordx2 v[12:13], v[2:3], off offset:128
	global_load_dwordx2 v[14:15], v[6:7], off offset:128
	v_add_co_u32_e32 v2, vcc, s22, v6
	v_addc_co_u32_e32 v3, vcc, v7, v28, vcc
	;; [unrolled: 6-line block ×3, first 2 shown]
	global_load_dwordx2 v[6:7], v[2:3], off offset:128
	v_add_co_u32_e32 v2, vcc, s22, v2
	v_addc_co_u32_e32 v3, vcc, v3, v28, vcc
	global_load_dwordx2 v[20:21], v[2:3], off offset:128
	v_add_co_u32_e32 v2, vcc, s22, v2
	v_addc_co_u32_e32 v3, vcc, v3, v28, vcc
	global_load_dwordx2 v[22:23], v[2:3], off offset:128
	v_add_co_u32_e32 v2, vcc, s22, v2
	v_addc_co_u32_e32 v3, vcc, v3, v28, vcc
	global_load_dwordx2 v[24:25], v[2:3], off offset:128
	v_add_co_u32_e32 v2, vcc, s22, v2
	v_addc_co_u32_e32 v3, vcc, v3, v28, vcc
	v_add_co_u32_e32 v26, vcc, s22, v2
	v_lshlrev_b32_e32 v29, 3, v1
	v_addc_co_u32_e32 v27, vcc, v3, v28, vcc
	global_load_dwordx2 v[2:3], v[2:3], off offset:128
	s_waitcnt vmcnt(9)
	ds_write2_b64 v29, v[8:9], v[10:11] offset1:16
	v_add_co_u32_e32 v10, vcc, s22, v26
	v_addc_co_u32_e32 v11, vcc, v27, v28, vcc
	global_load_dwordx2 v[8:9], v[26:27], off offset:128
	v_add_co_u32_e32 v26, vcc, s22, v10
	v_addc_co_u32_e32 v27, vcc, v11, v28, vcc
	s_waitcnt vmcnt(8)
	ds_write2_b64 v29, v[12:13], v[14:15] offset0:32 offset1:48
	v_add_co_u32_e32 v14, vcc, s22, v26
	v_addc_co_u32_e32 v15, vcc, v27, v28, vcc
	global_load_dwordx2 v[12:13], v[26:27], off offset:128
	v_add_co_u32_e32 v26, vcc, s22, v14
	v_addc_co_u32_e32 v27, vcc, v15, v28, vcc
	global_load_dwordx2 v[10:11], v[10:11], off offset:128
	s_nop 0
	global_load_dwordx2 v[14:15], v[14:15], off offset:128
	s_nop 0
	global_load_dwordx2 v[26:27], v[26:27], off offset:128
	s_waitcnt vmcnt(10)
	ds_write2_b64 v29, v[16:17], v[18:19] offset0:64 offset1:80
	s_waitcnt vmcnt(8)
	ds_write2_b64 v29, v[6:7], v[20:21] offset0:96 offset1:112
	;; [unrolled: 2-line block ×6, first 2 shown]
.LBB129_12:
	s_or_b64 exec, exec, s[20:21]
.LBB129_13:
	s_or_saveexec_b64 s[8:9], s[8:9]
	v_cndmask_b32_e64 v11, v4, v5, s[0:1]
	s_xor_b64 exec, exec, s[8:9]
	s_cbranch_execz .LBB129_80
; %bb.14:
	v_mov_b32_e32 v2, s28
	v_cndmask_b32_e64 v3, v2, 0, s[0:1]
	v_mov_b32_e32 v2, s27
	v_cndmask_b32_e64 v2, v2, 0, s[0:1]
	v_lshlrev_b64 v[3:4], 3, v[2:3]
	s_cmpk_eq_i32 s16, 0x7a
	s_mov_b64 s[20:21], -1
	s_cbranch_scc1 .LBB129_48
; %bb.15:
	v_mov_b32_e32 v2, 0
	v_mov_b32_e32 v5, s26
	v_add_co_u32_e32 v7, vcc, s25, v3
	v_addc_co_u32_e32 v8, vcc, v5, v4, vcc
	v_lshlrev_b64 v[5:6], 3, v[1:2]
	v_mov_b32_e32 v9, 0
	v_add_co_u32_e32 v5, vcc, v7, v5
	v_addc_co_u32_e32 v6, vcc, v8, v6, vcc
	v_mov_b32_e32 v7, 0
	v_mov_b32_e32 v8, 0
	v_mov_b32_e32 v10, 0
	v_cmp_gt_u32_e32 vcc, 16, v1
	s_and_saveexec_b64 s[20:21], vcc
	s_cbranch_execz .LBB129_17
; %bb.16:
	v_mov_b32_e32 v2, 0x78
	v_mad_i64_i32 v[9:10], s[22:23], s18, v2, v[5:6]
	global_load_dwordx2 v[9:10], v[9:10], off
.LBB129_17:
	s_or_b64 exec, exec, s[20:21]
	v_sub_u32_e32 v2, 0xffffff10, v1
	v_lshl_add_u32 v2, v2, 3, v11
	v_cmp_gt_u32_e32 vcc, 15, v1
	s_waitcnt vmcnt(0)
	ds_write_b64 v2, v[9:10] offset:2040
	s_and_saveexec_b64 s[20:21], vcc
	s_cbranch_execz .LBB129_19
; %bb.18:
	v_mov_b32_e32 v2, 0x70
	v_mad_i64_i32 v[7:8], s[22:23], s18, v2, v[5:6]
	global_load_dwordx2 v[7:8], v[7:8], off
.LBB129_19:
	s_or_b64 exec, exec, s[20:21]
	v_sub_u32_e32 v2, 0xffffff20, v1
	v_lshl_add_u32 v2, v2, 3, v11
	s_waitcnt vmcnt(0)
	ds_write_b64 v2, v[7:8] offset:2040
	v_mov_b32_e32 v7, 0
	v_mov_b32_e32 v9, 0
	v_mov_b32_e32 v8, 0
	v_mov_b32_e32 v10, 0
	v_cmp_gt_u32_e32 vcc, 14, v1
	s_and_saveexec_b64 s[20:21], vcc
	s_cbranch_execz .LBB129_21
; %bb.20:
	v_mov_b32_e32 v2, 0x68
	v_mad_i64_i32 v[9:10], s[22:23], s18, v2, v[5:6]
	global_load_dwordx2 v[9:10], v[9:10], off
.LBB129_21:
	s_or_b64 exec, exec, s[20:21]
	v_sub_u32_e32 v2, 0xffffff30, v1
	v_lshl_add_u32 v2, v2, 3, v11
	v_cmp_gt_u32_e32 vcc, 13, v1
	s_waitcnt vmcnt(0)
	ds_write_b64 v2, v[9:10] offset:2040
	s_and_saveexec_b64 s[20:21], vcc
	s_cbranch_execz .LBB129_23
; %bb.22:
	v_mov_b32_e32 v2, 0x60
	v_mad_i64_i32 v[7:8], s[22:23], s18, v2, v[5:6]
	global_load_dwordx2 v[7:8], v[7:8], off
.LBB129_23:
	s_or_b64 exec, exec, s[20:21]
	v_sub_u32_e32 v2, 0xffffff40, v1
	v_lshl_add_u32 v2, v2, 3, v11
	s_waitcnt vmcnt(0)
	ds_write_b64 v2, v[7:8] offset:2040
	v_mov_b32_e32 v7, 0
	;; [unrolled: 30-line block ×3, first 2 shown]
	v_mov_b32_e32 v9, 0
	v_mov_b32_e32 v8, 0
	;; [unrolled: 1-line block ×3, first 2 shown]
	v_cmp_gt_u32_e32 vcc, 10, v1
	s_and_saveexec_b64 s[20:21], vcc
	s_cbranch_execz .LBB129_29
; %bb.28:
	v_mov_b32_e32 v2, 0x48
	v_mad_i64_i32 v[9:10], s[22:23], s18, v2, v[5:6]
	global_load_dwordx2 v[9:10], v[9:10], off
.LBB129_29:
	s_or_b64 exec, exec, s[20:21]
	v_sub_u32_e32 v2, 0xffffff70, v1
	v_lshl_add_u32 v2, v2, 3, v11
	v_cmp_gt_u32_e32 vcc, 9, v1
	s_waitcnt vmcnt(0)
	ds_write_b64 v2, v[9:10] offset:2040
	s_and_saveexec_b64 s[20:21], vcc
	s_cbranch_execz .LBB129_31
; %bb.30:
	s_lshl_b64 s[22:23], s[18:19], 6
	v_mov_b32_e32 v2, s23
	v_add_co_u32_e32 v7, vcc, s22, v5
	v_addc_co_u32_e32 v8, vcc, v6, v2, vcc
	global_load_dwordx2 v[7:8], v[7:8], off
.LBB129_31:
	s_or_b64 exec, exec, s[20:21]
	v_sub_u32_e32 v2, 0xffffff80, v1
	v_lshl_add_u32 v2, v2, 3, v11
	s_waitcnt vmcnt(0)
	ds_write_b64 v2, v[7:8] offset:2040
	v_mov_b32_e32 v7, 0
	v_mov_b32_e32 v9, 0
	;; [unrolled: 1-line block ×4, first 2 shown]
	v_cmp_gt_u32_e32 vcc, 8, v1
	s_and_saveexec_b64 s[20:21], vcc
	s_cbranch_execz .LBB129_33
; %bb.32:
	v_mad_i64_i32 v[9:10], s[22:23], s18, 56, v[5:6]
	global_load_dwordx2 v[9:10], v[9:10], off
.LBB129_33:
	s_or_b64 exec, exec, s[20:21]
	v_sub_u32_e32 v2, 0xffffff90, v1
	v_lshl_add_u32 v2, v2, 3, v11
	v_cmp_gt_u32_e32 vcc, 7, v1
	s_waitcnt vmcnt(0)
	ds_write_b64 v2, v[9:10] offset:2040
	s_and_saveexec_b64 s[20:21], vcc
	s_cbranch_execz .LBB129_35
; %bb.34:
	v_mad_i64_i32 v[7:8], s[22:23], s18, 48, v[5:6]
	global_load_dwordx2 v[7:8], v[7:8], off
.LBB129_35:
	s_or_b64 exec, exec, s[20:21]
	v_sub_u32_e32 v2, 0xffffffa0, v1
	v_lshl_add_u32 v2, v2, 3, v11
	s_waitcnt vmcnt(0)
	ds_write_b64 v2, v[7:8] offset:2040
	v_mov_b32_e32 v7, 0
	v_mov_b32_e32 v9, 0
	;; [unrolled: 1-line block ×4, first 2 shown]
	v_cmp_gt_u32_e32 vcc, 6, v1
	s_and_saveexec_b64 s[20:21], vcc
	s_cbranch_execz .LBB129_37
; %bb.36:
	v_mad_i64_i32 v[9:10], s[22:23], s18, 40, v[5:6]
	global_load_dwordx2 v[9:10], v[9:10], off
.LBB129_37:
	s_or_b64 exec, exec, s[20:21]
	v_sub_u32_e32 v2, 0xffffffb0, v1
	v_lshl_add_u32 v2, v2, 3, v11
	v_cmp_gt_u32_e32 vcc, 5, v1
	s_waitcnt vmcnt(0)
	ds_write_b64 v2, v[9:10] offset:2040
	s_and_saveexec_b64 s[20:21], vcc
	s_cbranch_execz .LBB129_39
; %bb.38:
	s_lshl_b64 s[22:23], s[18:19], 5
	v_mov_b32_e32 v2, s23
	v_add_co_u32_e32 v7, vcc, s22, v5
	v_addc_co_u32_e32 v8, vcc, v6, v2, vcc
	global_load_dwordx2 v[7:8], v[7:8], off
.LBB129_39:
	s_or_b64 exec, exec, s[20:21]
	v_sub_u32_e32 v2, 0xffffffc0, v1
	v_lshl_add_u32 v2, v2, 3, v11
	s_waitcnt vmcnt(0)
	ds_write_b64 v2, v[7:8] offset:2040
	v_mov_b32_e32 v7, 0
	v_mov_b32_e32 v9, 0
	;; [unrolled: 1-line block ×4, first 2 shown]
	v_cmp_gt_u32_e32 vcc, 4, v1
	s_and_saveexec_b64 s[20:21], vcc
	s_cbranch_execz .LBB129_41
; %bb.40:
	v_mad_i64_i32 v[9:10], s[22:23], s18, 24, v[5:6]
	global_load_dwordx2 v[9:10], v[9:10], off
.LBB129_41:
	s_or_b64 exec, exec, s[20:21]
	v_sub_u32_e32 v2, 0xffffffd0, v1
	v_lshl_add_u32 v2, v2, 3, v11
	v_cmp_gt_u32_e32 vcc, 3, v1
	s_waitcnt vmcnt(0)
	ds_write_b64 v2, v[9:10] offset:2040
	s_and_saveexec_b64 s[20:21], vcc
	s_cbranch_execz .LBB129_43
; %bb.42:
	v_mov_b32_e32 v2, s5
	v_add_co_u32_e32 v7, vcc, s4, v5
	v_addc_co_u32_e32 v8, vcc, v6, v2, vcc
	global_load_dwordx2 v[7:8], v[7:8], off
.LBB129_43:
	s_or_b64 exec, exec, s[20:21]
	v_sub_u32_e32 v2, 0xffffffe0, v1
	v_lshl_add_u32 v2, v2, 3, v11
	s_waitcnt vmcnt(0)
	ds_write_b64 v2, v[7:8] offset:2040
	v_mov_b32_e32 v7, 0
	v_mov_b32_e32 v9, 0
	;; [unrolled: 1-line block ×4, first 2 shown]
	v_cmp_gt_u32_e32 vcc, 2, v1
	s_and_saveexec_b64 s[20:21], vcc
	s_cbranch_execz .LBB129_45
; %bb.44:
	s_lshl_b64 s[22:23], s[18:19], 3
	v_mov_b32_e32 v2, s23
	v_add_co_u32_e32 v9, vcc, s22, v5
	v_addc_co_u32_e32 v10, vcc, v6, v2, vcc
	global_load_dwordx2 v[9:10], v[9:10], off
.LBB129_45:
	s_or_b64 exec, exec, s[20:21]
	v_sub_u32_e32 v2, -16, v1
	v_lshl_add_u32 v2, v2, 3, v11
	v_cmp_eq_u32_e32 vcc, 0, v1
	s_waitcnt vmcnt(0)
	ds_write_b64 v2, v[9:10] offset:2040
	s_and_saveexec_b64 s[20:21], vcc
	s_cbranch_execz .LBB129_47
; %bb.46:
	global_load_dwordx2 v[7:8], v[5:6], off
.LBB129_47:
	s_or_b64 exec, exec, s[20:21]
	v_lshlrev_b32_e32 v2, 3, v1
	v_sub_u32_e32 v2, v11, v2
	s_mov_b64 s[20:21], 0
	s_waitcnt vmcnt(0)
	ds_write_b64 v2, v[7:8] offset:2040
.LBB129_48:
	s_and_b64 vcc, exec, s[20:21]
	s_cbranch_vccz .LBB129_80
; %bb.49:
	v_mov_b32_e32 v2, 0
	v_mov_b32_e32 v5, s26
	v_add_co_u32_e32 v6, vcc, s25, v3
	v_lshlrev_b64 v[2:3], 3, v[1:2]
	v_addc_co_u32_e32 v4, vcc, v5, v4, vcc
	v_add_co_u32_e32 v2, vcc, v6, v2
	v_addc_co_u32_e32 v3, vcc, v4, v3, vcc
	global_load_dwordx2 v[9:10], v[2:3], off
	v_mov_b32_e32 v4, 0
	v_mov_b32_e32 v6, 0
	v_lshl_add_u32 v8, v1, 3, v11
	v_mov_b32_e32 v5, 0
	v_mov_b32_e32 v7, 0
	v_cmp_ne_u32_e32 vcc, 0, v1
	s_waitcnt vmcnt(0)
	ds_write_b64 v8, v[9:10]
	s_and_saveexec_b64 s[20:21], vcc
	s_cbranch_execz .LBB129_51
; %bb.50:
	s_lshl_b64 s[22:23], s[18:19], 3
	v_mov_b32_e32 v7, s23
	v_add_co_u32_e32 v6, vcc, s22, v2
	v_addc_co_u32_e32 v7, vcc, v3, v7, vcc
	global_load_dwordx2 v[6:7], v[6:7], off
.LBB129_51:
	s_or_b64 exec, exec, s[20:21]
	v_cmp_lt_u32_e32 vcc, 1, v1
	s_waitcnt vmcnt(0)
	ds_write_b64 v8, v[6:7] offset:128
	s_and_saveexec_b64 s[20:21], vcc
	s_cbranch_execz .LBB129_53
; %bb.52:
	v_mov_b32_e32 v5, s5
	v_add_co_u32_e32 v4, vcc, s4, v2
	v_addc_co_u32_e32 v5, vcc, v3, v5, vcc
	global_load_dwordx2 v[4:5], v[4:5], off
.LBB129_53:
	s_or_b64 exec, exec, s[20:21]
	s_waitcnt vmcnt(0)
	ds_write_b64 v8, v[4:5] offset:256
	v_mov_b32_e32 v4, 0
	v_mov_b32_e32 v6, 0
	;; [unrolled: 1-line block ×4, first 2 shown]
	v_cmp_lt_u32_e32 vcc, 2, v1
	s_and_saveexec_b64 s[4:5], vcc
	s_cbranch_execz .LBB129_55
; %bb.54:
	v_mad_i64_i32 v[6:7], s[20:21], s18, 24, v[2:3]
	global_load_dwordx2 v[6:7], v[6:7], off
.LBB129_55:
	s_or_b64 exec, exec, s[4:5]
	v_cmp_lt_u32_e32 vcc, 3, v1
	s_waitcnt vmcnt(0)
	ds_write_b64 v8, v[6:7] offset:384
	s_and_saveexec_b64 s[4:5], vcc
	s_cbranch_execz .LBB129_57
; %bb.56:
	s_lshl_b64 s[20:21], s[18:19], 5
	v_mov_b32_e32 v5, s21
	v_add_co_u32_e32 v4, vcc, s20, v2
	v_addc_co_u32_e32 v5, vcc, v3, v5, vcc
	global_load_dwordx2 v[4:5], v[4:5], off
.LBB129_57:
	s_or_b64 exec, exec, s[4:5]
	s_waitcnt vmcnt(0)
	ds_write_b64 v8, v[4:5] offset:512
	v_mov_b32_e32 v4, 0
	v_mov_b32_e32 v6, 0
	;; [unrolled: 1-line block ×4, first 2 shown]
	v_cmp_lt_u32_e32 vcc, 4, v1
	s_and_saveexec_b64 s[4:5], vcc
	s_cbranch_execz .LBB129_59
; %bb.58:
	v_mad_i64_i32 v[6:7], s[20:21], s18, 40, v[2:3]
	global_load_dwordx2 v[6:7], v[6:7], off
.LBB129_59:
	s_or_b64 exec, exec, s[4:5]
	v_cmp_lt_u32_e32 vcc, 5, v1
	s_waitcnt vmcnt(0)
	ds_write_b64 v8, v[6:7] offset:640
	s_and_saveexec_b64 s[4:5], vcc
	s_cbranch_execz .LBB129_61
; %bb.60:
	v_mad_i64_i32 v[4:5], s[20:21], s18, 48, v[2:3]
	global_load_dwordx2 v[4:5], v[4:5], off
.LBB129_61:
	s_or_b64 exec, exec, s[4:5]
	s_waitcnt vmcnt(0)
	ds_write_b64 v8, v[4:5] offset:768
	v_mov_b32_e32 v4, 0
	v_mov_b32_e32 v6, 0
	;; [unrolled: 1-line block ×4, first 2 shown]
	v_cmp_lt_u32_e32 vcc, 6, v1
	s_and_saveexec_b64 s[4:5], vcc
	s_cbranch_execz .LBB129_63
; %bb.62:
	v_mad_i64_i32 v[6:7], s[20:21], s18, 56, v[2:3]
	global_load_dwordx2 v[6:7], v[6:7], off
.LBB129_63:
	s_or_b64 exec, exec, s[4:5]
	v_cmp_lt_u32_e32 vcc, 7, v1
	s_waitcnt vmcnt(0)
	ds_write_b64 v8, v[6:7] offset:896
	s_and_saveexec_b64 s[4:5], vcc
	s_cbranch_execz .LBB129_65
; %bb.64:
	s_lshl_b64 s[20:21], s[18:19], 6
	v_mov_b32_e32 v5, s21
	v_add_co_u32_e32 v4, vcc, s20, v2
	v_addc_co_u32_e32 v5, vcc, v3, v5, vcc
	global_load_dwordx2 v[4:5], v[4:5], off
.LBB129_65:
	s_or_b64 exec, exec, s[4:5]
	s_waitcnt vmcnt(0)
	ds_write_b64 v8, v[4:5] offset:1024
	v_mov_b32_e32 v4, 0
	v_mov_b32_e32 v6, 0
	v_mov_b32_e32 v5, 0
	v_mov_b32_e32 v7, 0
	v_cmp_lt_u32_e32 vcc, 8, v1
	s_and_saveexec_b64 s[4:5], vcc
	s_cbranch_execz .LBB129_67
; %bb.66:
	v_mov_b32_e32 v6, 0x48
	v_mad_i64_i32 v[6:7], s[20:21], s18, v6, v[2:3]
	global_load_dwordx2 v[6:7], v[6:7], off
.LBB129_67:
	s_or_b64 exec, exec, s[4:5]
	v_cmp_lt_u32_e32 vcc, 9, v1
	s_waitcnt vmcnt(0)
	ds_write_b64 v8, v[6:7] offset:1152
	s_and_saveexec_b64 s[4:5], vcc
	s_cbranch_execz .LBB129_69
; %bb.68:
	v_mov_b32_e32 v4, 0x50
	v_mad_i64_i32 v[4:5], s[20:21], s18, v4, v[2:3]
	global_load_dwordx2 v[4:5], v[4:5], off
.LBB129_69:
	s_or_b64 exec, exec, s[4:5]
	s_waitcnt vmcnt(0)
	ds_write_b64 v8, v[4:5] offset:1280
	v_mov_b32_e32 v4, 0
	v_mov_b32_e32 v6, 0
	v_mov_b32_e32 v5, 0
	v_mov_b32_e32 v7, 0
	v_cmp_lt_u32_e32 vcc, 10, v1
	s_and_saveexec_b64 s[4:5], vcc
	s_cbranch_execz .LBB129_71
; %bb.70:
	v_mov_b32_e32 v6, 0x58
	v_mad_i64_i32 v[6:7], s[20:21], s18, v6, v[2:3]
	global_load_dwordx2 v[6:7], v[6:7], off
.LBB129_71:
	s_or_b64 exec, exec, s[4:5]
	v_cmp_lt_u32_e32 vcc, 11, v1
	s_waitcnt vmcnt(0)
	ds_write_b64 v8, v[6:7] offset:1408
	s_and_saveexec_b64 s[4:5], vcc
	s_cbranch_execz .LBB129_73
; %bb.72:
	v_mov_b32_e32 v4, 0x60
	v_mad_i64_i32 v[4:5], s[20:21], s18, v4, v[2:3]
	global_load_dwordx2 v[4:5], v[4:5], off
.LBB129_73:
	;; [unrolled: 26-line block ×3, first 2 shown]
	s_or_b64 exec, exec, s[4:5]
	s_waitcnt vmcnt(0)
	ds_write_b64 v8, v[4:5] offset:1792
	v_mov_b32_e32 v4, 0
	v_mov_b32_e32 v5, 0
	v_cmp_lt_u32_e32 vcc, 14, v1
	s_and_saveexec_b64 s[4:5], vcc
	s_cbranch_execz .LBB129_79
; %bb.78:
	v_mov_b32_e32 v4, 0x78
	v_mad_i64_i32 v[2:3], s[18:19], s18, v4, v[2:3]
	global_load_dwordx2 v[4:5], v[2:3], off
.LBB129_79:
	s_or_b64 exec, exec, s[4:5]
	s_waitcnt vmcnt(0)
	ds_write_b64 v8, v[4:5] offset:1920
.LBB129_80:
	s_or_b64 exec, exec, s[8:9]
	s_waitcnt lgkmcnt(0)
	s_barrier
	s_and_saveexec_b64 s[4:5], s[2:3]
	s_cbranch_execz .LBB129_86
; %bb.81:
	v_mul_i32_i24_e32 v2, 0x88, v1
	v_mov_b32_e32 v4, 0
	s_cmpk_eq_i32 s17, 0x84
	v_mov_b32_e32 v5, 0x3ff00000
	v_add_u32_e32 v6, v11, v2
	s_cbranch_scc1 .LBB129_85
; %bb.82:
	ds_read_b64 v[2:3], v6
	v_mov_b32_e32 v4, 0
	v_mov_b32_e32 v5, 0x3ff00000
	s_waitcnt lgkmcnt(0)
	v_cmp_neq_f64_e32 vcc, 0, v[2:3]
	s_and_saveexec_b64 s[8:9], vcc
	s_cbranch_execz .LBB129_84
; %bb.83:
	v_div_scale_f64 v[4:5], s[18:19], v[2:3], v[2:3], 1.0
	v_div_scale_f64 v[12:13], vcc, 1.0, v[2:3], 1.0
	v_rcp_f64_e32 v[7:8], v[4:5]
	v_fma_f64 v[9:10], -v[4:5], v[7:8], 1.0
	v_fma_f64 v[7:8], v[7:8], v[9:10], v[7:8]
	v_fma_f64 v[9:10], -v[4:5], v[7:8], 1.0
	v_fma_f64 v[7:8], v[7:8], v[9:10], v[7:8]
	v_mul_f64 v[9:10], v[12:13], v[7:8]
	v_fma_f64 v[4:5], -v[4:5], v[9:10], v[12:13]
	v_div_fmas_f64 v[4:5], v[4:5], v[7:8], v[9:10]
	v_div_fixup_f64 v[4:5], v[4:5], v[2:3], 1.0
.LBB129_84:
	s_or_b64 exec, exec, s[8:9]
.LBB129_85:
	ds_write_b64 v6, v[4:5]
.LBB129_86:
	s_or_b64 exec, exec, s[4:5]
	s_waitcnt lgkmcnt(0)
	s_barrier
	s_and_saveexec_b64 s[4:5], s[2:3]
	s_cbranch_execz .LBB129_108
; %bb.87:
	v_lshl_add_u32 v4, v1, 3, v11
	v_mul_i32_i24_e32 v2, 0x88, v1
	v_add_u32_e32 v5, 0x80, v4
	v_add_u32_e32 v6, 8, v11
	;; [unrolled: 1-line block ×4, first 2 shown]
	s_mov_b32 s17, 0
	v_add_u32_e32 v9, v11, v2
	s_branch .LBB129_89
.LBB129_88:                             ;   in Loop: Header=BB129_89 Depth=1
	v_add_u32_e32 v5, 0x100, v5
	v_add_u32_e32 v6, 0x110, v6
	;; [unrolled: 1-line block ×3, first 2 shown]
	s_cmp_eq_u32 s17, 16
	v_add_u32_e32 v8, 0x100, v8
	s_cbranch_scc1 .LBB129_108
.LBB129_89:                             ; =>This Loop Header: Depth=1
                                        ;     Child Loop BB129_95 Depth 2
                                        ;     Child Loop BB129_104 Depth 2
	v_cmp_ge_i32_e32 vcc, s17, v1
                                        ; implicit-def: $sgpr18
	s_and_saveexec_b64 s[8:9], vcc
	s_xor_b64 s[8:9], exec, s[8:9]
; %bb.90:                               ;   in Loop: Header=BB129_89 Depth=1
	s_lshl_b32 s18, s17, 7
; %bb.91:                               ;   in Loop: Header=BB129_89 Depth=1
	s_or_saveexec_b64 s[8:9], s[8:9]
	v_mov_b32_e32 v2, 0
	v_mov_b32_e32 v3, 0
	;; [unrolled: 1-line block ×3, first 2 shown]
	s_xor_b64 exec, exec, s[8:9]
	s_cbranch_execz .LBB129_93
; %bb.92:                               ;   in Loop: Header=BB129_89 Depth=1
	s_mul_i32 s18, s17, 0x88
	v_add_u32_e32 v10, s18, v11
	s_lshl_b32 s18, s17, 7
	v_add_u32_e32 v2, s18, v4
	ds_read_b64 v[2:3], v2
	ds_read_b64 v[12:13], v10
	v_mov_b32_e32 v10, s18
	s_waitcnt lgkmcnt(0)
	v_fma_f64 v[2:3], v[2:3], v[12:13], 0
.LBB129_93:                             ;   in Loop: Header=BB129_89 Depth=1
	s_or_b64 exec, exec, s[8:9]
	s_or_b32 s18, s17, 1
	v_add_u32_e32 v10, v4, v10
	v_mov_b32_e32 v12, v6
	v_mov_b32_e32 v13, v5
	s_mov_b32 s19, s18
	s_branch .LBB129_95
.LBB129_94:                             ;   in Loop: Header=BB129_95 Depth=2
	s_or_b64 exec, exec, s[8:9]
	s_add_i32 s19, s19, 1
	v_add_u32_e32 v13, 0x80, v13
	s_cmp_eq_u32 s19, 16
	v_add_u32_e32 v12, 8, v12
	s_cbranch_scc1 .LBB129_99
.LBB129_95:                             ;   Parent Loop BB129_89 Depth=1
                                        ; =>  This Inner Loop Header: Depth=2
	v_cmp_eq_u32_e32 vcc, s19, v1
	s_and_saveexec_b64 s[8:9], vcc
	s_cbranch_execz .LBB129_97
; %bb.96:                               ;   in Loop: Header=BB129_95 Depth=2
	v_add_f64 v[14:15], -v[2:3], 0
	ds_read_b64 v[16:17], v9
	s_waitcnt lgkmcnt(0)
	v_mul_f64 v[14:15], v[14:15], v[16:17]
	ds_write_b64 v10, v[14:15]
.LBB129_97:                             ;   in Loop: Header=BB129_95 Depth=2
	s_or_b64 exec, exec, s[8:9]
	v_cmp_lt_i32_e32 vcc, s19, v1
	s_and_saveexec_b64 s[8:9], vcc
	s_cbranch_execz .LBB129_94
; %bb.98:                               ;   in Loop: Header=BB129_95 Depth=2
	ds_read_b64 v[14:15], v13
	ds_read_b64 v[16:17], v12
	s_waitcnt lgkmcnt(0)
	v_fma_f64 v[2:3], v[14:15], v[16:17], v[2:3]
	s_branch .LBB129_94
.LBB129_99:                             ;   in Loop: Header=BB129_89 Depth=1
	v_mov_b32_e32 v2, 0
	v_mov_b32_e32 v3, 0
	v_cmp_lt_i32_e32 vcc, s18, v1
	s_and_saveexec_b64 s[8:9], vcc
	s_cbranch_execz .LBB129_101
; %bb.100:                              ;   in Loop: Header=BB129_89 Depth=1
	s_mul_i32 s19, s18, 0x88
	v_lshl_add_u32 v2, s18, 7, v4
	v_add_u32_e32 v10, s19, v11
	ds_read_b64 v[2:3], v2
	ds_read_b64 v[12:13], v10
	s_waitcnt lgkmcnt(0)
	v_fma_f64 v[2:3], v[2:3], v[12:13], 0
.LBB129_101:                            ;   in Loop: Header=BB129_89 Depth=1
	s_or_b64 exec, exec, s[8:9]
	s_add_i32 s17, s17, 2
	s_cmp_gt_u32 s18, 14
	s_cbranch_scc1 .LBB129_88
; %bb.102:                              ;   in Loop: Header=BB129_89 Depth=1
	s_lshl_b32 s8, s18, 7
	v_add_u32_e32 v10, s8, v4
	v_mov_b32_e32 v12, v8
	v_mov_b32_e32 v13, v7
	s_mov_b32 s18, s17
	s_branch .LBB129_104
.LBB129_103:                            ;   in Loop: Header=BB129_104 Depth=2
	s_or_b64 exec, exec, s[8:9]
	s_add_i32 s18, s18, 1
	v_add_u32_e32 v13, 8, v13
	s_cmp_lg_u32 s18, 16
	v_add_u32_e32 v12, 0x80, v12
	s_cbranch_scc0 .LBB129_88
.LBB129_104:                            ;   Parent Loop BB129_89 Depth=1
                                        ; =>  This Inner Loop Header: Depth=2
	v_cmp_eq_u32_e32 vcc, s18, v1
	s_and_saveexec_b64 s[8:9], vcc
	s_cbranch_execz .LBB129_106
; %bb.105:                              ;   in Loop: Header=BB129_104 Depth=2
	v_add_f64 v[14:15], -v[2:3], 0
	ds_read_b64 v[16:17], v9
	s_waitcnt lgkmcnt(0)
	v_mul_f64 v[14:15], v[14:15], v[16:17]
	ds_write_b64 v10, v[14:15]
.LBB129_106:                            ;   in Loop: Header=BB129_104 Depth=2
	s_or_b64 exec, exec, s[8:9]
	v_cmp_lt_i32_e32 vcc, s18, v1
	s_and_saveexec_b64 s[8:9], vcc
	s_cbranch_execz .LBB129_103
; %bb.107:                              ;   in Loop: Header=BB129_104 Depth=2
	ds_read_b64 v[14:15], v12
	ds_read_b64 v[16:17], v13
	s_waitcnt lgkmcnt(0)
	v_fma_f64 v[2:3], v[14:15], v[16:17], v[2:3]
	s_branch .LBB129_103
.LBB129_108:
	s_or_b64 exec, exec, s[4:5]
	s_cmpk_lg_i32 s16, 0x7a
	s_cselect_b64 s[8:9], -1, 0
	s_movk_i32 s4, 0x100
	v_and_b32_e32 v4, 15, v0
	v_lshrrev_b32_e32 v5, 4, v0
	v_cmp_gt_u32_e64 s[4:5], s4, v0
	s_and_b64 vcc, exec, s[8:9]
	s_waitcnt lgkmcnt(0)
	s_barrier
	s_cbranch_vccz .LBB129_113
; %bb.109:
	s_mov_b64 s[18:19], 0
	s_mov_b64 s[16:17], 0
                                        ; implicit-def: $vgpr2_vgpr3
	s_and_saveexec_b64 s[20:21], s[4:5]
	s_cbranch_execz .LBB129_114
; %bb.110:
	s_movk_i32 s16, 0xf0
	v_bfi_b32 v2, v0, 0, s16
	v_mov_b32_e32 v3, 0x1878
	v_lshl_or_b32 v8, v2, 3, v3
	v_mov_b32_e32 v2, 0
	v_lshlrev_b32_e32 v6, 3, v4
	v_add_u32_e32 v7, 1, v5
	v_mov_b32_e32 v3, 0
	s_mov_b64 s[16:17], 0
.LBB129_111:                            ; =>This Inner Loop Header: Depth=1
	ds_read_b64 v[9:10], v6
	ds_read_b64 v[12:13], v8
	v_add_u32_e32 v7, -1, v7
	v_cmp_eq_u32_e32 vcc, 0, v7
	v_add_u32_e32 v8, -8, v8
	s_or_b64 s[16:17], vcc, s[16:17]
	s_waitcnt lgkmcnt(0)
	v_fma_f64 v[2:3], v[9:10], v[12:13], v[2:3]
	v_add_u32_e32 v6, 0x80, v6
	s_andn2_b64 exec, exec, s[16:17]
	s_cbranch_execnz .LBB129_111
; %bb.112:
	s_or_b64 exec, exec, s[16:17]
	s_mov_b64 s[16:17], exec
	s_or_b64 exec, exec, s[20:21]
	s_and_b64 vcc, exec, s[18:19]
	s_cbranch_vccnz .LBB129_115
	s_branch .LBB129_120
.LBB129_113:
	s_mov_b64 s[16:17], 0
                                        ; implicit-def: $vgpr2_vgpr3
	s_cbranch_execnz .LBB129_115
	s_branch .LBB129_120
.LBB129_114:
	s_or_b64 exec, exec, s[20:21]
	s_and_b64 vcc, exec, s[18:19]
	s_cbranch_vccz .LBB129_120
.LBB129_115:
                                        ; implicit-def: $vgpr2_vgpr3
	s_and_saveexec_b64 s[18:19], s[4:5]
	s_cbranch_execz .LBB129_119
; %bb.116:
	v_lshlrev_b32_e32 v2, 3, v0
	v_and_b32_e32 v2, 0x780, v2
	v_lshlrev_b32_e32 v3, 3, v5
	s_movk_i32 s20, 0x1000
	v_or3_b32 v7, v2, v3, s20
	v_lshlrev_b32_e32 v2, 3, v4
	v_lshl_or_b32 v8, v5, 7, v2
	v_mov_b32_e32 v2, 0
	v_add_u32_e32 v6, -1, v5
	v_mov_b32_e32 v3, 0
	s_mov_b64 s[20:21], 0
.LBB129_117:                            ; =>This Inner Loop Header: Depth=1
	ds_read_b64 v[9:10], v8
	ds_read_b64 v[12:13], v7
	v_add_u32_e32 v6, 1, v6
	v_cmp_lt_u32_e32 vcc, 14, v6
	v_add_u32_e32 v7, 8, v7
	s_or_b64 s[20:21], vcc, s[20:21]
	s_waitcnt lgkmcnt(0)
	v_fma_f64 v[2:3], v[9:10], v[12:13], v[2:3]
	v_add_u32_e32 v8, 0x80, v8
	s_andn2_b64 exec, exec, s[20:21]
	s_cbranch_execnz .LBB129_117
; %bb.118:
	s_or_b64 exec, exec, s[20:21]
	s_or_b64 s[16:17], s[16:17], exec
.LBB129_119:
	s_or_b64 exec, exec, s[18:19]
.LBB129_120:
	s_and_saveexec_b64 s[18:19], s[16:17]
; %bb.121:
	v_lshlrev_b32_e32 v6, 3, v0
	ds_write_b64 v6, v[2:3] offset:2048
; %bb.122:
	s_or_b64 exec, exec, s[18:19]
	s_bfe_u32 s16, s6, 0x1d0002
	s_mul_i32 s6, s15, s7
	s_mul_hi_u32 s15, s14, s7
	s_add_i32 s15, s15, s6
	s_mul_i32 s14, s14, s7
	s_and_b32 s18, s24, 6
	s_lshl_b64 s[6:7], s[14:15], 3
	s_mov_b32 s17, 0
	s_add_u32 s10, s10, s6
	s_addc_u32 s11, s11, s7
	s_lshl_b64 s[6:7], s[16:17], 17
	s_add_u32 s6, s10, s6
	s_addc_u32 s7, s11, s7
	s_mulk_i32 s18, 0x4080
	s_add_u32 s10, s6, s18
	s_addc_u32 s11, s7, 0
	s_lshl_b64 s[6:7], s[12:13], 3
	s_add_u32 s14, s10, s6
	s_addc_u32 s15, s11, s7
	s_and_b64 vcc, exec, s[8:9]
	s_waitcnt lgkmcnt(0)
	s_barrier
	s_cbranch_vccz .LBB129_128
; %bb.123:
	s_mov_b64 s[10:11], 0
	s_mov_b64 s[6:7], 0
                                        ; implicit-def: $vgpr2_vgpr3
	s_and_saveexec_b64 s[12:13], s[4:5]
	s_cbranch_execz .LBB129_127
; %bb.124:
	v_lshlrev_b32_e32 v3, 3, v0
	v_xor_b32_e32 v2, 15, v4
	v_and_b32_e32 v3, 0x780, v3
	v_lshlrev_b32_e32 v7, 3, v4
	s_movk_i32 s6, 0x800
	v_or3_b32 v7, v3, v7, s6
	v_lshlrev_b32_e32 v2, 3, v2
	v_lshlrev_b32_e32 v3, 7, v4
	v_sub_u32_e32 v2, v2, v3
	v_add_u32_e32 v8, 0x1780, v2
	v_mov_b32_e32 v2, 0
	v_add_u32_e32 v6, -1, v4
	v_mov_b32_e32 v3, 0
	s_mov_b64 s[6:7], 0
.LBB129_125:                            ; =>This Inner Loop Header: Depth=1
	ds_read_b64 v[9:10], v8
	ds_read_b64 v[12:13], v7
	v_add_u32_e32 v6, 1, v6
	v_cmp_lt_u32_e32 vcc, 14, v6
	v_add_u32_e32 v7, 8, v7
	s_or_b64 s[6:7], vcc, s[6:7]
	s_waitcnt lgkmcnt(0)
	v_fma_f64 v[2:3], -v[9:10], v[12:13], v[2:3]
	v_add_u32_e32 v8, 0xffffff80, v8
	s_andn2_b64 exec, exec, s[6:7]
	s_cbranch_execnz .LBB129_125
; %bb.126:
	s_or_b64 exec, exec, s[6:7]
	s_mov_b64 s[6:7], exec
.LBB129_127:
	s_or_b64 exec, exec, s[12:13]
	s_mov_b64 s[12:13], 0x4000
	s_and_b64 vcc, exec, s[10:11]
	s_cbranch_vccnz .LBB129_129
	s_branch .LBB129_134
.LBB129_128:
	s_mov_b64 s[6:7], 0
                                        ; implicit-def: $vgpr2_vgpr3
	s_mov_b64 s[12:13], 0x4000
	s_cbranch_execz .LBB129_134
.LBB129_129:
                                        ; implicit-def: $vgpr2_vgpr3
	s_and_saveexec_b64 s[10:11], s[4:5]
	s_cbranch_execz .LBB129_133
; %bb.130:
	v_mov_b32_e32 v2, 0x1800
	v_lshl_or_b32 v6, v4, 3, v2
	v_and_b32_e32 v0, 0xf0, v0
	v_mov_b32_e32 v2, 0x800
	v_lshl_or_b32 v0, v0, 3, v2
	v_mov_b32_e32 v2, 0
	v_add_u32_e32 v7, 1, v4
	v_mov_b32_e32 v3, 0
	s_mov_b64 s[4:5], 0
.LBB129_131:                            ; =>This Inner Loop Header: Depth=1
	ds_read_b64 v[8:9], v6
	ds_read_b64 v[12:13], v0
	v_add_u32_e32 v7, -1, v7
	v_cmp_eq_u32_e32 vcc, 0, v7
	v_add_u32_e32 v0, 8, v0
	s_or_b64 s[4:5], vcc, s[4:5]
	s_waitcnt lgkmcnt(0)
	v_fma_f64 v[2:3], -v[8:9], v[12:13], v[2:3]
	v_add_u32_e32 v6, 0x80, v6
	s_andn2_b64 exec, exec, s[4:5]
	s_cbranch_execnz .LBB129_131
; %bb.132:
	s_or_b64 exec, exec, s[4:5]
	s_or_b64 s[6:7], s[6:7], exec
.LBB129_133:
	s_or_b64 exec, exec, s[10:11]
	s_mov_b64 s[12:13], 0x80
.LBB129_134:
	s_and_saveexec_b64 s[4:5], s[6:7]
	s_cbranch_execnz .LBB129_136
; %bb.135:
	s_or_b64 exec, exec, s[4:5]
	s_and_saveexec_b64 s[4:5], s[2:3]
	s_cbranch_execnz .LBB129_137
	s_branch .LBB129_146
.LBB129_136:
	v_lshlrev_b32_e32 v0, 3, v4
	v_lshl_or_b32 v0, v5, 10, v0
	v_mov_b32_e32 v4, s15
	v_add_co_u32_e32 v0, vcc, s14, v0
	v_addc_co_u32_e32 v5, vcc, 0, v4, vcc
	v_mov_b32_e32 v6, s13
	v_add_co_u32_e32 v4, vcc, s12, v0
	v_addc_co_u32_e32 v5, vcc, v5, v6, vcc
	global_store_dwordx2 v[4:5], v[2:3], off
	s_or_b64 exec, exec, s[4:5]
	s_and_saveexec_b64 s[4:5], s[2:3]
	s_cbranch_execz .LBB129_146
.LBB129_137:
	v_mov_b32_e32 v0, 0x810
	v_cndmask_b32_e64 v0, v0, 0, s[0:1]
	s_andn2_b64 vcc, exec, s[8:9]
	s_mov_b64 s[0:1], -1
	s_cbranch_vccnz .LBB129_142
; %bb.138:
	s_mov_b32 s0, 16
	v_cmp_gt_i32_e32 vcc, 16, v1
	s_and_saveexec_b64 s[2:3], vcc
	s_cbranch_execz .LBB129_141
; %bb.139:
	v_mov_b32_e32 v2, 0
	v_lshlrev_b32_e32 v3, 3, v0
	v_mov_b32_e32 v4, s15
	v_add_co_u32_e32 v5, vcc, s14, v3
	v_lshlrev_b64 v[2:3], 3, v[1:2]
	v_addc_co_u32_e32 v4, vcc, 0, v4, vcc
	v_add_co_u32_e32 v2, vcc, v5, v2
	v_addc_co_u32_e32 v3, vcc, v4, v3, vcc
	v_lshlrev_b32_e32 v4, 3, v1
	v_sub_u32_e32 v4, v11, v4
	v_add_u32_e32 v4, 0x78, v4
	s_mov_b64 s[4:5], 0
	s_mov_b32 s1, 0
.LBB129_140:                            ; =>This Inner Loop Header: Depth=1
	ds_read_b64 v[5:6], v4
	s_add_i32 s0, s0, -1
	s_lshl_b64 s[6:7], s[0:1], 10
	v_cmp_le_i32_e32 vcc, s0, v1
	v_mov_b32_e32 v8, s7
	s_or_b64 s[4:5], vcc, s[4:5]
	v_add_co_u32_e32 v7, vcc, s6, v2
	v_add_u32_e32 v4, 0x80, v4
	v_addc_co_u32_e32 v8, vcc, v3, v8, vcc
	s_waitcnt lgkmcnt(0)
	global_store_dwordx2 v[7:8], v[5:6], off
	s_andn2_b64 exec, exec, s[4:5]
	s_cbranch_execnz .LBB129_140
.LBB129_141:
	s_or_b64 exec, exec, s[2:3]
	s_mov_b64 s[0:1], 0
.LBB129_142:
	s_andn2_b64 vcc, exec, s[0:1]
	s_cbranch_vccnz .LBB129_146
; %bb.143:
	v_cmp_lt_i32_e32 vcc, -1, v1
	s_and_b64 exec, exec, vcc
	s_cbranch_execz .LBB129_146
; %bb.144:
	v_lshlrev_b32_e32 v0, 3, v0
	v_mov_b32_e32 v2, 0
	v_mov_b32_e32 v3, s15
	v_add_co_u32_e32 v0, vcc, s14, v0
	v_addc_co_u32_e32 v5, vcc, 0, v3, vcc
	v_lshlrev_b64 v[2:3], 3, v[1:2]
	v_lshl_add_u32 v4, v1, 3, v11
	v_add_co_u32_e32 v2, vcc, v0, v2
	v_addc_co_u32_e32 v3, vcc, v5, v3, vcc
	v_add_u32_e32 v0, 1, v1
	s_mov_b64 s[0:1], 0
.LBB129_145:                            ; =>This Inner Loop Header: Depth=1
	ds_read_b64 v[5:6], v4
	v_add_u32_e32 v0, -1, v0
	v_cmp_eq_u32_e32 vcc, 0, v0
	s_or_b64 s[0:1], vcc, s[0:1]
	v_add_u32_e32 v4, 0x80, v4
	s_waitcnt lgkmcnt(0)
	global_store_dwordx2 v[2:3], v[5:6], off
	v_add_co_u32_e32 v2, vcc, 0x400, v2
	v_addc_co_u32_e32 v3, vcc, 0, v3, vcc
	s_andn2_b64 exec, exec, s[0:1]
	s_cbranch_execnz .LBB129_145
.LBB129_146:
	s_endpgm
	.section	.rodata,"a",@progbits
	.p2align	6, 0x0
	.amdhsa_kernel _ZL25rocblas_trtri_trsm_kernelILi128ELi16ELi8EdPKdPdEv13rocblas_fill_17rocblas_diagonal_T3_lilT4_lli
		.amdhsa_group_segment_fixed_size 8192
		.amdhsa_private_segment_fixed_size 0
		.amdhsa_kernarg_size 68
		.amdhsa_user_sgpr_count 6
		.amdhsa_user_sgpr_private_segment_buffer 1
		.amdhsa_user_sgpr_dispatch_ptr 0
		.amdhsa_user_sgpr_queue_ptr 0
		.amdhsa_user_sgpr_kernarg_segment_ptr 1
		.amdhsa_user_sgpr_dispatch_id 0
		.amdhsa_user_sgpr_flat_scratch_init 0
		.amdhsa_user_sgpr_private_segment_size 0
		.amdhsa_uses_dynamic_stack 0
		.amdhsa_system_sgpr_private_segment_wavefront_offset 0
		.amdhsa_system_sgpr_workgroup_id_x 1
		.amdhsa_system_sgpr_workgroup_id_y 0
		.amdhsa_system_sgpr_workgroup_id_z 1
		.amdhsa_system_sgpr_workgroup_info 0
		.amdhsa_system_vgpr_workitem_id 0
		.amdhsa_next_free_vgpr 32
		.amdhsa_next_free_sgpr 61
		.amdhsa_reserve_vcc 1
		.amdhsa_reserve_flat_scratch 0
		.amdhsa_float_round_mode_32 0
		.amdhsa_float_round_mode_16_64 0
		.amdhsa_float_denorm_mode_32 3
		.amdhsa_float_denorm_mode_16_64 3
		.amdhsa_dx10_clamp 1
		.amdhsa_ieee_mode 1
		.amdhsa_fp16_overflow 0
		.amdhsa_exception_fp_ieee_invalid_op 0
		.amdhsa_exception_fp_denorm_src 0
		.amdhsa_exception_fp_ieee_div_zero 0
		.amdhsa_exception_fp_ieee_overflow 0
		.amdhsa_exception_fp_ieee_underflow 0
		.amdhsa_exception_fp_ieee_inexact 0
		.amdhsa_exception_int_div_zero 0
	.end_amdhsa_kernel
	.section	.text._ZL25rocblas_trtri_trsm_kernelILi128ELi16ELi8EdPKdPdEv13rocblas_fill_17rocblas_diagonal_T3_lilT4_lli,"axG",@progbits,_ZL25rocblas_trtri_trsm_kernelILi128ELi16ELi8EdPKdPdEv13rocblas_fill_17rocblas_diagonal_T3_lilT4_lli,comdat
.Lfunc_end129:
	.size	_ZL25rocblas_trtri_trsm_kernelILi128ELi16ELi8EdPKdPdEv13rocblas_fill_17rocblas_diagonal_T3_lilT4_lli, .Lfunc_end129-_ZL25rocblas_trtri_trsm_kernelILi128ELi16ELi8EdPKdPdEv13rocblas_fill_17rocblas_diagonal_T3_lilT4_lli
                                        ; -- End function
	.set _ZL25rocblas_trtri_trsm_kernelILi128ELi16ELi8EdPKdPdEv13rocblas_fill_17rocblas_diagonal_T3_lilT4_lli.num_vgpr, 32
	.set _ZL25rocblas_trtri_trsm_kernelILi128ELi16ELi8EdPKdPdEv13rocblas_fill_17rocblas_diagonal_T3_lilT4_lli.num_agpr, 0
	.set _ZL25rocblas_trtri_trsm_kernelILi128ELi16ELi8EdPKdPdEv13rocblas_fill_17rocblas_diagonal_T3_lilT4_lli.numbered_sgpr, 32
	.set _ZL25rocblas_trtri_trsm_kernelILi128ELi16ELi8EdPKdPdEv13rocblas_fill_17rocblas_diagonal_T3_lilT4_lli.num_named_barrier, 0
	.set _ZL25rocblas_trtri_trsm_kernelILi128ELi16ELi8EdPKdPdEv13rocblas_fill_17rocblas_diagonal_T3_lilT4_lli.private_seg_size, 0
	.set _ZL25rocblas_trtri_trsm_kernelILi128ELi16ELi8EdPKdPdEv13rocblas_fill_17rocblas_diagonal_T3_lilT4_lli.uses_vcc, 1
	.set _ZL25rocblas_trtri_trsm_kernelILi128ELi16ELi8EdPKdPdEv13rocblas_fill_17rocblas_diagonal_T3_lilT4_lli.uses_flat_scratch, 0
	.set _ZL25rocblas_trtri_trsm_kernelILi128ELi16ELi8EdPKdPdEv13rocblas_fill_17rocblas_diagonal_T3_lilT4_lli.has_dyn_sized_stack, 0
	.set _ZL25rocblas_trtri_trsm_kernelILi128ELi16ELi8EdPKdPdEv13rocblas_fill_17rocblas_diagonal_T3_lilT4_lli.has_recursion, 0
	.set _ZL25rocblas_trtri_trsm_kernelILi128ELi16ELi8EdPKdPdEv13rocblas_fill_17rocblas_diagonal_T3_lilT4_lli.has_indirect_call, 0
	.section	.AMDGPU.csdata,"",@progbits
; Kernel info:
; codeLenInByte = 5276
; TotalNumSgprs: 36
; NumVgprs: 32
; ScratchSize: 0
; MemoryBound: 0
; FloatMode: 240
; IeeeMode: 1
; LDSByteSize: 8192 bytes/workgroup (compile time only)
; SGPRBlocks: 8
; VGPRBlocks: 7
; NumSGPRsForWavesPerEU: 65
; NumVGPRsForWavesPerEU: 32
; Occupancy: 8
; WaveLimiterHint : 0
; COMPUTE_PGM_RSRC2:SCRATCH_EN: 0
; COMPUTE_PGM_RSRC2:USER_SGPR: 6
; COMPUTE_PGM_RSRC2:TRAP_HANDLER: 0
; COMPUTE_PGM_RSRC2:TGID_X_EN: 1
; COMPUTE_PGM_RSRC2:TGID_Y_EN: 0
; COMPUTE_PGM_RSRC2:TGID_Z_EN: 1
; COMPUTE_PGM_RSRC2:TIDIG_COMP_CNT: 0
	.section	.text._ZL18rocblas_trtri_fillILi128EdPdEvP15_rocblas_handle13rocblas_fill_ililT1_llii,"axG",@progbits,_ZL18rocblas_trtri_fillILi128EdPdEvP15_rocblas_handle13rocblas_fill_ililT1_llii,comdat
	.globl	_ZL18rocblas_trtri_fillILi128EdPdEvP15_rocblas_handle13rocblas_fill_ililT1_llii ; -- Begin function _ZL18rocblas_trtri_fillILi128EdPdEvP15_rocblas_handle13rocblas_fill_ililT1_llii
	.p2align	8
	.type	_ZL18rocblas_trtri_fillILi128EdPdEvP15_rocblas_handle13rocblas_fill_ililT1_llii,@function
_ZL18rocblas_trtri_fillILi128EdPdEvP15_rocblas_handle13rocblas_fill_ililT1_llii: ; @_ZL18rocblas_trtri_fillILi128EdPdEvP15_rocblas_handle13rocblas_fill_ililT1_llii
; %bb.0:
	s_load_dword s1, s[4:5], 0x40
	s_load_dwordx2 s[2:3], s[4:5], 0x10
	s_mov_b32 s0, s6
	s_waitcnt lgkmcnt(0)
	s_ashr_i32 s6, s1, 31
	s_mul_hi_u32 s8, s2, s1
	s_mul_i32 s6, s2, s6
	s_add_i32 s6, s8, s6
	s_mul_i32 s8, s3, s1
	s_mul_i32 s16, s2, s1
	s_mov_b32 s1, 0
	s_lshl_b64 s[0:1], s[0:1], 7
	s_add_i32 s17, s6, s8
	v_or_b32_e32 v0, s0, v0
	v_mov_b32_e32 v1, s1
	v_cmp_gt_u64_e32 vcc, s[16:17], v[0:1]
	s_and_saveexec_b64 s[0:1], vcc
	s_cbranch_execz .LBB130_14
; %bb.1:
	s_load_dword s18, s[4:5], 0x18
	s_load_dwordx8 s[8:15], s[4:5], 0x20
	s_load_dwordx2 s[20:21], s[4:5], 0x8
	v_cvt_f32_u32_e32 v5, s2
	v_cvt_f32_u32_e32 v6, s3
	s_waitcnt lgkmcnt(0)
	s_ashr_i32 s19, s18, 31
	s_mul_i32 s0, s15, s7
	s_mul_hi_u32 s1, s14, s7
	v_mac_f32_e32 v5, 0x4f800000, v6
	s_add_i32 s1, s1, s0
	s_mul_i32 s0, s14, s7
	v_rcp_f32_e32 v5, v5
	s_lshl_b64 s[0:1], s[0:1], 3
	s_add_u32 s6, s10, s0
	s_addc_u32 s7, s11, s1
	s_lshl_b64 s[0:1], s[12:13], 3
	s_add_u32 s22, s6, s0
	v_mul_f32_e32 v5, 0x5f7ffffc, v5
	s_addc_u32 s23, s7, s1
	s_add_i32 s0, s21, -2
	s_load_dword s6, s[4:5], 0x48
	s_load_dword s7, s[4:5], 0x54
	v_mul_f32_e32 v6, 0x2f800000, v5
	v_cvt_f64_i32_e32 v[2:3], s0
	s_add_i32 s0, s21, -1
	v_trunc_f32_e32 v6, v6
	s_mul_hi_i32 s1, s0, s21
	s_mul_i32 s0, s0, s21
	v_mac_f32_e32 v5, 0xcf800000, v6
	s_ashr_i32 s24, s21, 31
	s_lshl_b64 s[4:5], s[0:1], 2
	v_cvt_u32_f32_e32 v11, v5
	v_cvt_u32_f32_e32 v12, v6
	s_mov_b32 s25, s21
	s_add_u32 s21, s4, -7
	s_addc_u32 s26, s5, -1
	s_lshr_b64 s[4:5], s[0:1], 1
	s_waitcnt lgkmcnt(0)
	s_and_b32 s0, s7, 0xffff
	s_mov_b32 s10, 0
	s_mov_b32 s12, 0
	s_mul_hi_u32 s27, s0, s6
	s_mul_i32 s28, s0, s6
	s_mov_b64 s[6:7], 0
	v_mov_b32_e32 v4, 0
	s_brev_b32 s11, 8
	v_mov_b32_e32 v10, 0x260
	s_movk_i32 s29, 0xffe0
	s_mov_b32 s13, 0xc1f00000
	v_mov_b32_e32 v13, 0x100
	v_mov_b32_e32 v14, 0xffffff80
	s_branch .LBB130_3
.LBB130_2:                              ;   in Loop: Header=BB130_3 Depth=1
	v_mov_b32_e32 v5, s27
	v_add_co_u32_e32 v0, vcc, s28, v0
	v_addc_co_u32_e32 v1, vcc, v1, v5, vcc
	v_cmp_le_u64_e32 vcc, s[16:17], v[0:1]
	s_or_b64 s[6:7], vcc, s[6:7]
	s_andn2_b64 exec, exec, s[6:7]
	s_cbranch_execz .LBB130_14
.LBB130_3:                              ; =>This Inner Loop Header: Depth=1
	v_or_b32_e32 v5, s3, v1
	v_cmp_ne_u64_e32 vcc, 0, v[4:5]
                                        ; implicit-def: $vgpr6_vgpr7
	s_and_saveexec_b64 s[0:1], vcc
	s_xor_b64 s[14:15], exec, s[0:1]
	s_cbranch_execz .LBB130_5
; %bb.4:                                ;   in Loop: Header=BB130_3 Depth=1
	s_sub_u32 s30, 0, s2
	v_readfirstlane_b32 s0, v11
	v_readfirstlane_b32 s34, v12
	s_subb_u32 s31, 0, s3
	s_mul_hi_u32 s33, s30, s0
	s_mul_i32 s35, s30, s34
	s_mul_i32 s1, s31, s0
	s_add_i32 s33, s33, s35
	s_add_i32 s33, s33, s1
	s_mul_i32 s36, s30, s0
	s_mul_i32 s35, s0, s33
	s_mul_hi_u32 s37, s0, s36
	s_mul_hi_u32 s1, s0, s33
	s_add_u32 s35, s37, s35
	s_addc_u32 s1, 0, s1
	s_mul_hi_u32 s38, s34, s36
	s_mul_i32 s36, s34, s36
	s_add_u32 s35, s35, s36
	s_mul_hi_u32 s37, s34, s33
	s_addc_u32 s1, s1, s38
	s_addc_u32 s35, s37, 0
	s_mul_i32 s33, s34, s33
	s_add_u32 s1, s1, s33
	s_addc_u32 s33, 0, s35
	s_add_u32 s35, s0, s1
	s_cselect_b64 s[0:1], -1, 0
	s_cmp_lg_u64 s[0:1], 0
	s_addc_u32 s33, s34, s33
	s_mul_i32 s0, s30, s33
	s_mul_hi_u32 s1, s30, s35
	s_add_i32 s0, s1, s0
	s_mul_i32 s31, s31, s35
	s_add_i32 s0, s0, s31
	s_mul_i32 s30, s30, s35
	s_mul_hi_u32 s31, s33, s30
	s_mul_i32 s34, s33, s30
	s_mul_i32 s37, s35, s0
	s_mul_hi_u32 s30, s35, s30
	s_mul_hi_u32 s36, s35, s0
	s_add_u32 s30, s30, s37
	s_addc_u32 s36, 0, s36
	s_add_u32 s30, s30, s34
	s_mul_hi_u32 s1, s33, s0
	s_addc_u32 s30, s36, s31
	s_addc_u32 s1, s1, 0
	s_mul_i32 s0, s33, s0
	s_add_u32 s0, s30, s0
	s_addc_u32 s30, 0, s1
	s_add_u32 s31, s35, s0
	s_cselect_b64 s[0:1], -1, 0
	s_cmp_lg_u64 s[0:1], 0
	s_addc_u32 s30, s33, s30
	v_mad_u64_u32 v[5:6], s[0:1], v0, s30, 0
	v_mul_hi_u32 v7, v0, s31
	v_add_co_u32_e32 v9, vcc, v7, v5
	v_addc_co_u32_e32 v15, vcc, 0, v6, vcc
	v_mad_u64_u32 v[5:6], s[0:1], v1, s31, 0
	v_mad_u64_u32 v[7:8], s[0:1], v1, s30, 0
	v_add_co_u32_e32 v5, vcc, v9, v5
	v_addc_co_u32_e32 v5, vcc, v15, v6, vcc
	v_addc_co_u32_e32 v6, vcc, 0, v8, vcc
	v_add_co_u32_e32 v8, vcc, v5, v7
	v_addc_co_u32_e32 v7, vcc, 0, v6, vcc
	v_mul_lo_u32 v9, s3, v8
	v_mul_lo_u32 v15, s2, v7
	v_mad_u64_u32 v[5:6], s[0:1], s2, v8, 0
	v_add3_u32 v6, v6, v15, v9
	v_sub_u32_e32 v9, v1, v6
	v_mov_b32_e32 v15, s3
	v_sub_co_u32_e32 v5, vcc, v0, v5
	v_subb_co_u32_e64 v9, s[0:1], v9, v15, vcc
	v_subrev_co_u32_e64 v15, s[0:1], s2, v5
	v_subbrev_co_u32_e64 v9, s[0:1], 0, v9, s[0:1]
	v_cmp_le_u32_e64 s[0:1], s3, v9
	v_cndmask_b32_e64 v16, 0, -1, s[0:1]
	v_cmp_le_u32_e64 s[0:1], s2, v15
	v_cndmask_b32_e64 v15, 0, -1, s[0:1]
	v_cmp_eq_u32_e64 s[0:1], s3, v9
	v_cndmask_b32_e64 v9, v16, v15, s[0:1]
	v_add_co_u32_e64 v15, s[0:1], 2, v8
	v_addc_co_u32_e64 v16, s[0:1], 0, v7, s[0:1]
	v_add_co_u32_e64 v17, s[0:1], 1, v8
	v_addc_co_u32_e64 v18, s[0:1], 0, v7, s[0:1]
	v_subb_co_u32_e32 v6, vcc, v1, v6, vcc
	v_cmp_ne_u32_e64 s[0:1], 0, v9
	v_cmp_le_u32_e32 vcc, s3, v6
	v_cndmask_b32_e64 v9, v18, v16, s[0:1]
	v_cndmask_b32_e64 v16, 0, -1, vcc
	v_cmp_le_u32_e32 vcc, s2, v5
	v_cndmask_b32_e64 v5, 0, -1, vcc
	v_cmp_eq_u32_e32 vcc, s3, v6
	v_cndmask_b32_e32 v5, v16, v5, vcc
	v_cmp_ne_u32_e32 vcc, 0, v5
	v_cndmask_b32_e64 v5, v17, v15, s[0:1]
	v_cndmask_b32_e32 v7, v7, v9, vcc
	v_cndmask_b32_e32 v6, v8, v5, vcc
.LBB130_5:                              ;   in Loop: Header=BB130_3 Depth=1
	s_andn2_saveexec_b64 s[0:1], s[14:15]
	s_cbranch_execz .LBB130_7
; %bb.6:                                ;   in Loop: Header=BB130_3 Depth=1
	v_cvt_f32_u32_e32 v5, s2
	s_sub_i32 s14, 0, s2
	v_rcp_iflag_f32_e32 v5, v5
	v_mul_f32_e32 v5, 0x4f7ffffe, v5
	v_cvt_u32_f32_e32 v5, v5
	v_mul_lo_u32 v6, s14, v5
	v_mul_hi_u32 v6, v5, v6
	v_add_u32_e32 v5, v5, v6
	v_mul_hi_u32 v5, v0, v5
	v_mul_lo_u32 v6, v5, s2
	v_add_u32_e32 v7, 1, v5
	v_sub_u32_e32 v6, v0, v6
	v_subrev_u32_e32 v8, s2, v6
	v_cmp_le_u32_e32 vcc, s2, v6
	v_cndmask_b32_e32 v6, v6, v8, vcc
	v_cndmask_b32_e32 v5, v5, v7, vcc
	v_add_u32_e32 v7, 1, v5
	v_cmp_le_u32_e32 vcc, s2, v6
	v_cndmask_b32_e32 v6, v5, v7, vcc
	v_mov_b32_e32 v7, v4
.LBB130_7:                              ;   in Loop: Header=BB130_3 Depth=1
	s_or_b64 exec, exec, s[0:1]
	v_mul_lo_u32 v5, v7, s2
	v_mul_lo_u32 v15, v6, s3
	v_mad_u64_u32 v[8:9], s[0:1], v6, s2, 0
	s_cmpk_lt_i32 s20, 0x7a
	s_mov_b64 s[0:1], -1
	v_add3_u32 v5, v9, v15, v5
	v_sub_co_u32_e32 v8, vcc, v0, v8
	v_subb_co_u32_e32 v9, vcc, v1, v5, vcc
	s_cbranch_scc1 .LBB130_11
; %bb.8:                                ;   in Loop: Header=BB130_3 Depth=1
	s_cmpk_eq_i32 s20, 0x7a
	s_cbranch_scc0 .LBB130_10
; %bb.9:                                ;   in Loop: Header=BB130_3 Depth=1
	v_lshlrev_b64 v[15:16], 3, v[8:9]
	v_mov_b32_e32 v5, s26
	v_sub_co_u32_e32 v17, vcc, s21, v15
	v_subb_co_u32_e32 v5, vcc, v5, v16, vcc
	v_cvt_f64_u32_e32 v[15:16], v5
	v_cvt_f64_u32_e32 v[17:18], v17
	v_mul_lo_u32 v23, v6, s9
	v_mov_b32_e32 v24, s23
	v_ldexp_f64 v[15:16], v[15:16], 32
	v_mov_b32_e32 v25, s24
	v_add_f64 v[15:16], v[15:16], v[17:18]
	v_cmp_gt_f64_e32 vcc, s[10:11], v[15:16]
	v_cndmask_b32_e32 v5, 0, v13, vcc
	v_ldexp_f64 v[15:16], v[15:16], v5
	v_cndmask_b32_e32 v5, 0, v14, vcc
	v_rsq_f64_e32 v[17:18], v[15:16]
	v_cmp_class_f64_e32 vcc, v[15:16], v10
	v_mul_f64 v[19:20], v[15:16], v[17:18]
	v_mul_f64 v[17:18], v[17:18], 0.5
	v_fma_f64 v[21:22], -v[17:18], v[19:20], 0.5
	v_fma_f64 v[19:20], v[19:20], v[21:22], v[19:20]
	v_fma_f64 v[17:18], v[17:18], v[21:22], v[17:18]
	v_fma_f64 v[21:22], -v[19:20], v[19:20], v[15:16]
	v_fma_f64 v[19:20], v[21:22], v[17:18], v[19:20]
	v_fma_f64 v[21:22], -v[19:20], v[19:20], v[15:16]
	v_fma_f64 v[17:18], v[21:22], v[17:18], v[19:20]
	v_mad_u64_u32 v[19:20], s[0:1], v6, s8, 0
	v_mov_b32_e32 v22, s5
	v_ldexp_f64 v[17:18], v[17:18], v5
	v_mul_lo_u32 v5, v7, s8
	v_add3_u32 v20, v20, v23, v5
	v_lshlrev_b64 v[19:20], 3, v[19:20]
	v_cndmask_b32_e32 v16, v18, v16, vcc
	v_cndmask_b32_e32 v15, v17, v15, vcc
	v_fma_f64 v[15:16], v[15:16], 0.5, -0.5
	v_subrev_co_u32_e32 v21, vcc, s4, v8
	v_subb_co_u32_e32 v22, vcc, v9, v22, vcc
	v_add_co_u32_e32 v5, vcc, s22, v19
	v_addc_co_u32_e32 v26, vcc, v24, v20, vcc
	v_floor_f64_e32 v[15:16], v[15:16]
	v_add_f64 v[15:16], v[2:3], -v[15:16]
	v_trunc_f64_e32 v[15:16], v[15:16]
	v_ldexp_f64 v[17:18], v[15:16], s29
	v_floor_f64_e32 v[17:18], v[17:18]
	v_fma_f64 v[15:16], v[17:18], s[12:13], v[15:16]
	v_cvt_u32_f64_e32 v17, v[17:18]
	v_cvt_u32_f64_e32 v16, v[15:16]
	v_mul_lo_u32 v15, v17, s18
	v_mul_lo_u32 v20, v16, s19
	v_mad_u64_u32 v[18:19], s[0:1], v16, s18, 0
	v_sub_co_u32_e32 v23, vcc, s25, v16
	v_subb_co_u32_e32 v24, vcc, v25, v17, vcc
	v_add3_u32 v19, v19, v20, v15
	v_add_co_u32_e32 v15, vcc, -1, v23
	v_addc_co_u32_e32 v20, vcc, -1, v24, vcc
	v_mul_lo_u32 v25, v15, v24
	v_mul_lo_u32 v27, v20, v23
	v_mad_u64_u32 v[23:24], s[0:1], v15, v23, 0
	v_lshlrev_b64 v[15:16], 3, v[16:17]
	v_lshlrev_b64 v[17:18], 3, v[18:19]
	;; [unrolled: 1-line block ×3, first 2 shown]
	v_add_co_u32_e32 v5, vcc, v5, v17
	v_addc_co_u32_e32 v19, vcc, v26, v18, vcc
	v_add3_u32 v24, v24, v25, v27
	v_add_co_u32_e32 v5, vcc, v5, v20
	v_lshlrev_b64 v[17:18], 2, v[23:24]
	v_addc_co_u32_e32 v19, vcc, v19, v21, vcc
	v_add_co_u32_e32 v5, vcc, v5, v15
	v_addc_co_u32_e32 v16, vcc, v19, v16, vcc
	v_and_b32_e32 v15, -8, v17
	v_add_co_u32_e32 v15, vcc, v5, v15
	v_addc_co_u32_e32 v16, vcc, v16, v18, vcc
	v_mov_b32_e32 v5, v4
	global_store_dwordx2 v[15:16], v[4:5], off offset:8
.LBB130_10:                             ;   in Loop: Header=BB130_3 Depth=1
	s_mov_b64 s[0:1], 0
.LBB130_11:                             ;   in Loop: Header=BB130_3 Depth=1
	s_andn2_b64 vcc, exec, s[0:1]
	s_cbranch_vccnz .LBB130_2
; %bb.12:                               ;   in Loop: Header=BB130_3 Depth=1
	s_cmpk_lg_i32 s20, 0x79
	s_cbranch_scc1 .LBB130_2
; %bb.13:                               ;   in Loop: Header=BB130_3 Depth=1
	v_lshlrev_b64 v[15:16], 3, v[8:9]
	v_mul_lo_u32 v7, v7, s8
	v_cvt_f64_u32_e32 v[16:17], v16
	v_or_b32_e32 v5, 1, v15
	v_cvt_f64_u32_e32 v[18:19], v5
	v_mov_b32_e32 v23, s23
	v_ldexp_f64 v[16:17], v[16:17], 32
	v_add_f64 v[15:16], v[16:17], v[18:19]
	v_cmp_gt_f64_e32 vcc, s[10:11], v[15:16]
	v_cndmask_b32_e32 v5, 0, v13, vcc
	v_ldexp_f64 v[15:16], v[15:16], v5
	v_cndmask_b32_e32 v5, 0, v14, vcc
	v_rsq_f64_e32 v[17:18], v[15:16]
	v_cmp_class_f64_e32 vcc, v[15:16], v10
	v_mul_f64 v[19:20], v[15:16], v[17:18]
	v_mul_f64 v[17:18], v[17:18], 0.5
	v_fma_f64 v[21:22], -v[17:18], v[19:20], 0.5
	v_fma_f64 v[19:20], v[19:20], v[21:22], v[19:20]
	v_fma_f64 v[17:18], v[17:18], v[21:22], v[17:18]
	v_fma_f64 v[21:22], -v[19:20], v[19:20], v[15:16]
	v_fma_f64 v[19:20], v[21:22], v[17:18], v[19:20]
	v_fma_f64 v[21:22], -v[19:20], v[19:20], v[15:16]
	v_fma_f64 v[17:18], v[21:22], v[17:18], v[19:20]
	v_mul_lo_u32 v21, v6, s9
	v_mov_b32_e32 v20, s19
	v_mov_b32_e32 v19, s18
	v_ldexp_f64 v[17:18], v[17:18], v5
	v_mad_u64_u32 v[5:6], s[0:1], v6, s8, 0
	v_add3_u32 v6, v6, v21, v7
	v_lshlrev_b64 v[5:6], 3, v[5:6]
	v_cndmask_b32_e32 v16, v18, v16, vcc
	v_cndmask_b32_e32 v15, v17, v15, vcc
	v_add_f64 v[15:16], v[15:16], -1.0
	v_mul_f64 v[15:16], v[15:16], 0.5
	v_trunc_f64_e32 v[15:16], v[15:16]
	v_ldexp_f64 v[17:18], v[15:16], s29
	v_floor_f64_e32 v[17:18], v[17:18]
	v_fma_f64 v[15:16], v[17:18], s[12:13], v[15:16]
	v_cvt_u32_f64_e32 v17, v[17:18]
	v_mul_lo_u32 v7, s18, v17
	v_cvt_u32_f64_e32 v16, v[15:16]
	v_mad_u64_u32 v[21:22], s[0:1], v16, v16, v[16:17]
	v_mul_lo_u32 v15, v16, v17
	v_mad_u64_u32 v[17:18], s[0:1], s18, v16, v[19:20]
	v_mul_lo_u32 v16, s19, v16
	v_add_co_u32_e32 v19, vcc, s22, v5
	v_add3_u32 v22, v15, v22, v15
	v_addc_co_u32_e32 v20, vcc, v23, v6, vcc
	v_lshrrev_b64 v[5:6], 1, v[21:22]
	v_add3_u32 v18, v16, v18, v7
	v_lshlrev_b64 v[15:16], 3, v[17:18]
	v_sub_co_u32_e32 v5, vcc, v8, v5
	v_subb_co_u32_e32 v6, vcc, v9, v6, vcc
	v_add_co_u32_e32 v7, vcc, v19, v15
	v_lshlrev_b64 v[5:6], 3, v[5:6]
	v_addc_co_u32_e32 v8, vcc, v20, v16, vcc
	v_add_co_u32_e32 v7, vcc, v7, v5
	v_addc_co_u32_e32 v8, vcc, v8, v6, vcc
	v_mov_b32_e32 v5, v4
	global_store_dwordx2 v[7:8], v[4:5], off
	s_branch .LBB130_2
.LBB130_14:
	s_endpgm
	.section	.rodata,"a",@progbits
	.p2align	6, 0x0
	.amdhsa_kernel _ZL18rocblas_trtri_fillILi128EdPdEvP15_rocblas_handle13rocblas_fill_ililT1_llii
		.amdhsa_group_segment_fixed_size 0
		.amdhsa_private_segment_fixed_size 0
		.amdhsa_kernarg_size 328
		.amdhsa_user_sgpr_count 6
		.amdhsa_user_sgpr_private_segment_buffer 1
		.amdhsa_user_sgpr_dispatch_ptr 0
		.amdhsa_user_sgpr_queue_ptr 0
		.amdhsa_user_sgpr_kernarg_segment_ptr 1
		.amdhsa_user_sgpr_dispatch_id 0
		.amdhsa_user_sgpr_flat_scratch_init 0
		.amdhsa_user_sgpr_private_segment_size 0
		.amdhsa_uses_dynamic_stack 0
		.amdhsa_system_sgpr_private_segment_wavefront_offset 0
		.amdhsa_system_sgpr_workgroup_id_x 1
		.amdhsa_system_sgpr_workgroup_id_y 0
		.amdhsa_system_sgpr_workgroup_id_z 1
		.amdhsa_system_sgpr_workgroup_info 0
		.amdhsa_system_vgpr_workitem_id 0
		.amdhsa_next_free_vgpr 28
		.amdhsa_next_free_sgpr 39
		.amdhsa_reserve_vcc 1
		.amdhsa_reserve_flat_scratch 0
		.amdhsa_float_round_mode_32 0
		.amdhsa_float_round_mode_16_64 0
		.amdhsa_float_denorm_mode_32 3
		.amdhsa_float_denorm_mode_16_64 3
		.amdhsa_dx10_clamp 1
		.amdhsa_ieee_mode 1
		.amdhsa_fp16_overflow 0
		.amdhsa_exception_fp_ieee_invalid_op 0
		.amdhsa_exception_fp_denorm_src 0
		.amdhsa_exception_fp_ieee_div_zero 0
		.amdhsa_exception_fp_ieee_overflow 0
		.amdhsa_exception_fp_ieee_underflow 0
		.amdhsa_exception_fp_ieee_inexact 0
		.amdhsa_exception_int_div_zero 0
	.end_amdhsa_kernel
	.section	.text._ZL18rocblas_trtri_fillILi128EdPdEvP15_rocblas_handle13rocblas_fill_ililT1_llii,"axG",@progbits,_ZL18rocblas_trtri_fillILi128EdPdEvP15_rocblas_handle13rocblas_fill_ililT1_llii,comdat
.Lfunc_end130:
	.size	_ZL18rocblas_trtri_fillILi128EdPdEvP15_rocblas_handle13rocblas_fill_ililT1_llii, .Lfunc_end130-_ZL18rocblas_trtri_fillILi128EdPdEvP15_rocblas_handle13rocblas_fill_ililT1_llii
                                        ; -- End function
	.set _ZL18rocblas_trtri_fillILi128EdPdEvP15_rocblas_handle13rocblas_fill_ililT1_llii.num_vgpr, 28
	.set _ZL18rocblas_trtri_fillILi128EdPdEvP15_rocblas_handle13rocblas_fill_ililT1_llii.num_agpr, 0
	.set _ZL18rocblas_trtri_fillILi128EdPdEvP15_rocblas_handle13rocblas_fill_ililT1_llii.numbered_sgpr, 39
	.set _ZL18rocblas_trtri_fillILi128EdPdEvP15_rocblas_handle13rocblas_fill_ililT1_llii.num_named_barrier, 0
	.set _ZL18rocblas_trtri_fillILi128EdPdEvP15_rocblas_handle13rocblas_fill_ililT1_llii.private_seg_size, 0
	.set _ZL18rocblas_trtri_fillILi128EdPdEvP15_rocblas_handle13rocblas_fill_ililT1_llii.uses_vcc, 1
	.set _ZL18rocblas_trtri_fillILi128EdPdEvP15_rocblas_handle13rocblas_fill_ililT1_llii.uses_flat_scratch, 0
	.set _ZL18rocblas_trtri_fillILi128EdPdEvP15_rocblas_handle13rocblas_fill_ililT1_llii.has_dyn_sized_stack, 0
	.set _ZL18rocblas_trtri_fillILi128EdPdEvP15_rocblas_handle13rocblas_fill_ililT1_llii.has_recursion, 0
	.set _ZL18rocblas_trtri_fillILi128EdPdEvP15_rocblas_handle13rocblas_fill_ililT1_llii.has_indirect_call, 0
	.section	.AMDGPU.csdata,"",@progbits
; Kernel info:
; codeLenInByte = 1900
; TotalNumSgprs: 43
; NumVgprs: 28
; ScratchSize: 0
; MemoryBound: 0
; FloatMode: 240
; IeeeMode: 1
; LDSByteSize: 0 bytes/workgroup (compile time only)
; SGPRBlocks: 5
; VGPRBlocks: 6
; NumSGPRsForWavesPerEU: 43
; NumVGPRsForWavesPerEU: 28
; Occupancy: 9
; WaveLimiterHint : 0
; COMPUTE_PGM_RSRC2:SCRATCH_EN: 0
; COMPUTE_PGM_RSRC2:USER_SGPR: 6
; COMPUTE_PGM_RSRC2:TRAP_HANDLER: 0
; COMPUTE_PGM_RSRC2:TGID_X_EN: 1
; COMPUTE_PGM_RSRC2:TGID_Y_EN: 0
; COMPUTE_PGM_RSRC2:TGID_Z_EN: 1
; COMPUTE_PGM_RSRC2:TIDIG_COMP_CNT: 0
	.section	.text._ZL24rocblas_copy_matrix_trsmILi128ELi8EdPKdPdEviiiT2_ilT3_illli,"axG",@progbits,_ZL24rocblas_copy_matrix_trsmILi128ELi8EdPKdPdEviiiT2_ilT3_illli,comdat
	.globl	_ZL24rocblas_copy_matrix_trsmILi128ELi8EdPKdPdEviiiT2_ilT3_illli ; -- Begin function _ZL24rocblas_copy_matrix_trsmILi128ELi8EdPKdPdEviiiT2_ilT3_illli
	.p2align	8
	.type	_ZL24rocblas_copy_matrix_trsmILi128ELi8EdPKdPdEviiiT2_ilT3_illli,@function
_ZL24rocblas_copy_matrix_trsmILi128ELi8EdPKdPdEviiiT2_ilT3_illli: ; @_ZL24rocblas_copy_matrix_trsmILi128ELi8EdPKdPdEviiiT2_ilT3_illli
; %bb.0:
	s_load_dwordx2 s[0:1], s[4:5], 0x0
	v_mov_b32_e32 v3, 0
	v_lshl_add_u32 v2, s6, 7, v0
	v_lshl_add_u32 v0, s7, 3, v1
	v_mov_b32_e32 v1, v3
	s_waitcnt lgkmcnt(0)
	s_ashr_i32 s7, s1, 31
	s_mov_b32 s6, s1
	s_ashr_i32 s1, s0, 31
	v_cmp_gt_u64_e32 vcc, s[0:1], v[2:3]
	v_cmp_gt_u64_e64 s[0:1], s[6:7], v[0:1]
	s_and_b64 s[0:1], vcc, s[0:1]
	s_and_saveexec_b64 s[2:3], s[0:1]
	s_cbranch_execz .LBB131_3
; %bb.1:
	s_load_dwordx2 s[10:11], s[4:5], 0x10
	s_load_dword s18, s[4:5], 0x18
	s_load_dwordx4 s[12:15], s[4:5], 0x20
	s_load_dword s19, s[4:5], 0x30
	s_load_dwordx4 s[0:3], s[4:5], 0x38
	s_load_dwordx2 s[16:17], s[4:5], 0x48
	s_load_dword s9, s[4:5], 0x5c
	s_waitcnt lgkmcnt(0)
	s_ashr_i32 s20, s18, 31
	v_mad_u64_u32 v[4:5], s[4:5], s19, v0, 0
	s_ashr_i32 s21, s19, 31
	s_mul_i32 s1, s1, s8
	v_mad_u64_u32 v[5:6], s[4:5], s21, v0, v[5:6]
	s_mul_hi_u32 s22, s0, s8
	s_add_i32 s1, s22, s1
	s_mul_i32 s0, s0, s8
	s_lshl_b32 s9, s9, 3
	s_lshl_b64 s[0:1], s[0:1], 3
	s_lshl_b64 s[4:5], s[16:17], 3
	v_lshlrev_b64 v[4:5], 3, v[4:5]
	s_add_u32 s0, s4, s0
	s_addc_u32 s1, s5, s1
	v_mov_b32_e32 v6, s1
	v_add_co_u32_e32 v7, vcc, s0, v4
	v_addc_co_u32_e32 v6, vcc, v6, v5, vcc
	v_lshlrev_b64 v[4:5], 3, v[2:3]
	s_mul_i32 s21, s21, s9
	v_add_co_u32_e32 v2, vcc, v7, v4
	v_addc_co_u32_e32 v3, vcc, v6, v5, vcc
	v_mov_b32_e32 v6, s15
	v_add_co_u32_e32 v2, vcc, s14, v2
	v_addc_co_u32_e32 v3, vcc, v6, v3, vcc
	v_mad_u64_u32 v[6:7], s[4:5], s18, v0, 0
	s_mul_hi_u32 s0, s19, s9
	s_mul_i32 s13, s13, s8
	v_mad_u64_u32 v[7:8], s[4:5], s20, v0, v[7:8]
	s_mul_hi_u32 s14, s12, s8
	s_add_i32 s1, s0, s21
	s_mul_i32 s0, s19, s9
	s_add_i32 s5, s14, s13
	s_mul_i32 s4, s12, s8
	s_lshl_b64 s[0:1], s[0:1], 3
	s_lshl_b64 s[4:5], s[4:5], 3
	;; [unrolled: 1-line block ×3, first 2 shown]
	v_lshlrev_b64 v[6:7], 3, v[6:7]
	s_add_u32 s2, s2, s4
	s_addc_u32 s3, s3, s5
	v_mov_b32_e32 v8, s3
	v_add_co_u32_e32 v6, vcc, s2, v6
	v_addc_co_u32_e32 v7, vcc, v8, v7, vcc
	v_add_co_u32_e32 v4, vcc, v6, v4
	s_mul_i32 s20, s20, s9
	s_mul_hi_u32 s2, s18, s9
	v_addc_co_u32_e32 v5, vcc, v7, v5, vcc
	s_add_i32 s3, s2, s20
	s_mul_i32 s2, s18, s9
	v_mov_b32_e32 v6, s11
	v_add_co_u32_e32 v4, vcc, s10, v4
	s_lshl_b64 s[2:3], s[2:3], 3
	v_addc_co_u32_e32 v5, vcc, v6, v5, vcc
	s_mov_b64 s[4:5], 0
	v_mov_b32_e32 v6, s1
	v_mov_b32_e32 v7, s3
.LBB131_2:                              ; =>This Inner Loop Header: Depth=1
	global_load_dwordx2 v[8:9], v[4:5], off
	v_add_co_u32_e32 v0, vcc, s9, v0
	v_addc_co_u32_e32 v1, vcc, 0, v1, vcc
	v_add_co_u32_e32 v4, vcc, s2, v4
	v_addc_co_u32_e32 v5, vcc, v5, v7, vcc
	v_cmp_le_u64_e32 vcc, s[6:7], v[0:1]
	s_or_b64 s[4:5], vcc, s[4:5]
	s_waitcnt vmcnt(0)
	global_store_dwordx2 v[2:3], v[8:9], off
	v_add_co_u32_e32 v2, vcc, s0, v2
	v_addc_co_u32_e32 v3, vcc, v3, v6, vcc
	s_andn2_b64 exec, exec, s[4:5]
	s_cbranch_execnz .LBB131_2
.LBB131_3:
	s_endpgm
	.section	.rodata,"a",@progbits
	.p2align	6, 0x0
	.amdhsa_kernel _ZL24rocblas_copy_matrix_trsmILi128ELi8EdPKdPdEviiiT2_ilT3_illli
		.amdhsa_group_segment_fixed_size 0
		.amdhsa_private_segment_fixed_size 0
		.amdhsa_kernarg_size 344
		.amdhsa_user_sgpr_count 6
		.amdhsa_user_sgpr_private_segment_buffer 1
		.amdhsa_user_sgpr_dispatch_ptr 0
		.amdhsa_user_sgpr_queue_ptr 0
		.amdhsa_user_sgpr_kernarg_segment_ptr 1
		.amdhsa_user_sgpr_dispatch_id 0
		.amdhsa_user_sgpr_flat_scratch_init 0
		.amdhsa_user_sgpr_private_segment_size 0
		.amdhsa_uses_dynamic_stack 0
		.amdhsa_system_sgpr_private_segment_wavefront_offset 0
		.amdhsa_system_sgpr_workgroup_id_x 1
		.amdhsa_system_sgpr_workgroup_id_y 1
		.amdhsa_system_sgpr_workgroup_id_z 1
		.amdhsa_system_sgpr_workgroup_info 0
		.amdhsa_system_vgpr_workitem_id 1
		.amdhsa_next_free_vgpr 10
		.amdhsa_next_free_sgpr 23
		.amdhsa_reserve_vcc 1
		.amdhsa_reserve_flat_scratch 0
		.amdhsa_float_round_mode_32 0
		.amdhsa_float_round_mode_16_64 0
		.amdhsa_float_denorm_mode_32 3
		.amdhsa_float_denorm_mode_16_64 3
		.amdhsa_dx10_clamp 1
		.amdhsa_ieee_mode 1
		.amdhsa_fp16_overflow 0
		.amdhsa_exception_fp_ieee_invalid_op 0
		.amdhsa_exception_fp_denorm_src 0
		.amdhsa_exception_fp_ieee_div_zero 0
		.amdhsa_exception_fp_ieee_overflow 0
		.amdhsa_exception_fp_ieee_underflow 0
		.amdhsa_exception_fp_ieee_inexact 0
		.amdhsa_exception_int_div_zero 0
	.end_amdhsa_kernel
	.section	.text._ZL24rocblas_copy_matrix_trsmILi128ELi8EdPKdPdEviiiT2_ilT3_illli,"axG",@progbits,_ZL24rocblas_copy_matrix_trsmILi128ELi8EdPKdPdEviiiT2_ilT3_illli,comdat
.Lfunc_end131:
	.size	_ZL24rocblas_copy_matrix_trsmILi128ELi8EdPKdPdEviiiT2_ilT3_illli, .Lfunc_end131-_ZL24rocblas_copy_matrix_trsmILi128ELi8EdPKdPdEviiiT2_ilT3_illli
                                        ; -- End function
	.set _ZL24rocblas_copy_matrix_trsmILi128ELi8EdPKdPdEviiiT2_ilT3_illli.num_vgpr, 10
	.set _ZL24rocblas_copy_matrix_trsmILi128ELi8EdPKdPdEviiiT2_ilT3_illli.num_agpr, 0
	.set _ZL24rocblas_copy_matrix_trsmILi128ELi8EdPKdPdEviiiT2_ilT3_illli.numbered_sgpr, 23
	.set _ZL24rocblas_copy_matrix_trsmILi128ELi8EdPKdPdEviiiT2_ilT3_illli.num_named_barrier, 0
	.set _ZL24rocblas_copy_matrix_trsmILi128ELi8EdPKdPdEviiiT2_ilT3_illli.private_seg_size, 0
	.set _ZL24rocblas_copy_matrix_trsmILi128ELi8EdPKdPdEviiiT2_ilT3_illli.uses_vcc, 1
	.set _ZL24rocblas_copy_matrix_trsmILi128ELi8EdPKdPdEviiiT2_ilT3_illli.uses_flat_scratch, 0
	.set _ZL24rocblas_copy_matrix_trsmILi128ELi8EdPKdPdEviiiT2_ilT3_illli.has_dyn_sized_stack, 0
	.set _ZL24rocblas_copy_matrix_trsmILi128ELi8EdPKdPdEviiiT2_ilT3_illli.has_recursion, 0
	.set _ZL24rocblas_copy_matrix_trsmILi128ELi8EdPKdPdEviiiT2_ilT3_illli.has_indirect_call, 0
	.section	.AMDGPU.csdata,"",@progbits
; Kernel info:
; codeLenInByte = 444
; TotalNumSgprs: 27
; NumVgprs: 10
; ScratchSize: 0
; MemoryBound: 0
; FloatMode: 240
; IeeeMode: 1
; LDSByteSize: 0 bytes/workgroup (compile time only)
; SGPRBlocks: 3
; VGPRBlocks: 2
; NumSGPRsForWavesPerEU: 27
; NumVGPRsForWavesPerEU: 10
; Occupancy: 10
; WaveLimiterHint : 0
; COMPUTE_PGM_RSRC2:SCRATCH_EN: 0
; COMPUTE_PGM_RSRC2:USER_SGPR: 6
; COMPUTE_PGM_RSRC2:TRAP_HANDLER: 0
; COMPUTE_PGM_RSRC2:TGID_X_EN: 1
; COMPUTE_PGM_RSRC2:TGID_Y_EN: 1
; COMPUTE_PGM_RSRC2:TGID_Z_EN: 1
; COMPUTE_PGM_RSRC2:TIDIG_COMP_CNT: 1
	.section	.text._ZL23rocblas_set_matrix_trsmILi128ELi8E19rocblas_complex_numIfEPS1_EvlliT2_llT1_li,"axG",@progbits,_ZL23rocblas_set_matrix_trsmILi128ELi8E19rocblas_complex_numIfEPS1_EvlliT2_llT1_li,comdat
	.globl	_ZL23rocblas_set_matrix_trsmILi128ELi8E19rocblas_complex_numIfEPS1_EvlliT2_llT1_li ; -- Begin function _ZL23rocblas_set_matrix_trsmILi128ELi8E19rocblas_complex_numIfEPS1_EvlliT2_llT1_li
	.p2align	8
	.type	_ZL23rocblas_set_matrix_trsmILi128ELi8E19rocblas_complex_numIfEPS1_EvlliT2_llT1_li,@function
_ZL23rocblas_set_matrix_trsmILi128ELi8E19rocblas_complex_numIfEPS1_EvlliT2_llT1_li: ; @_ZL23rocblas_set_matrix_trsmILi128ELi8E19rocblas_complex_numIfEPS1_EvlliT2_llT1_li
; %bb.0:
	s_load_dwordx4 s[0:3], s[4:5], 0x0
	v_mov_b32_e32 v3, 0
	v_lshl_add_u32 v2, s6, 7, v0
	v_lshl_add_u32 v0, s7, 3, v1
	v_mov_b32_e32 v1, v3
	s_waitcnt lgkmcnt(0)
	v_cmp_gt_u64_e32 vcc, s[0:1], v[2:3]
	v_cmp_gt_u64_e64 s[0:1], s[2:3], v[0:1]
	s_and_b64 s[0:1], vcc, s[0:1]
	s_and_saveexec_b64 s[2:3], s[0:1]
	s_cbranch_execz .LBB132_2
; %bb.1:
	s_load_dwordx2 s[6:7], s[4:5], 0x28
	s_load_dwordx4 s[0:3], s[4:5], 0x18
	s_load_dwordx2 s[10:11], s[4:5], 0x38
	s_waitcnt lgkmcnt(0)
	s_mul_i32 s5, s7, s8
	s_mul_hi_u32 s7, s6, s8
	s_mul_i32 s4, s6, s8
	s_add_i32 s5, s7, s5
	v_mad_u64_u32 v[4:5], s[6:7], s2, v0, 0
	s_lshl_b64 s[4:5], s[4:5], 3
	s_add_u32 s2, s0, s4
	v_mov_b32_e32 v1, v5
	s_addc_u32 s4, s1, s5
	v_mad_u64_u32 v[0:1], s[0:1], s3, v0, v[1:2]
	s_lshl_b64 s[0:1], s[10:11], 3
	s_add_u32 s0, s2, s0
	v_mov_b32_e32 v5, v0
	v_lshlrev_b64 v[0:1], 3, v[4:5]
	s_addc_u32 s1, s4, s1
	v_mov_b32_e32 v4, s1
	v_add_co_u32_e32 v5, vcc, s0, v0
	v_addc_co_u32_e32 v4, vcc, v4, v1, vcc
	v_lshlrev_b64 v[0:1], 3, v[2:3]
	v_mov_b32_e32 v2, v3
	v_add_co_u32_e32 v0, vcc, v5, v0
	v_addc_co_u32_e32 v1, vcc, v4, v1, vcc
	global_store_dwordx2 v[0:1], v[2:3], off
.LBB132_2:
	s_endpgm
	.section	.rodata,"a",@progbits
	.p2align	6, 0x0
	.amdhsa_kernel _ZL23rocblas_set_matrix_trsmILi128ELi8E19rocblas_complex_numIfEPS1_EvlliT2_llT1_li
		.amdhsa_group_segment_fixed_size 0
		.amdhsa_private_segment_fixed_size 0
		.amdhsa_kernarg_size 68
		.amdhsa_user_sgpr_count 6
		.amdhsa_user_sgpr_private_segment_buffer 1
		.amdhsa_user_sgpr_dispatch_ptr 0
		.amdhsa_user_sgpr_queue_ptr 0
		.amdhsa_user_sgpr_kernarg_segment_ptr 1
		.amdhsa_user_sgpr_dispatch_id 0
		.amdhsa_user_sgpr_flat_scratch_init 0
		.amdhsa_user_sgpr_private_segment_size 0
		.amdhsa_uses_dynamic_stack 0
		.amdhsa_system_sgpr_private_segment_wavefront_offset 0
		.amdhsa_system_sgpr_workgroup_id_x 1
		.amdhsa_system_sgpr_workgroup_id_y 1
		.amdhsa_system_sgpr_workgroup_id_z 1
		.amdhsa_system_sgpr_workgroup_info 0
		.amdhsa_system_vgpr_workitem_id 1
		.amdhsa_next_free_vgpr 6
		.amdhsa_next_free_sgpr 12
		.amdhsa_reserve_vcc 1
		.amdhsa_reserve_flat_scratch 0
		.amdhsa_float_round_mode_32 0
		.amdhsa_float_round_mode_16_64 0
		.amdhsa_float_denorm_mode_32 3
		.amdhsa_float_denorm_mode_16_64 3
		.amdhsa_dx10_clamp 1
		.amdhsa_ieee_mode 1
		.amdhsa_fp16_overflow 0
		.amdhsa_exception_fp_ieee_invalid_op 0
		.amdhsa_exception_fp_denorm_src 0
		.amdhsa_exception_fp_ieee_div_zero 0
		.amdhsa_exception_fp_ieee_overflow 0
		.amdhsa_exception_fp_ieee_underflow 0
		.amdhsa_exception_fp_ieee_inexact 0
		.amdhsa_exception_int_div_zero 0
	.end_amdhsa_kernel
	.section	.text._ZL23rocblas_set_matrix_trsmILi128ELi8E19rocblas_complex_numIfEPS1_EvlliT2_llT1_li,"axG",@progbits,_ZL23rocblas_set_matrix_trsmILi128ELi8E19rocblas_complex_numIfEPS1_EvlliT2_llT1_li,comdat
.Lfunc_end132:
	.size	_ZL23rocblas_set_matrix_trsmILi128ELi8E19rocblas_complex_numIfEPS1_EvlliT2_llT1_li, .Lfunc_end132-_ZL23rocblas_set_matrix_trsmILi128ELi8E19rocblas_complex_numIfEPS1_EvlliT2_llT1_li
                                        ; -- End function
	.set _ZL23rocblas_set_matrix_trsmILi128ELi8E19rocblas_complex_numIfEPS1_EvlliT2_llT1_li.num_vgpr, 6
	.set _ZL23rocblas_set_matrix_trsmILi128ELi8E19rocblas_complex_numIfEPS1_EvlliT2_llT1_li.num_agpr, 0
	.set _ZL23rocblas_set_matrix_trsmILi128ELi8E19rocblas_complex_numIfEPS1_EvlliT2_llT1_li.numbered_sgpr, 12
	.set _ZL23rocblas_set_matrix_trsmILi128ELi8E19rocblas_complex_numIfEPS1_EvlliT2_llT1_li.num_named_barrier, 0
	.set _ZL23rocblas_set_matrix_trsmILi128ELi8E19rocblas_complex_numIfEPS1_EvlliT2_llT1_li.private_seg_size, 0
	.set _ZL23rocblas_set_matrix_trsmILi128ELi8E19rocblas_complex_numIfEPS1_EvlliT2_llT1_li.uses_vcc, 1
	.set _ZL23rocblas_set_matrix_trsmILi128ELi8E19rocblas_complex_numIfEPS1_EvlliT2_llT1_li.uses_flat_scratch, 0
	.set _ZL23rocblas_set_matrix_trsmILi128ELi8E19rocblas_complex_numIfEPS1_EvlliT2_llT1_li.has_dyn_sized_stack, 0
	.set _ZL23rocblas_set_matrix_trsmILi128ELi8E19rocblas_complex_numIfEPS1_EvlliT2_llT1_li.has_recursion, 0
	.set _ZL23rocblas_set_matrix_trsmILi128ELi8E19rocblas_complex_numIfEPS1_EvlliT2_llT1_li.has_indirect_call, 0
	.section	.AMDGPU.csdata,"",@progbits
; Kernel info:
; codeLenInByte = 204
; TotalNumSgprs: 16
; NumVgprs: 6
; ScratchSize: 0
; MemoryBound: 0
; FloatMode: 240
; IeeeMode: 1
; LDSByteSize: 0 bytes/workgroup (compile time only)
; SGPRBlocks: 1
; VGPRBlocks: 1
; NumSGPRsForWavesPerEU: 16
; NumVGPRsForWavesPerEU: 6
; Occupancy: 10
; WaveLimiterHint : 0
; COMPUTE_PGM_RSRC2:SCRATCH_EN: 0
; COMPUTE_PGM_RSRC2:USER_SGPR: 6
; COMPUTE_PGM_RSRC2:TRAP_HANDLER: 0
; COMPUTE_PGM_RSRC2:TGID_X_EN: 1
; COMPUTE_PGM_RSRC2:TGID_Y_EN: 1
; COMPUTE_PGM_RSRC2:TGID_Z_EN: 1
; COMPUTE_PGM_RSRC2:TIDIG_COMP_CNT: 1
	.section	.text._ZL38rocblas_trsm_small_left_device_sharedBILi4ELi4ELb0E19rocblas_complex_numIfES1_PKS1_PS1_Ev13rocblas_fill_18rocblas_operation_17rocblas_diagonal_iiT3_T4_lilT5_lili,"axG",@progbits,_ZL38rocblas_trsm_small_left_device_sharedBILi4ELi4ELb0E19rocblas_complex_numIfES1_PKS1_PS1_Ev13rocblas_fill_18rocblas_operation_17rocblas_diagonal_iiT3_T4_lilT5_lili,comdat
	.globl	_ZL38rocblas_trsm_small_left_device_sharedBILi4ELi4ELb0E19rocblas_complex_numIfES1_PKS1_PS1_Ev13rocblas_fill_18rocblas_operation_17rocblas_diagonal_iiT3_T4_lilT5_lili ; -- Begin function _ZL38rocblas_trsm_small_left_device_sharedBILi4ELi4ELb0E19rocblas_complex_numIfES1_PKS1_PS1_Ev13rocblas_fill_18rocblas_operation_17rocblas_diagonal_iiT3_T4_lilT5_lili
	.p2align	8
	.type	_ZL38rocblas_trsm_small_left_device_sharedBILi4ELi4ELb0E19rocblas_complex_numIfES1_PKS1_PS1_Ev13rocblas_fill_18rocblas_operation_17rocblas_diagonal_iiT3_T4_lilT5_lili,@function
_ZL38rocblas_trsm_small_left_device_sharedBILi4ELi4ELb0E19rocblas_complex_numIfES1_PKS1_PS1_Ev13rocblas_fill_18rocblas_operation_17rocblas_diagonal_iiT3_T4_lilT5_lili: ; @_ZL38rocblas_trsm_small_left_device_sharedBILi4ELi4ELb0E19rocblas_complex_numIfES1_PKS1_PS1_Ev13rocblas_fill_18rocblas_operation_17rocblas_diagonal_iiT3_T4_lilT5_lili
; %bb.0:
	s_load_dwordx4 s[12:15], s[6:7], 0x4
	s_load_dwordx2 s[18:19], s[6:7], 0x14
	s_load_dwordx4 s[0:3], s[6:7], 0x38
	s_load_dwordx2 s[10:11], s[6:7], 0x48
	s_load_dword s25, s[6:7], 0x68
	s_waitcnt lgkmcnt(0)
	s_min_i32 s24, s14, 4
	v_cmp_gt_i32_e32 vcc, s24, v0
	s_and_saveexec_b64 s[16:17], vcc
	s_cbranch_execz .LBB133_15
; %bb.1:
	s_load_dword s22, s[6:7], 0x30
	s_load_dwordx4 s[28:31], s[6:7], 0x20
	s_mul_i32 s1, s1, s9
	s_mul_hi_u32 s26, s0, s9
	s_mul_i32 s0, s0, s9
	s_waitcnt lgkmcnt(0)
	s_ashr_i32 s23, s22, 31
	s_cmpk_lg_i32 s12, 0x71
	s_cselect_b64 s[20:21], -1, 0
	s_add_i32 s1, s26, s1
	s_lshl_b64 s[0:1], s[0:1], 3
	s_lshl_b64 s[26:27], s[30:31], 3
	s_add_u32 s0, s0, s26
	s_addc_u32 s1, s1, s27
	s_add_u32 s0, s28, s0
	v_lshlrev_b32_e32 v7, 3, v0
	s_addc_u32 s1, s29, s1
	v_mov_b32_e32 v3, s1
	v_add_co_u32_e32 v4, vcc, s0, v7
	v_addc_co_u32_e32 v5, vcc, 0, v3, vcc
	v_add_co_u32_e32 v3, vcc, 4, v4
	s_lshl_b64 s[0:1], s[22:23], 3
	v_addc_co_u32_e32 v4, vcc, 0, v5, vcc
	v_mov_b32_e32 v8, s1
	v_mov_b32_e32 v9, v7
	s_mov_b32 s1, s24
	s_branch .LBB133_3
.LBB133_2:                              ;   in Loop: Header=BB133_3 Depth=1
	global_load_dword v5, v[3:4], off offset:-4
	s_add_i32 s1, s1, -1
	v_add_co_u32_e32 v3, vcc, s0, v3
	v_addc_co_u32_e32 v4, vcc, v4, v8, vcc
	s_cmp_eq_u32 s1, 0
	s_waitcnt vmcnt(0)
	ds_write_b64 v9, v[5:6]
	v_add_u32_e32 v9, 32, v9
	s_cbranch_scc1 .LBB133_7
.LBB133_3:                              ; =>This Inner Loop Header: Depth=1
	s_mov_b64 s[22:23], -1
	s_and_b64 vcc, exec, s[20:21]
                                        ; implicit-def: $vgpr6
	s_cbranch_vccz .LBB133_5
; %bb.4:                                ;   in Loop: Header=BB133_3 Depth=1
	global_load_dword v6, v[3:4], off
	s_mov_b64 s[22:23], 0
.LBB133_5:                              ;   in Loop: Header=BB133_3 Depth=1
	s_andn2_b64 vcc, exec, s[22:23]
	s_cbranch_vccnz .LBB133_2
; %bb.6:                                ;   in Loop: Header=BB133_3 Depth=1
	global_load_dword v5, v[3:4], off
	s_waitcnt vmcnt(0)
	v_xor_b32_e32 v6, 0x80000000, v5
	s_branch .LBB133_2
.LBB133_7:
	v_lshlrev_b32_e32 v3, 5, v0
	s_cmpk_lg_i32 s13, 0x84
	s_mov_b64 s[0:1], -1
	v_add_u32_e32 v7, v7, v3
	s_cbranch_scc0 .LBB133_13
; %bb.8:
	ds_read_b64 v[3:4], v7
                                        ; implicit-def: $vgpr5
	s_waitcnt lgkmcnt(0)
	v_cmp_ngt_f32_e64 s[0:1], |v3|, |v4|
	s_and_saveexec_b64 s[20:21], s[0:1]
	s_xor_b64 s[0:1], exec, s[20:21]
	s_cbranch_execz .LBB133_10
; %bb.9:
	v_div_scale_f32 v5, s[20:21], v4, v4, v3
	v_div_scale_f32 v6, vcc, v3, v4, v3
	v_rcp_f32_e32 v8, v5
	v_fma_f32 v9, -v5, v8, 1.0
	v_fmac_f32_e32 v8, v9, v8
	v_mul_f32_e32 v9, v6, v8
	v_fma_f32 v10, -v5, v9, v6
	v_fmac_f32_e32 v9, v10, v8
	v_fma_f32 v5, -v5, v9, v6
	v_div_fmas_f32 v5, v5, v8, v9
	v_div_fixup_f32 v5, v5, v4, v3
	v_fmac_f32_e32 v4, v3, v5
	v_div_scale_f32 v3, s[20:21], v4, v4, 1.0
	v_div_scale_f32 v6, vcc, 1.0, v4, 1.0
	v_rcp_f32_e32 v8, v3
	v_fma_f32 v9, -v3, v8, 1.0
	v_fmac_f32_e32 v8, v9, v8
	v_mul_f32_e32 v9, v6, v8
	v_fma_f32 v10, -v3, v9, v6
	v_fmac_f32_e32 v9, v10, v8
	v_fma_f32 v3, -v3, v9, v6
	v_div_fmas_f32 v3, v3, v8, v9
	v_add_f32_e32 v6, 0, v5
	v_fma_f32 v8, v5, 0, -1.0
	v_div_fixup_f32 v3, v3, v4, 1.0
	v_mul_f32_e32 v5, v6, v3
	v_mul_f32_e32 v6, v8, v3
                                        ; implicit-def: $vgpr3_vgpr4
.LBB133_10:
	s_andn2_saveexec_b64 s[0:1], s[0:1]
	s_cbranch_execz .LBB133_12
; %bb.11:
	v_div_scale_f32 v5, s[20:21], v3, v3, v4
	v_div_scale_f32 v6, vcc, v4, v3, v4
	v_rcp_f32_e32 v8, v5
	v_fma_f32 v9, -v5, v8, 1.0
	v_fmac_f32_e32 v8, v9, v8
	v_mul_f32_e32 v9, v6, v8
	v_fma_f32 v10, -v5, v9, v6
	v_fmac_f32_e32 v9, v10, v8
	v_fma_f32 v5, -v5, v9, v6
	v_div_fmas_f32 v5, v5, v8, v9
	v_div_fixup_f32 v6, v5, v3, v4
	v_fmac_f32_e32 v3, v4, v6
	v_div_scale_f32 v4, s[20:21], v3, v3, 1.0
	v_div_scale_f32 v5, vcc, 1.0, v3, 1.0
	v_rcp_f32_e32 v8, v4
	v_fma_f32 v9, -v4, v8, 1.0
	v_fmac_f32_e32 v8, v9, v8
	v_mul_f32_e32 v9, v5, v8
	v_fma_f32 v10, -v4, v9, v5
	v_fmac_f32_e32 v9, v10, v8
	v_fma_f32 v4, -v4, v9, v5
	v_div_fmas_f32 v4, v4, v8, v9
	v_fma_f32 v5, v6, 0, 1.0
	v_div_fixup_f32 v3, v4, v3, 1.0
	v_mul_f32_e32 v5, v5, v3
	v_mul_f32_e64 v6, -v6, v3
.LBB133_12:
	s_or_b64 exec, exec, s[0:1]
	s_mov_b64 s[0:1], 0
	ds_write_b64 v7, v[5:6]
.LBB133_13:
	s_and_b64 vcc, exec, s[0:1]
	s_cbranch_vccz .LBB133_15
; %bb.14:
	v_mov_b32_e32 v3, 1.0
	v_mov_b32_e32 v4, 0
	ds_write_b64 v7, v[3:4]
.LBB133_15:
	s_or_b64 exec, exec, s[16:17]
	s_load_dword s22, s[6:7], 0x50
	s_load_dwordx2 s[0:1], s[6:7], 0x58
	s_add_i32 s25, s25, -1
	s_waitcnt lgkmcnt(0)
	s_ashr_i32 s13, s22, 31
	s_mul_i32 s1, s1, s9
	s_mul_hi_u32 s6, s0, s9
	s_add_i32 s17, s6, s1
	s_lshl_b32 s6, s8, 2
	s_mul_i32 s16, s0, s9
	s_sub_i32 s0, s15, s6
	s_cmp_ge_u32 s8, s25
	s_cselect_b32 s0, s0, 4
	s_ashr_i32 s7, s6, 31
	s_cmp_gt_i32 s14, 0
	v_cmp_gt_i32_e64 s[0:1], s0, v0
	s_cselect_b64 s[8:9], -1, 0
	s_and_b64 s[26:27], s[0:1], s[8:9]
	s_and_saveexec_b64 s[20:21], s[26:27]
	s_cbranch_execz .LBB133_18
; %bb.16:
	v_lshlrev_b32_e32 v5, 3, v0
	s_lshl_b64 s[28:29], s[6:7], 3
	s_lshl_b64 s[26:27], s[16:17], 3
	v_mov_b32_e32 v3, s29
	v_add_co_u32_e32 v6, vcc, s28, v5
	s_lshl_b64 s[28:29], s[10:11], 3
	s_add_u32 s7, s2, s28
	s_addc_u32 s15, s3, s29
	s_add_u32 s26, s7, s26
	v_addc_co_u32_e32 v7, vcc, 0, v3, vcc
	s_addc_u32 s27, s15, s27
	v_mov_b32_e32 v3, s26
	v_mov_b32_e32 v4, s27
	v_mad_u64_u32 v[3:4], s[26:27], v6, s22, v[3:4]
	v_mul_lo_u32 v6, v6, s13
	v_mul_lo_u32 v7, v7, s22
	v_add_co_u32_e32 v3, vcc, 4, v3
	v_or_b32_e32 v5, 0x80, v5
	v_add3_u32 v4, v7, v4, v6
	v_addc_co_u32_e32 v4, vcc, 0, v4, vcc
	s_mov_b32 s7, s24
.LBB133_17:                             ; =>This Inner Loop Header: Depth=1
	global_load_dwordx2 v[6:7], v[3:4], off offset:-4
	s_add_i32 s7, s7, -1
	v_add_co_u32_e32 v3, vcc, 8, v3
	v_addc_co_u32_e32 v4, vcc, 0, v4, vcc
	s_cmp_lg_u32 s7, 0
	s_waitcnt vmcnt(0)
	v_mul_f32_e32 v9, s19, v7
	v_mul_f32_e32 v8, s18, v7
	v_fma_f32 v7, s18, v6, -v9
	v_fmac_f32_e32 v8, s19, v6
	ds_write_b64 v5, v[7:8]
	v_add_u32_e32 v5, 32, v5
	s_cbranch_scc1 .LBB133_17
.LBB133_18:
	s_or_b64 exec, exec, s[20:21]
	s_load_dwordx2 s[18:19], s[4:5], 0x4
	v_mov_b32_e32 v3, 0x100
	s_waitcnt lgkmcnt(0)
	; wave barrier
	s_lshr_b32 s4, s18, 16
	s_mul_i32 s4, s4, s19
	v_mul_u32_u24_e32 v1, s19, v1
	v_mul_u32_u24_e32 v4, s4, v0
	v_add3_u32 v1, v4, v1, v2
	v_lshl_add_u32 v5, v1, 5, v3
	v_mov_b32_e32 v1, 0x80
	s_cmpk_eq_i32 s12, 0x6f
	v_lshl_or_b32 v6, v0, 3, v1
	s_mov_b64 s[4:5], -1
	s_cbranch_scc1 .LBB133_40
; %bb.19:
	s_mov_b32 s5, 0
	s_mov_b32 s4, s5
	;; [unrolled: 1-line block ×3, first 2 shown]
	s_branch .LBB133_21
.LBB133_20:                             ;   in Loop: Header=BB133_21 Depth=1
	s_cmp_ge_i32 s7, s24
	s_cselect_b64 s[12:13], -1, 0
	s_add_i32 s4, s4, 1
	s_cmp_eq_u32 s4, 3
	s_cselect_b64 s[18:19], -1, 0
	s_or_b64 s[12:13], s[12:13], s[18:19]
	s_andn2_b64 vcc, exec, s[12:13]
	s_cbranch_vccz .LBB133_39
.LBB133_21:                             ; =>This Loop Header: Depth=1
                                        ;     Child Loop BB133_24 Depth 2
                                        ;       Child Loop BB133_25 Depth 3
                                        ;       Child Loop BB133_28 Depth 3
                                        ;         Child Loop BB133_29 Depth 4
                                        ;       Child Loop BB133_33 Depth 3
                                        ;         Child Loop BB133_35 Depth 4
	s_lshl_b64 s[12:13], s[4:5], 2
	s_getpc_b64 s[18:19]
	s_add_u32 s18, s18, __const._ZL38rocblas_trsm_small_left_device_sharedBILi4ELi4ELb0E19rocblas_complex_numIfES1_PKS1_PS1_Ev13rocblas_fill_18rocblas_operation_17rocblas_diagonal_iiT3_T4_lilT5_lili.step_sizes@rel32@lo+4
	s_addc_u32 s19, s19, __const._ZL38rocblas_trsm_small_left_device_sharedBILi4ELi4ELb0E19rocblas_complex_numIfES1_PKS1_PS1_Ev13rocblas_fill_18rocblas_operation_17rocblas_diagonal_iiT3_T4_lilT5_lili.step_sizes@rel32@hi+12
	s_add_u32 s12, s18, s12
	s_addc_u32 s13, s19, s13
	s_load_dword s15, s[12:13], 0x0
	s_waitcnt lgkmcnt(0)
	s_add_i32 s18, s15, -1
	s_add_i32 s12, s18, s7
	s_cmp_ge_i32 s12, s24
	s_cbranch_scc1 .LBB133_20
; %bb.22:                               ;   in Loop: Header=BB133_21 Depth=1
	s_lshl_b32 s20, s7, 5
	s_max_i32 s19, s15, 1
	v_add_u32_e32 v3, s20, v6
	s_lshl_b32 s21, s15, 5
	s_mul_i32 s23, s7, 40
	s_mul_i32 s25, s15, 40
	s_branch .LBB133_24
.LBB133_23:                             ;   in Loop: Header=BB133_24 Depth=2
	s_add_i32 s7, s7, s15
	s_add_i32 s12, s18, s7
	s_add_i32 s20, s20, s21
	s_add_i32 s23, s23, s25
	s_cmp_ge_i32 s12, s24
	v_add_u32_e32 v3, s21, v3
	s_cbranch_scc1 .LBB133_20
.LBB133_24:                             ;   Parent Loop BB133_21 Depth=1
                                        ; =>  This Loop Header: Depth=2
                                        ;       Child Loop BB133_25 Depth 3
                                        ;       Child Loop BB133_28 Depth 3
                                        ;         Child Loop BB133_29 Depth 4
                                        ;       Child Loop BB133_33 Depth 3
                                        ;         Child Loop BB133_35 Depth 4
	v_mov_b32_e32 v1, v5
	v_mov_b32_e32 v2, v3
	s_mov_b32 s12, s19
.LBB133_25:                             ;   Parent Loop BB133_21 Depth=1
                                        ;     Parent Loop BB133_24 Depth=2
                                        ; =>    This Inner Loop Header: Depth=3
	ds_read_b64 v[7:8], v2
	s_add_i32 s12, s12, -1
	v_add_u32_e32 v2, 32, v2
	s_cmp_eq_u32 s12, 0
	s_waitcnt lgkmcnt(0)
	ds_write_b64 v1, v[7:8]
	v_add_u32_e32 v1, 8, v1
	s_cbranch_scc0 .LBB133_25
; %bb.26:                               ;   in Loop: Header=BB133_24 Depth=2
	s_cmp_lt_i32 s7, 1
	s_cbranch_scc1 .LBB133_31
; %bb.27:                               ;   in Loop: Header=BB133_24 Depth=2
	s_mov_b32 s12, 0
	s_mov_b32 s13, s20
.LBB133_28:                             ;   Parent Loop BB133_21 Depth=1
                                        ;     Parent Loop BB133_24 Depth=2
                                        ; =>    This Loop Header: Depth=3
                                        ;         Child Loop BB133_29 Depth 4
	v_lshl_add_u32 v1, s12, 5, v6
	ds_read_b64 v[1:2], v1
	v_mov_b32_e32 v4, v5
	s_mov_b32 s26, s13
	s_mov_b32 s27, s19
.LBB133_29:                             ;   Parent Loop BB133_21 Depth=1
                                        ;     Parent Loop BB133_24 Depth=2
                                        ;       Parent Loop BB133_28 Depth=3
                                        ; =>      This Inner Loop Header: Depth=4
	v_mov_b32_e32 v9, s26
	ds_read_b64 v[9:10], v9
	ds_read_b64 v[7:8], v4
	s_add_i32 s27, s27, -1
	s_add_i32 s26, s26, 32
	s_cmp_eq_u32 s27, 0
	s_waitcnt lgkmcnt(1)
	v_mul_f32_e32 v11, v10, v2
	v_mul_f32_e32 v10, v10, v1
	v_fma_f32 v11, v9, v1, -v11
	v_fmac_f32_e32 v10, v9, v2
	s_waitcnt lgkmcnt(0)
	v_sub_f32_e32 v7, v7, v11
	v_sub_f32_e32 v8, v8, v10
	ds_write_b64 v4, v[7:8]
	v_add_u32_e32 v4, 8, v4
	s_cbranch_scc0 .LBB133_29
; %bb.30:                               ;   in Loop: Header=BB133_28 Depth=3
	s_add_i32 s12, s12, 1
	s_add_i32 s13, s13, 8
	s_cmp_eq_u32 s12, s7
	s_cbranch_scc0 .LBB133_28
.LBB133_31:                             ;   in Loop: Header=BB133_24 Depth=2
	s_lshl_b32 s26, s7, 5
	s_mov_b32 s27, 0
	s_mov_b32 s28, s23
	s_branch .LBB133_33
.LBB133_32:                             ;   in Loop: Header=BB133_33 Depth=3
	s_mul_i32 s12, s30, 40
	v_mov_b32_e32 v7, s12
	ds_read_b64 v[7:8], v7
	s_add_i32 s27, s27, 1
	s_add_i32 s28, s28, 32
	v_add_u32_e32 v11, s29, v6
	s_cmp_eq_u32 s27, s19
	s_waitcnt lgkmcnt(0)
	v_mul_f32_e32 v9, v8, v2
	v_mul_f32_e32 v10, v7, v2
	v_fma_f32 v9, v7, v1, -v9
	v_fmac_f32_e32 v10, v8, v1
	ds_write_b64 v4, v[9:10]
	ds_write_b64 v11, v[9:10]
	s_cbranch_scc1 .LBB133_23
.LBB133_33:                             ;   Parent Loop BB133_21 Depth=1
                                        ;     Parent Loop BB133_24 Depth=2
                                        ; =>    This Loop Header: Depth=3
                                        ;         Child Loop BB133_35 Depth 4
	s_cmp_lg_u32 s27, 0
	v_lshl_add_u32 v4, s27, 3, v5
	s_cbranch_scc0 .LBB133_37
; %bb.34:                               ;   in Loop: Header=BB133_33 Depth=3
	ds_read_b64 v[1:2], v4
	s_add_i32 s30, s27, s7
	s_lshl_b32 s29, s30, 5
	s_mov_b32 s12, s28
	v_mov_b32_e32 v7, v5
	s_mov_b32 s13, s27
.LBB133_35:                             ;   Parent Loop BB133_21 Depth=1
                                        ;     Parent Loop BB133_24 Depth=2
                                        ;       Parent Loop BB133_33 Depth=3
                                        ; =>      This Inner Loop Header: Depth=4
	v_mov_b32_e32 v10, s12
	ds_read_b64 v[8:9], v7
	ds_read_b64 v[10:11], v10
	s_add_i32 s13, s13, -1
	s_add_i32 s12, s12, 8
	v_add_u32_e32 v7, 8, v7
	s_cmp_eq_u32 s13, 0
	s_waitcnt lgkmcnt(0)
	v_mul_f32_e32 v12, v11, v9
	v_mul_f32_e32 v9, v10, v9
	v_fma_f32 v10, v10, v8, -v12
	v_fmac_f32_e32 v9, v11, v8
	v_sub_f32_e32 v1, v1, v10
	v_sub_f32_e32 v2, v2, v9
	ds_write_b64 v4, v[1:2]
	s_cbranch_scc0 .LBB133_35
; %bb.36:                               ;   in Loop: Header=BB133_33 Depth=3
	s_branch .LBB133_32
.LBB133_37:                             ;   in Loop: Header=BB133_33 Depth=3
                                        ; implicit-def: $vgpr1
                                        ; implicit-def: $sgpr30
                                        ; implicit-def: $sgpr29
	s_cbranch_execz .LBB133_32
; %bb.38:                               ;   in Loop: Header=BB133_33 Depth=3
	ds_read_b64 v[1:2], v5
	s_mov_b32 s29, s26
	s_mov_b32 s30, s7
	s_branch .LBB133_32
.LBB133_39:
	s_mov_b64 s[4:5], 0
.LBB133_40:
	s_and_b64 vcc, exec, s[4:5]
	s_cbranch_vccz .LBB133_59
; %bb.41:
	s_add_i32 s4, s24, -1
	s_cmp_gt_i32 s14, 3
	s_mov_b32 s7, s4
	s_cbranch_scc0 .LBB133_43
; %bb.42:
	ds_read2_b64 v[1:4], v6 offset0:8 offset1:12
	ds_read2_b64 v[7:10], v6 offset1:4
	v_mov_b32_e32 v19, 0
	ds_read_b128 v[15:18], v19 offset:112
	s_mov_b32 s7, -1
	s_waitcnt lgkmcnt(2)
	v_mov_b32_e32 v11, v3
	v_mov_b32_e32 v12, v4
	;; [unrolled: 1-line block ×4, first 2 shown]
	ds_write_b128 v5, v[11:14]
	s_waitcnt lgkmcnt(2)
	v_mov_b32_e32 v11, v9
	v_mov_b32_e32 v12, v10
	;; [unrolled: 1-line block ×4, first 2 shown]
	ds_write_b128 v5, v[11:14] offset:16
	ds_read_b128 v[11:14], v19 offset:96
	s_waitcnt lgkmcnt(3)
	v_mul_f32_e32 v8, v17, v4
	v_mul_f32_e32 v7, v18, v4
	v_fmac_f32_e32 v8, v18, v3
	v_fma_f32 v7, v17, v3, -v7
	v_mul_f32_e32 v3, v16, v8
	v_fma_f32 v3, v15, v7, -v3
	v_mul_f32_e32 v4, v15, v8
	v_sub_f32_e32 v17, v1, v3
	s_waitcnt lgkmcnt(0)
	v_mul_f32_e32 v1, v14, v8
	v_fmac_f32_e32 v4, v16, v7
	v_fma_f32 v18, v13, v7, -v1
	v_mul_f32_e32 v1, v12, v8
	v_sub_f32_e32 v16, v2, v4
	v_fma_f32 v21, v11, v7, -v1
	ds_read2_b64 v[1:4], v19 offset1:10
	v_mul_f32_e32 v20, v13, v8
	v_mul_f32_e32 v22, v11, v8
	v_fmac_f32_e32 v20, v14, v7
	v_fmac_f32_e32 v22, v12, v7
	s_waitcnt lgkmcnt(0)
	v_mul_f32_e32 v11, v4, v16
	v_fma_f32 v15, v3, v17, -v11
	ds_read_b128 v[11:14], v19 offset:64
	v_mul_f32_e32 v16, v3, v16
	v_fmac_f32_e32 v16, v4, v17
	ds_write2_b64 v5, v[7:8], v[15:16] offset1:1
	ds_write2_b64 v6, v[15:16], v[7:8] offset0:8 offset1:12
	s_waitcnt lgkmcnt(2)
	v_mul_f32_e32 v3, v14, v16
	v_mul_f32_e32 v4, v13, v16
	v_fma_f32 v3, v13, v15, -v3
	v_fmac_f32_e32 v4, v14, v15
	v_mul_f32_e32 v13, v12, v16
	v_mul_f32_e32 v14, v11, v16
	v_fma_f32 v13, v11, v15, -v13
	v_fmac_f32_e32 v14, v12, v15
	v_sub_f32_e32 v11, v9, v18
	v_sub_f32_e32 v12, v10, v20
	ds_read_b128 v[7:10], v19 offset:32
	v_sub_f32_e32 v15, v11, v3
	v_sub_f32_e32 v12, v12, v4
	ds_read_b64 v[3:4], v5 offset:24
	s_waitcnt lgkmcnt(1)
	v_mul_f32_e32 v11, v10, v12
	v_mul_f32_e32 v12, v9, v12
	v_fmac_f32_e32 v12, v10, v15
	v_fma_f32 v11, v9, v15, -v11
	v_mul_f32_e32 v9, v8, v12
	s_waitcnt lgkmcnt(0)
	v_sub_f32_e32 v4, v4, v22
	v_fma_f32 v9, v7, v11, -v9
	v_mul_f32_e32 v7, v7, v12
	v_sub_f32_e32 v3, v3, v21
	v_sub_f32_e32 v4, v4, v14
	v_fmac_f32_e32 v7, v8, v11
	v_sub_f32_e32 v3, v3, v13
	v_sub_f32_e32 v4, v4, v7
	;; [unrolled: 1-line block ×3, first 2 shown]
	v_mul_f32_e32 v3, v2, v4
	v_mul_f32_e32 v4, v1, v4
	v_fma_f32 v3, v1, v8, -v3
	v_fmac_f32_e32 v4, v2, v8
	ds_write2_b64 v5, v[11:12], v[3:4] offset0:2 offset1:3
	ds_write2_b64 v6, v[3:4], v[11:12] offset1:4
.LBB133_43:
	s_cmp_gt_i32 s7, -1
	s_cbranch_scc0 .LBB133_59
; %bb.44:
	s_bitcmp1_b32 s7, 0
	s_cselect_b64 s[12:13], -1, 0
	s_and_b64 vcc, exec, s[12:13]
	s_mov_b32 s5, s7
	s_cbranch_vccnz .LBB133_50
; %bb.45:
	s_lshl_b32 s5, s7, 5
	v_add_u32_e32 v3, s5, v6
	ds_read_b64 v[1:2], v3
	s_cmp_le_i32 s4, s7
	s_waitcnt lgkmcnt(0)
	ds_write_b64 v5, v[1:2]
	s_cbranch_scc1 .LBB133_49
; %bb.46:
	s_lshl_b32 s12, s24, 5
	s_lshl_b32 s5, s7, 3
	s_add_i32 s5, s12, s5
	v_lshl_or_b32 v4, v0, 3, s12
	s_sub_i32 s5, s5, 32
	v_add_u32_e32 v4, 0x60, v4
	s_mov_b32 s12, s4
.LBB133_47:                             ; =>This Inner Loop Header: Depth=1
	v_mov_b32_e32 v9, s5
	ds_read_b64 v[7:8], v4
	ds_read_b64 v[9:10], v9
	s_add_i32 s12, s12, -1
	s_sub_i32 s5, s5, 32
	v_subrev_u32_e32 v4, 32, v4
	s_cmp_gt_i32 s12, s7
	s_waitcnt lgkmcnt(0)
	v_mul_f32_e32 v11, v10, v8
	v_mul_f32_e32 v10, v10, v7
	v_fma_f32 v7, v9, v7, -v11
	v_fmac_f32_e32 v10, v9, v8
	v_sub_f32_e32 v1, v1, v7
	v_sub_f32_e32 v2, v2, v10
	s_cbranch_scc1 .LBB133_47
; %bb.48:
	ds_write_b64 v5, v[1:2]
.LBB133_49:
	s_mul_i32 s5, s7, 40
	v_mov_b32_e32 v4, s5
	ds_read_b64 v[7:8], v4
	s_add_i32 s5, s7, -1
	s_waitcnt lgkmcnt(0)
	v_mul_f32_e32 v4, v8, v2
	v_mul_f32_e32 v10, v7, v2
	v_fma_f32 v9, v7, v1, -v4
	v_fmac_f32_e32 v10, v8, v1
	ds_write_b64 v5, v[9:10]
	ds_write_b64 v3, v[9:10]
.LBB133_50:
	s_cmp_eq_u32 s7, 0
	s_cbranch_scc1 .LBB133_59
; %bb.51:
	s_lshl_b32 s12, s24, 5
	s_lshl_b32 s7, s5, 3
	s_add_i32 s13, s12, s7
	v_lshl_or_b32 v1, v0, 3, s12
	s_sub_i32 s7, s13, 32
	v_add_u32_e32 v7, 0x60, v1
	s_sub_i32 s12, s13, 40
	s_branch .LBB133_53
.LBB133_52:                             ;   in Loop: Header=BB133_53 Depth=1
	s_sub_i32 s13, s13, 40
	v_mov_b32_e32 v3, s13
	ds_read_b64 v[3:4], v3
	s_add_i32 s13, s5, -2
	s_add_i32 s7, s7, -16
	;; [unrolled: 1-line block ×3, first 2 shown]
	s_cmp_lt_i32 s5, 2
	s_waitcnt lgkmcnt(0)
	v_mul_f32_e32 v9, v4, v2
	v_mul_f32_e32 v10, v3, v2
	v_fma_f32 v9, v3, v1, -v9
	v_fmac_f32_e32 v10, v4, v1
	s_mov_b32 s5, s13
	ds_write_b64 v5, v[9:10]
	ds_write_b64 v8, v[9:10]
	s_cbranch_scc1 .LBB133_59
.LBB133_53:                             ; =>This Loop Header: Depth=1
                                        ;     Child Loop BB133_54 Depth 2
                                        ;     Child Loop BB133_57 Depth 2
	s_lshl_b32 s14, s5, 5
	v_add_u32_e32 v9, s14, v6
	ds_read_b64 v[3:4], v9
	v_mov_b32_e32 v1, v7
	s_mov_b32 s13, s7
	s_cmp_le_i32 s4, s5
	s_mov_b32 s15, s4
	s_waitcnt lgkmcnt(0)
	ds_write_b64 v5, v[3:4]
	s_cbranch_scc1 .LBB133_56
.LBB133_54:                             ;   Parent Loop BB133_53 Depth=1
                                        ; =>  This Inner Loop Header: Depth=2
	v_mov_b32_e32 v2, s13
	ds_read_b64 v[10:11], v1
	ds_read_b64 v[12:13], v2
	s_add_i32 s15, s15, -1
	s_sub_i32 s13, s13, 32
	v_subrev_u32_e32 v1, 32, v1
	s_cmp_gt_i32 s15, s5
	s_waitcnt lgkmcnt(0)
	v_mul_f32_e32 v2, v13, v11
	v_mul_f32_e32 v8, v13, v10
	v_fma_f32 v2, v12, v10, -v2
	v_fmac_f32_e32 v8, v12, v11
	v_sub_f32_e32 v3, v3, v2
	v_sub_f32_e32 v4, v4, v8
	s_cbranch_scc1 .LBB133_54
; %bb.55:                               ;   in Loop: Header=BB133_53 Depth=1
	ds_write_b64 v5, v[3:4]
.LBB133_56:                             ;   in Loop: Header=BB133_53 Depth=1
	s_mul_i32 s13, s5, 40
	v_mov_b32_e32 v1, s13
	ds_read_b64 v[10:11], v1
	s_sub_i32 s14, s14, 32
	v_add_u32_e32 v8, s14, v6
	ds_read_b64 v[1:2], v8
	s_cmp_le_i32 s24, s5
	s_waitcnt lgkmcnt(1)
	v_mul_f32_e32 v12, v11, v4
	v_mul_f32_e32 v13, v10, v4
	v_fma_f32 v12, v10, v3, -v12
	v_fmac_f32_e32 v13, v11, v3
	s_mov_b32 s14, s12
	v_mov_b32_e32 v3, v7
	s_mov_b32 s15, s24
	ds_write_b64 v9, v[12:13]
	s_waitcnt lgkmcnt(1)
	ds_write_b64 v5, v[1:2]
	s_cbranch_scc1 .LBB133_52
.LBB133_57:                             ;   Parent Loop BB133_53 Depth=1
                                        ; =>  This Inner Loop Header: Depth=2
	v_mov_b32_e32 v4, s14
	ds_read_b64 v[9:10], v3
	ds_read_b64 v[11:12], v4
	s_add_i32 s15, s15, -1
	s_sub_i32 s14, s14, 32
	v_subrev_u32_e32 v3, 32, v3
	s_cmp_gt_i32 s15, s5
	s_waitcnt lgkmcnt(0)
	v_mul_f32_e32 v4, v12, v10
	v_mul_f32_e32 v12, v12, v9
	v_fma_f32 v4, v11, v9, -v4
	v_fmac_f32_e32 v12, v11, v10
	v_sub_f32_e32 v1, v1, v4
	v_sub_f32_e32 v2, v2, v12
	s_cbranch_scc1 .LBB133_57
; %bb.58:                               ;   in Loop: Header=BB133_53 Depth=1
	ds_write_b64 v5, v[1:2]
	s_branch .LBB133_52
.LBB133_59:
	s_waitcnt lgkmcnt(0)
	; wave barrier
	s_and_saveexec_b64 s[4:5], s[0:1]
	s_cbranch_execz .LBB133_63
; %bb.60:
	s_andn2_b64 vcc, exec, s[8:9]
	s_cbranch_vccnz .LBB133_63
; %bb.61:
	s_lshl_b64 s[0:1], s[16:17], 3
	s_add_u32 s2, s2, s0
	s_addc_u32 s3, s3, s1
	s_lshl_b64 s[0:1], s[10:11], 3
	s_add_u32 s4, s2, s0
	s_addc_u32 s5, s3, s1
	v_mad_i64_i32 v[1:2], s[2:3], s22, v0, 0
	s_mul_hi_i32 s1, s22, s6
	s_mul_i32 s0, s22, s6
	s_lshl_b64 s[0:1], s[0:1], 3
	s_add_u32 s0, s4, s0
	v_lshlrev_b64 v[1:2], 3, v[1:2]
	s_addc_u32 s1, s5, s1
	v_mov_b32_e32 v3, s1
	v_add_co_u32_e32 v1, vcc, s0, v1
	v_addc_co_u32_e32 v2, vcc, v3, v2, vcc
	v_mov_b32_e32 v3, 0x80
	v_lshl_or_b32 v0, v0, 3, v3
.LBB133_62:                             ; =>This Inner Loop Header: Depth=1
	ds_read_b64 v[3:4], v0
	s_add_i32 s24, s24, -1
	v_add_u32_e32 v0, 32, v0
	s_cmp_lg_u32 s24, 0
	s_waitcnt lgkmcnt(0)
	global_store_dwordx2 v[1:2], v[3:4], off
	v_add_co_u32_e32 v1, vcc, 8, v1
	v_addc_co_u32_e32 v2, vcc, 0, v2, vcc
	s_cbranch_scc1 .LBB133_62
.LBB133_63:
	s_endpgm
	.section	.rodata,"a",@progbits
	.p2align	6, 0x0
	.amdhsa_kernel _ZL38rocblas_trsm_small_left_device_sharedBILi4ELi4ELb0E19rocblas_complex_numIfES1_PKS1_PS1_Ev13rocblas_fill_18rocblas_operation_17rocblas_diagonal_iiT3_T4_lilT5_lili
		.amdhsa_group_segment_fixed_size 384
		.amdhsa_private_segment_fixed_size 0
		.amdhsa_kernarg_size 360
		.amdhsa_user_sgpr_count 8
		.amdhsa_user_sgpr_private_segment_buffer 1
		.amdhsa_user_sgpr_dispatch_ptr 1
		.amdhsa_user_sgpr_queue_ptr 0
		.amdhsa_user_sgpr_kernarg_segment_ptr 1
		.amdhsa_user_sgpr_dispatch_id 0
		.amdhsa_user_sgpr_flat_scratch_init 0
		.amdhsa_user_sgpr_private_segment_size 0
		.amdhsa_uses_dynamic_stack 0
		.amdhsa_system_sgpr_private_segment_wavefront_offset 0
		.amdhsa_system_sgpr_workgroup_id_x 1
		.amdhsa_system_sgpr_workgroup_id_y 0
		.amdhsa_system_sgpr_workgroup_id_z 1
		.amdhsa_system_sgpr_workgroup_info 0
		.amdhsa_system_vgpr_workitem_id 2
		.amdhsa_next_free_vgpr 23
		.amdhsa_next_free_sgpr 32
		.amdhsa_reserve_vcc 1
		.amdhsa_reserve_flat_scratch 0
		.amdhsa_float_round_mode_32 0
		.amdhsa_float_round_mode_16_64 0
		.amdhsa_float_denorm_mode_32 3
		.amdhsa_float_denorm_mode_16_64 3
		.amdhsa_dx10_clamp 1
		.amdhsa_ieee_mode 1
		.amdhsa_fp16_overflow 0
		.amdhsa_exception_fp_ieee_invalid_op 0
		.amdhsa_exception_fp_denorm_src 0
		.amdhsa_exception_fp_ieee_div_zero 0
		.amdhsa_exception_fp_ieee_overflow 0
		.amdhsa_exception_fp_ieee_underflow 0
		.amdhsa_exception_fp_ieee_inexact 0
		.amdhsa_exception_int_div_zero 0
	.end_amdhsa_kernel
	.section	.text._ZL38rocblas_trsm_small_left_device_sharedBILi4ELi4ELb0E19rocblas_complex_numIfES1_PKS1_PS1_Ev13rocblas_fill_18rocblas_operation_17rocblas_diagonal_iiT3_T4_lilT5_lili,"axG",@progbits,_ZL38rocblas_trsm_small_left_device_sharedBILi4ELi4ELb0E19rocblas_complex_numIfES1_PKS1_PS1_Ev13rocblas_fill_18rocblas_operation_17rocblas_diagonal_iiT3_T4_lilT5_lili,comdat
.Lfunc_end133:
	.size	_ZL38rocblas_trsm_small_left_device_sharedBILi4ELi4ELb0E19rocblas_complex_numIfES1_PKS1_PS1_Ev13rocblas_fill_18rocblas_operation_17rocblas_diagonal_iiT3_T4_lilT5_lili, .Lfunc_end133-_ZL38rocblas_trsm_small_left_device_sharedBILi4ELi4ELb0E19rocblas_complex_numIfES1_PKS1_PS1_Ev13rocblas_fill_18rocblas_operation_17rocblas_diagonal_iiT3_T4_lilT5_lili
                                        ; -- End function
	.set _ZL38rocblas_trsm_small_left_device_sharedBILi4ELi4ELb0E19rocblas_complex_numIfES1_PKS1_PS1_Ev13rocblas_fill_18rocblas_operation_17rocblas_diagonal_iiT3_T4_lilT5_lili.num_vgpr, 23
	.set _ZL38rocblas_trsm_small_left_device_sharedBILi4ELi4ELb0E19rocblas_complex_numIfES1_PKS1_PS1_Ev13rocblas_fill_18rocblas_operation_17rocblas_diagonal_iiT3_T4_lilT5_lili.num_agpr, 0
	.set _ZL38rocblas_trsm_small_left_device_sharedBILi4ELi4ELb0E19rocblas_complex_numIfES1_PKS1_PS1_Ev13rocblas_fill_18rocblas_operation_17rocblas_diagonal_iiT3_T4_lilT5_lili.numbered_sgpr, 32
	.set _ZL38rocblas_trsm_small_left_device_sharedBILi4ELi4ELb0E19rocblas_complex_numIfES1_PKS1_PS1_Ev13rocblas_fill_18rocblas_operation_17rocblas_diagonal_iiT3_T4_lilT5_lili.num_named_barrier, 0
	.set _ZL38rocblas_trsm_small_left_device_sharedBILi4ELi4ELb0E19rocblas_complex_numIfES1_PKS1_PS1_Ev13rocblas_fill_18rocblas_operation_17rocblas_diagonal_iiT3_T4_lilT5_lili.private_seg_size, 0
	.set _ZL38rocblas_trsm_small_left_device_sharedBILi4ELi4ELb0E19rocblas_complex_numIfES1_PKS1_PS1_Ev13rocblas_fill_18rocblas_operation_17rocblas_diagonal_iiT3_T4_lilT5_lili.uses_vcc, 1
	.set _ZL38rocblas_trsm_small_left_device_sharedBILi4ELi4ELb0E19rocblas_complex_numIfES1_PKS1_PS1_Ev13rocblas_fill_18rocblas_operation_17rocblas_diagonal_iiT3_T4_lilT5_lili.uses_flat_scratch, 0
	.set _ZL38rocblas_trsm_small_left_device_sharedBILi4ELi4ELb0E19rocblas_complex_numIfES1_PKS1_PS1_Ev13rocblas_fill_18rocblas_operation_17rocblas_diagonal_iiT3_T4_lilT5_lili.has_dyn_sized_stack, 0
	.set _ZL38rocblas_trsm_small_left_device_sharedBILi4ELi4ELb0E19rocblas_complex_numIfES1_PKS1_PS1_Ev13rocblas_fill_18rocblas_operation_17rocblas_diagonal_iiT3_T4_lilT5_lili.has_recursion, 0
	.set _ZL38rocblas_trsm_small_left_device_sharedBILi4ELi4ELb0E19rocblas_complex_numIfES1_PKS1_PS1_Ev13rocblas_fill_18rocblas_operation_17rocblas_diagonal_iiT3_T4_lilT5_lili.has_indirect_call, 0
	.section	.AMDGPU.csdata,"",@progbits
; Kernel info:
; codeLenInByte = 2956
; TotalNumSgprs: 36
; NumVgprs: 23
; ScratchSize: 0
; MemoryBound: 0
; FloatMode: 240
; IeeeMode: 1
; LDSByteSize: 384 bytes/workgroup (compile time only)
; SGPRBlocks: 4
; VGPRBlocks: 5
; NumSGPRsForWavesPerEU: 36
; NumVGPRsForWavesPerEU: 23
; Occupancy: 10
; WaveLimiterHint : 0
; COMPUTE_PGM_RSRC2:SCRATCH_EN: 0
; COMPUTE_PGM_RSRC2:USER_SGPR: 8
; COMPUTE_PGM_RSRC2:TRAP_HANDLER: 0
; COMPUTE_PGM_RSRC2:TGID_X_EN: 1
; COMPUTE_PGM_RSRC2:TGID_Y_EN: 0
; COMPUTE_PGM_RSRC2:TGID_Z_EN: 1
; COMPUTE_PGM_RSRC2:TIDIG_COMP_CNT: 2
	.section	.text._ZL30rocblas_trsm_small_left_deviceILi4ELi4ELb0E19rocblas_complex_numIfES1_PKS1_PS1_Ev13rocblas_fill_18rocblas_operation_17rocblas_diagonal_iiT3_T4_lilT5_lili,"axG",@progbits,_ZL30rocblas_trsm_small_left_deviceILi4ELi4ELb0E19rocblas_complex_numIfES1_PKS1_PS1_Ev13rocblas_fill_18rocblas_operation_17rocblas_diagonal_iiT3_T4_lilT5_lili,comdat
	.globl	_ZL30rocblas_trsm_small_left_deviceILi4ELi4ELb0E19rocblas_complex_numIfES1_PKS1_PS1_Ev13rocblas_fill_18rocblas_operation_17rocblas_diagonal_iiT3_T4_lilT5_lili ; -- Begin function _ZL30rocblas_trsm_small_left_deviceILi4ELi4ELb0E19rocblas_complex_numIfES1_PKS1_PS1_Ev13rocblas_fill_18rocblas_operation_17rocblas_diagonal_iiT3_T4_lilT5_lili
	.p2align	8
	.type	_ZL30rocblas_trsm_small_left_deviceILi4ELi4ELb0E19rocblas_complex_numIfES1_PKS1_PS1_Ev13rocblas_fill_18rocblas_operation_17rocblas_diagonal_iiT3_T4_lilT5_lili,@function
_ZL30rocblas_trsm_small_left_deviceILi4ELi4ELb0E19rocblas_complex_numIfES1_PKS1_PS1_Ev13rocblas_fill_18rocblas_operation_17rocblas_diagonal_iiT3_T4_lilT5_lili: ; @_ZL30rocblas_trsm_small_left_deviceILi4ELi4ELb0E19rocblas_complex_numIfES1_PKS1_PS1_Ev13rocblas_fill_18rocblas_operation_17rocblas_diagonal_iiT3_T4_lilT5_lili
; %bb.0:
	s_load_dwordx4 s[12:15], s[6:7], 0x4
	s_load_dwordx2 s[10:11], s[6:7], 0x14
	s_load_dwordx4 s[0:3], s[6:7], 0x38
	s_load_dwordx2 s[16:17], s[6:7], 0x48
	s_load_dword s25, s[6:7], 0x68
	s_waitcnt lgkmcnt(0)
	s_min_i32 s24, s14, 4
	v_cmp_gt_i32_e32 vcc, s24, v0
	s_and_saveexec_b64 s[18:19], vcc
	s_cbranch_execz .LBB134_15
; %bb.1:
	s_load_dword s22, s[6:7], 0x30
	s_load_dwordx4 s[28:31], s[6:7], 0x20
	s_mul_i32 s1, s1, s9
	s_mul_hi_u32 s14, s0, s9
	s_mul_i32 s0, s0, s9
	s_waitcnt lgkmcnt(0)
	s_ashr_i32 s23, s22, 31
	s_cmpk_lg_i32 s12, 0x71
	s_cselect_b64 s[20:21], -1, 0
	s_add_i32 s1, s14, s1
	s_lshl_b64 s[0:1], s[0:1], 3
	s_lshl_b64 s[26:27], s[30:31], 3
	s_add_u32 s0, s0, s26
	s_addc_u32 s1, s1, s27
	s_add_u32 s0, s28, s0
	v_lshlrev_b32_e32 v7, 3, v0
	s_addc_u32 s1, s29, s1
	v_mov_b32_e32 v3, s1
	v_add_co_u32_e32 v4, vcc, s0, v7
	v_addc_co_u32_e32 v5, vcc, 0, v3, vcc
	v_add_co_u32_e32 v3, vcc, 4, v4
	s_lshl_b64 s[0:1], s[22:23], 3
	v_addc_co_u32_e32 v4, vcc, 0, v5, vcc
	v_mov_b32_e32 v8, s1
	v_mov_b32_e32 v9, v7
	s_mov_b32 s1, s24
	s_branch .LBB134_3
.LBB134_2:                              ;   in Loop: Header=BB134_3 Depth=1
	global_load_dword v5, v[3:4], off offset:-4
	s_add_i32 s1, s1, -1
	v_add_co_u32_e32 v3, vcc, s0, v3
	v_addc_co_u32_e32 v4, vcc, v4, v8, vcc
	s_cmp_eq_u32 s1, 0
	s_waitcnt vmcnt(0)
	ds_write_b64 v9, v[5:6]
	v_add_u32_e32 v9, 32, v9
	s_cbranch_scc1 .LBB134_7
.LBB134_3:                              ; =>This Inner Loop Header: Depth=1
	s_mov_b64 s[22:23], -1
	s_and_b64 vcc, exec, s[20:21]
                                        ; implicit-def: $vgpr6
	s_cbranch_vccz .LBB134_5
; %bb.4:                                ;   in Loop: Header=BB134_3 Depth=1
	global_load_dword v6, v[3:4], off
	s_mov_b64 s[22:23], 0
.LBB134_5:                              ;   in Loop: Header=BB134_3 Depth=1
	s_andn2_b64 vcc, exec, s[22:23]
	s_cbranch_vccnz .LBB134_2
; %bb.6:                                ;   in Loop: Header=BB134_3 Depth=1
	global_load_dword v5, v[3:4], off
	s_waitcnt vmcnt(0)
	v_xor_b32_e32 v6, 0x80000000, v5
	s_branch .LBB134_2
.LBB134_7:
	s_cmpk_lg_i32 s13, 0x84
	v_lshlrev_b32_e32 v8, 5, v0
	s_mov_b64 s[0:1], -1
	s_cbranch_scc0 .LBB134_13
; %bb.8:
	v_add_u32_e32 v9, v7, v8
	ds_read_b64 v[3:4], v9
                                        ; implicit-def: $vgpr5
	s_waitcnt lgkmcnt(0)
	v_cmp_ngt_f32_e64 s[0:1], |v3|, |v4|
	s_and_saveexec_b64 s[20:21], s[0:1]
	s_xor_b64 s[0:1], exec, s[20:21]
	s_cbranch_execz .LBB134_10
; %bb.9:
	v_div_scale_f32 v5, s[20:21], v4, v4, v3
	v_div_scale_f32 v6, vcc, v3, v4, v3
	v_rcp_f32_e32 v10, v5
	v_fma_f32 v11, -v5, v10, 1.0
	v_fmac_f32_e32 v10, v11, v10
	v_mul_f32_e32 v11, v6, v10
	v_fma_f32 v12, -v5, v11, v6
	v_fmac_f32_e32 v11, v12, v10
	v_fma_f32 v5, -v5, v11, v6
	v_div_fmas_f32 v5, v5, v10, v11
	v_div_fixup_f32 v5, v5, v4, v3
	v_fmac_f32_e32 v4, v3, v5
	v_div_scale_f32 v3, s[20:21], v4, v4, 1.0
	v_div_scale_f32 v6, vcc, 1.0, v4, 1.0
	v_rcp_f32_e32 v10, v3
	v_fma_f32 v11, -v3, v10, 1.0
	v_fmac_f32_e32 v10, v11, v10
	v_mul_f32_e32 v11, v6, v10
	v_fma_f32 v12, -v3, v11, v6
	v_fmac_f32_e32 v11, v12, v10
	v_fma_f32 v3, -v3, v11, v6
	v_div_fmas_f32 v3, v3, v10, v11
	v_add_f32_e32 v6, 0, v5
	v_fma_f32 v10, v5, 0, -1.0
	v_div_fixup_f32 v3, v3, v4, 1.0
	v_mul_f32_e32 v5, v6, v3
	v_mul_f32_e32 v6, v10, v3
                                        ; implicit-def: $vgpr3_vgpr4
.LBB134_10:
	s_andn2_saveexec_b64 s[0:1], s[0:1]
	s_cbranch_execz .LBB134_12
; %bb.11:
	v_div_scale_f32 v5, s[20:21], v3, v3, v4
	v_div_scale_f32 v6, vcc, v4, v3, v4
	v_rcp_f32_e32 v10, v5
	v_fma_f32 v11, -v5, v10, 1.0
	v_fmac_f32_e32 v10, v11, v10
	v_mul_f32_e32 v11, v6, v10
	v_fma_f32 v12, -v5, v11, v6
	v_fmac_f32_e32 v11, v12, v10
	v_fma_f32 v5, -v5, v11, v6
	v_div_fmas_f32 v5, v5, v10, v11
	v_div_fixup_f32 v6, v5, v3, v4
	v_fmac_f32_e32 v3, v4, v6
	v_div_scale_f32 v4, s[20:21], v3, v3, 1.0
	v_div_scale_f32 v5, vcc, 1.0, v3, 1.0
	v_rcp_f32_e32 v10, v4
	v_fma_f32 v11, -v4, v10, 1.0
	v_fmac_f32_e32 v10, v11, v10
	v_mul_f32_e32 v11, v5, v10
	v_fma_f32 v12, -v4, v11, v5
	v_fmac_f32_e32 v11, v12, v10
	v_fma_f32 v4, -v4, v11, v5
	v_div_fmas_f32 v4, v4, v10, v11
	v_fma_f32 v5, v6, 0, 1.0
	v_div_fixup_f32 v3, v4, v3, 1.0
	v_mul_f32_e32 v5, v5, v3
	v_mul_f32_e64 v6, -v6, v3
.LBB134_12:
	s_or_b64 exec, exec, s[0:1]
	s_mov_b64 s[0:1], 0
	ds_write_b64 v9, v[5:6]
.LBB134_13:
	s_and_b64 vcc, exec, s[0:1]
	s_cbranch_vccz .LBB134_15
; %bb.14:
	v_add_u32_e32 v5, v7, v8
	v_mov_b32_e32 v3, 1.0
	v_mov_b32_e32 v4, 0
	ds_write_b64 v5, v[3:4]
.LBB134_15:
	s_or_b64 exec, exec, s[18:19]
	s_lshl_b32 s13, s8, 2
	s_add_i32 s25, s25, -1
	s_sub_i32 s0, s15, s13
	s_cmp_ge_u32 s8, s25
	s_cselect_b32 s0, s0, 4
	v_cmp_gt_i32_e32 vcc, s0, v0
	s_waitcnt lgkmcnt(0)
	; wave barrier
	s_and_saveexec_b64 s[0:1], vcc
	s_cbranch_execz .LBB134_58
; %bb.16:
	s_load_dwordx2 s[0:1], s[4:5], 0x4
	s_load_dword s8, s[6:7], 0x50
	s_load_dwordx2 s[14:15], s[6:7], 0x58
	v_mov_b32_e32 v3, 0x80
	s_waitcnt lgkmcnt(0)
	s_lshr_b32 s0, s0, 16
	s_mul_i32 s0, s0, s1
	v_mul_u32_u24_e32 v1, s1, v1
	v_mul_u32_u24_e32 v4, s0, v0
	v_add3_u32 v1, v4, v1, v2
	s_mul_i32 s0, s15, s9
	s_mul_hi_u32 s1, s14, s9
	v_add_u32_e32 v0, s13, v0
	v_lshl_add_u32 v6, v1, 5, v3
	s_add_i32 s1, s1, s0
	s_mul_i32 s0, s14, s9
	v_mad_i64_i32 v[0:1], s[4:5], s8, v0, 0
	s_lshl_b64 s[0:1], s[0:1], 3
	s_add_u32 s6, s2, s0
	s_addc_u32 s7, s3, s1
	s_lshl_b64 s[4:5], s[16:17], 3
	s_add_u32 s6, s6, s4
	v_lshlrev_b64 v[0:1], 3, v[0:1]
	s_addc_u32 s7, s7, s5
	v_mov_b32_e32 v2, s7
	v_add_co_u32_e32 v7, vcc, s6, v0
	v_addc_co_u32_e32 v8, vcc, v2, v1, vcc
	s_cmpk_eq_i32 s12, 0x6f
	s_mov_b64 s[6:7], -1
	s_cbranch_scc1 .LBB134_38
; %bb.17:
	s_add_u32 s6, s2, s4
	s_addc_u32 s7, s3, s5
	s_add_u32 s6, s6, s0
	s_addc_u32 s7, s7, s1
	v_mov_b32_e32 v2, s7
	v_add_co_u32_e32 v3, vcc, s6, v0
	v_addc_co_u32_e32 v2, vcc, v2, v1, vcc
	v_add_co_u32_e32 v9, vcc, 4, v3
	s_mov_b32 s7, 0
	v_addc_co_u32_e32 v10, vcc, 0, v2, vcc
	s_mov_b32 s8, s7
	s_mov_b32 s12, s7
	s_branch .LBB134_19
.LBB134_18:                             ;   in Loop: Header=BB134_19 Depth=1
	s_cmp_ge_i32 s12, s24
	s_cselect_b64 s[14:15], -1, 0
	s_add_i32 s8, s8, 1
	s_cmp_eq_u32 s8, 3
	s_cselect_b64 s[16:17], -1, 0
	s_or_b64 s[14:15], s[14:15], s[16:17]
	s_andn2_b64 vcc, exec, s[14:15]
	s_cbranch_vccz .LBB134_37
.LBB134_19:                             ; =>This Loop Header: Depth=1
                                        ;     Child Loop BB134_22 Depth 2
                                        ;       Child Loop BB134_23 Depth 3
                                        ;       Child Loop BB134_26 Depth 3
                                        ;         Child Loop BB134_27 Depth 4
                                        ;       Child Loop BB134_31 Depth 3
                                        ;         Child Loop BB134_33 Depth 4
	s_mov_b32 s9, s7
	s_lshl_b64 s[14:15], s[8:9], 2
	s_getpc_b64 s[16:17]
	s_add_u32 s16, s16, __const._ZL30rocblas_trsm_small_left_deviceILi4ELi4ELb0E19rocblas_complex_numIfES1_PKS1_PS1_Ev13rocblas_fill_18rocblas_operation_17rocblas_diagonal_iiT3_T4_lilT5_lili.step_sizes@rel32@lo+4
	s_addc_u32 s17, s17, __const._ZL30rocblas_trsm_small_left_deviceILi4ELi4ELb0E19rocblas_complex_numIfES1_PKS1_PS1_Ev13rocblas_fill_18rocblas_operation_17rocblas_diagonal_iiT3_T4_lilT5_lili.step_sizes@rel32@hi+12
	s_add_u32 s14, s16, s14
	s_addc_u32 s15, s17, s15
	s_load_dword s14, s[14:15], 0x0
	s_waitcnt lgkmcnt(0)
	s_add_i32 s9, s14, -1
	s_add_i32 s6, s9, s12
	s_cmp_ge_i32 s6, s24
	s_cbranch_scc1 .LBB134_18
; %bb.20:                               ;   in Loop: Header=BB134_19 Depth=1
	s_ashr_i32 s13, s12, 31
	s_lshl_b64 s[16:17], s[12:13], 3
	v_mov_b32_e32 v3, s17
	v_add_co_u32_e32 v2, vcc, s16, v9
	s_ashr_i32 s15, s14, 31
	s_max_i32 s22, s14, 1
	v_addc_co_u32_e32 v3, vcc, v10, v3, vcc
	s_lshl_b64 s[16:17], s[14:15], 3
	s_lshl_b32 s13, s12, 5
	s_lshl_b32 s15, s14, 5
	s_mul_i32 s23, s12, 40
	s_mul_i32 s25, s14, 40
	s_branch .LBB134_22
.LBB134_21:                             ;   in Loop: Header=BB134_22 Depth=2
	s_add_i32 s12, s12, s14
	s_add_i32 s6, s9, s12
	v_mov_b32_e32 v4, s17
	s_add_i32 s13, s13, s15
	s_add_i32 s23, s23, s25
	v_add_co_u32_e32 v2, vcc, s16, v2
	s_cmp_ge_i32 s6, s24
	v_addc_co_u32_e32 v3, vcc, v3, v4, vcc
	s_cbranch_scc1 .LBB134_18
.LBB134_22:                             ;   Parent Loop BB134_19 Depth=1
                                        ; =>  This Loop Header: Depth=2
                                        ;       Child Loop BB134_23 Depth 3
                                        ;       Child Loop BB134_26 Depth 3
                                        ;         Child Loop BB134_27 Depth 4
                                        ;       Child Loop BB134_31 Depth 3
                                        ;         Child Loop BB134_33 Depth 4
	v_mov_b32_e32 v5, v3
	v_mov_b32_e32 v11, v6
	;; [unrolled: 1-line block ×3, first 2 shown]
	s_mov_b32 s6, s22
.LBB134_23:                             ;   Parent Loop BB134_19 Depth=1
                                        ;     Parent Loop BB134_22 Depth=2
                                        ; =>    This Inner Loop Header: Depth=3
	global_load_dwordx2 v[12:13], v[4:5], off offset:-4
	s_add_i32 s6, s6, -1
	v_add_co_u32_e32 v4, vcc, 8, v4
	v_addc_co_u32_e32 v5, vcc, 0, v5, vcc
	s_cmp_eq_u32 s6, 0
	s_waitcnt vmcnt(0)
	v_mul_f32_e32 v15, s11, v13
	v_mul_f32_e32 v14, s10, v13
	v_fma_f32 v13, v12, s10, -v15
	v_fmac_f32_e32 v14, s11, v12
	ds_write_b64 v11, v[13:14]
	v_add_u32_e32 v11, 8, v11
	s_cbranch_scc0 .LBB134_23
; %bb.24:                               ;   in Loop: Header=BB134_22 Depth=2
	s_cmp_lt_i32 s12, 1
	s_cbranch_scc1 .LBB134_29
; %bb.25:                               ;   in Loop: Header=BB134_22 Depth=2
	s_mov_b32 s6, 0
	s_mov_b32 s18, s13
.LBB134_26:                             ;   Parent Loop BB134_19 Depth=1
                                        ;     Parent Loop BB134_22 Depth=2
                                        ; =>    This Loop Header: Depth=3
                                        ;         Child Loop BB134_27 Depth 4
	s_lshl_b64 s[20:21], s[6:7], 3
	v_mov_b32_e32 v5, s21
	v_add_co_u32_e32 v4, vcc, s20, v7
	v_addc_co_u32_e32 v5, vcc, v8, v5, vcc
	global_load_dwordx2 v[4:5], v[4:5], off
	v_mov_b32_e32 v11, v6
	s_mov_b32 s19, s18
	s_mov_b32 s20, s22
.LBB134_27:                             ;   Parent Loop BB134_19 Depth=1
                                        ;     Parent Loop BB134_22 Depth=2
                                        ;       Parent Loop BB134_26 Depth=3
                                        ; =>      This Inner Loop Header: Depth=4
	v_mov_b32_e32 v14, s19
	ds_read_b64 v[14:15], v14
	ds_read_b64 v[12:13], v11
	s_add_i32 s20, s20, -1
	s_add_i32 s19, s19, 32
	s_cmp_eq_u32 s20, 0
	s_waitcnt vmcnt(0) lgkmcnt(1)
	v_mul_f32_e32 v16, v15, v5
	v_mul_f32_e32 v15, v15, v4
	v_fma_f32 v16, v14, v4, -v16
	v_fmac_f32_e32 v15, v14, v5
	s_waitcnt lgkmcnt(0)
	v_sub_f32_e32 v12, v12, v16
	v_sub_f32_e32 v13, v13, v15
	ds_write_b64 v11, v[12:13]
	v_add_u32_e32 v11, 8, v11
	s_cbranch_scc0 .LBB134_27
; %bb.28:                               ;   in Loop: Header=BB134_26 Depth=3
	s_add_i32 s6, s6, 1
	s_add_i32 s18, s18, 8
	s_cmp_eq_u32 s6, s12
	s_cbranch_scc0 .LBB134_26
.LBB134_29:                             ;   in Loop: Header=BB134_22 Depth=2
	s_mov_b32 s6, 0
	s_mov_b32 s26, s23
	s_branch .LBB134_31
.LBB134_30:                             ;   in Loop: Header=BB134_31 Depth=3
	s_mul_i32 s19, s18, 40
	v_mov_b32_e32 v12, s19
	ds_read_b64 v[12:13], v12
	s_ashr_i32 s19, s18, 31
	s_lshl_b64 s[18:19], s[18:19], 3
	s_add_i32 s6, s6, 1
	s_add_i32 s26, s26, 32
	s_waitcnt lgkmcnt(0)
	v_mul_f32_e32 v14, v13, v5
	v_mul_f32_e32 v15, v12, v5
	v_fma_f32 v14, v12, v4, -v14
	v_fmac_f32_e32 v15, v13, v4
	v_mov_b32_e32 v5, s19
	v_add_co_u32_e32 v4, vcc, s18, v7
	v_addc_co_u32_e32 v5, vcc, v8, v5, vcc
	s_cmp_eq_u32 s6, s22
	ds_write_b64 v11, v[14:15]
	global_store_dwordx2 v[4:5], v[14:15], off
	s_cbranch_scc1 .LBB134_21
.LBB134_31:                             ;   Parent Loop BB134_19 Depth=1
                                        ;     Parent Loop BB134_22 Depth=2
                                        ; =>    This Loop Header: Depth=3
                                        ;         Child Loop BB134_33 Depth 4
	s_cmp_lg_u32 s6, 0
	v_lshl_add_u32 v11, s6, 3, v6
	s_cbranch_scc0 .LBB134_35
; %bb.32:                               ;   in Loop: Header=BB134_31 Depth=3
	ds_read_b64 v[4:5], v11
	s_add_i32 s18, s6, s12
	s_mov_b32 s19, s26
	v_mov_b32_e32 v12, v6
	s_mov_b32 s20, s6
.LBB134_33:                             ;   Parent Loop BB134_19 Depth=1
                                        ;     Parent Loop BB134_22 Depth=2
                                        ;       Parent Loop BB134_31 Depth=3
                                        ; =>      This Inner Loop Header: Depth=4
	v_mov_b32_e32 v15, s19
	ds_read_b64 v[13:14], v12
	ds_read_b64 v[15:16], v15
	s_add_i32 s20, s20, -1
	s_add_i32 s19, s19, 8
	v_add_u32_e32 v12, 8, v12
	s_cmp_eq_u32 s20, 0
	s_waitcnt lgkmcnt(0)
	v_mul_f32_e32 v17, v16, v14
	v_mul_f32_e32 v14, v15, v14
	v_fma_f32 v15, v15, v13, -v17
	v_fmac_f32_e32 v14, v16, v13
	v_sub_f32_e32 v4, v4, v15
	v_sub_f32_e32 v5, v5, v14
	ds_write_b64 v11, v[4:5]
	s_cbranch_scc0 .LBB134_33
; %bb.34:                               ;   in Loop: Header=BB134_31 Depth=3
	s_branch .LBB134_30
.LBB134_35:                             ;   in Loop: Header=BB134_31 Depth=3
                                        ; implicit-def: $vgpr4
                                        ; implicit-def: $sgpr18
	s_cbranch_execz .LBB134_30
; %bb.36:                               ;   in Loop: Header=BB134_31 Depth=3
	ds_read_b64 v[4:5], v6
	s_mov_b32 s18, s12
	s_branch .LBB134_30
.LBB134_37:
	s_mov_b64 s[6:7], 0
.LBB134_38:
	s_and_b64 vcc, exec, s[6:7]
	s_cbranch_vccz .LBB134_58
; %bb.39:
	s_add_i32 s12, s24, -1
	s_add_u32 s2, s2, s4
	s_addc_u32 s3, s3, s5
	s_add_u32 s0, s2, s0
	s_addc_u32 s1, s3, s1
	v_mov_b32_e32 v2, s1
	v_add_co_u32_e32 v0, vcc, s0, v0
	v_addc_co_u32_e32 v1, vcc, v2, v1, vcc
	v_add_co_u32_e32 v2, vcc, 4, v0
	s_lshl_b32 s0, s24, 5
	s_mov_b32 s1, 0
	v_addc_co_u32_e32 v3, vcc, 0, v1, vcc
	s_sub_i32 s13, s0, 32
	s_mov_b32 s2, s12
	s_mov_b32 s0, s1
	s_branch .LBB134_41
.LBB134_40:                             ;   in Loop: Header=BB134_41 Depth=1
	s_cmp_lt_i32 s2, 0
	s_cselect_b64 s[4:5], -1, 0
	s_add_i32 s0, s0, 1
	s_cmp_eq_u32 s0, 3
	s_cselect_b64 s[6:7], -1, 0
	s_or_b64 s[4:5], s[4:5], s[6:7]
	s_and_b64 vcc, exec, s[4:5]
	s_cbranch_vccnz .LBB134_58
.LBB134_41:                             ; =>This Loop Header: Depth=1
                                        ;     Child Loop BB134_44 Depth 2
                                        ;       Child Loop BB134_45 Depth 3
                                        ;       Child Loop BB134_47 Depth 3
                                        ;         Child Loop BB134_48 Depth 4
                                        ;       Child Loop BB134_52 Depth 3
                                        ;         Child Loop BB134_54 Depth 4
	s_lshl_b64 s[4:5], s[0:1], 2
	s_getpc_b64 s[6:7]
	s_add_u32 s6, s6, __const._ZL30rocblas_trsm_small_left_deviceILi4ELi4ELb0E19rocblas_complex_numIfES1_PKS1_PS1_Ev13rocblas_fill_18rocblas_operation_17rocblas_diagonal_iiT3_T4_lilT5_lili.step_sizes@rel32@lo+4
	s_addc_u32 s7, s7, __const._ZL30rocblas_trsm_small_left_deviceILi4ELi4ELb0E19rocblas_complex_numIfES1_PKS1_PS1_Ev13rocblas_fill_18rocblas_operation_17rocblas_diagonal_iiT3_T4_lilT5_lili.step_sizes@rel32@hi+12
	s_add_u32 s4, s6, s4
	s_addc_u32 s5, s7, s5
	s_load_dword s14, s[4:5], 0x0
	s_waitcnt lgkmcnt(0)
	s_add_i32 s15, s14, -1
	s_cmp_lt_i32 s2, s15
	s_cbranch_scc1 .LBB134_40
; %bb.42:                               ;   in Loop: Header=BB134_41 Depth=1
	s_lshl_b32 s3, s2, 3
	s_add_i32 s17, s13, s3
	s_lshl_b32 s3, s14, 3
	s_max_i32 s16, s14, 1
	s_sub_i32 s18, 0, s3
	s_mul_i32 s19, s2, 40
	s_mul_i32 s20, s14, 0xffffffd8
	s_branch .LBB134_44
.LBB134_43:                             ;   in Loop: Header=BB134_44 Depth=2
	s_sub_i32 s2, s2, s14
	s_add_i32 s17, s17, s18
	s_add_i32 s19, s19, s20
	s_cmp_lt_i32 s2, s15
	s_cbranch_scc1 .LBB134_40
.LBB134_44:                             ;   Parent Loop BB134_41 Depth=1
                                        ; =>  This Loop Header: Depth=2
                                        ;       Child Loop BB134_45 Depth 3
                                        ;       Child Loop BB134_47 Depth 3
                                        ;         Child Loop BB134_48 Depth 4
                                        ;       Child Loop BB134_52 Depth 3
                                        ;         Child Loop BB134_54 Depth 4
	s_ashr_i32 s3, s2, 31
	s_lshl_b64 s[4:5], s[2:3], 3
	v_mov_b32_e32 v1, s5
	v_add_co_u32_e32 v0, vcc, s4, v2
	v_addc_co_u32_e32 v1, vcc, v3, v1, vcc
	v_mov_b32_e32 v4, v6
	s_mov_b32 s4, s16
.LBB134_45:                             ;   Parent Loop BB134_41 Depth=1
                                        ;     Parent Loop BB134_44 Depth=2
                                        ; =>    This Inner Loop Header: Depth=3
	global_load_dwordx2 v[9:10], v[0:1], off offset:-4
	s_add_i32 s4, s4, -1
	v_add_co_u32_e32 v0, vcc, -8, v0
	v_addc_co_u32_e32 v1, vcc, -1, v1, vcc
	s_cmp_eq_u32 s4, 0
	s_waitcnt vmcnt(0)
	v_mul_f32_e32 v5, s11, v10
	v_mul_f32_e32 v11, s10, v10
	v_fma_f32 v10, v9, s10, -v5
	v_fmac_f32_e32 v11, s11, v9
	ds_write_b64 v4, v[10:11]
	v_add_u32_e32 v4, 8, v4
	s_cbranch_scc0 .LBB134_45
; %bb.46:                               ;   in Loop: Header=BB134_44 Depth=2
	s_cmp_le_i32 s12, s2
	s_mov_b32 s6, s17
	s_mov_b32 s4, s12
	s_cbranch_scc1 .LBB134_50
.LBB134_47:                             ;   Parent Loop BB134_41 Depth=1
                                        ;     Parent Loop BB134_44 Depth=2
                                        ; =>    This Loop Header: Depth=3
                                        ;         Child Loop BB134_48 Depth 4
	s_ashr_i32 s5, s4, 31
	s_lshl_b64 s[8:9], s[4:5], 3
	v_mov_b32_e32 v1, s9
	v_add_co_u32_e32 v0, vcc, s8, v7
	v_addc_co_u32_e32 v1, vcc, v8, v1, vcc
	global_load_dwordx2 v[0:1], v[0:1], off
	v_mov_b32_e32 v4, v6
	s_mov_b32 s5, s6
	s_mov_b32 s7, s16
.LBB134_48:                             ;   Parent Loop BB134_41 Depth=1
                                        ;     Parent Loop BB134_44 Depth=2
                                        ;       Parent Loop BB134_47 Depth=3
                                        ; =>      This Inner Loop Header: Depth=4
	v_mov_b32_e32 v5, s5
	ds_read_b64 v[11:12], v5
	ds_read_b64 v[9:10], v4
	s_add_i32 s7, s7, -1
	s_add_i32 s5, s5, -8
	s_cmp_eq_u32 s7, 0
	s_waitcnt vmcnt(0) lgkmcnt(1)
	v_mul_f32_e32 v5, v12, v1
	v_mul_f32_e32 v12, v12, v0
	v_fma_f32 v5, v11, v0, -v5
	v_fmac_f32_e32 v12, v11, v1
	s_waitcnt lgkmcnt(0)
	v_sub_f32_e32 v9, v9, v5
	v_sub_f32_e32 v10, v10, v12
	ds_write_b64 v4, v[9:10]
	v_add_u32_e32 v4, 8, v4
	s_cbranch_scc0 .LBB134_48
; %bb.49:                               ;   in Loop: Header=BB134_47 Depth=3
	s_add_i32 s4, s4, -1
	s_sub_i32 s6, s6, 32
	s_cmp_le_i32 s4, s2
	s_cbranch_scc0 .LBB134_47
.LBB134_50:                             ;   in Loop: Header=BB134_44 Depth=2
	s_mov_b32 s21, 0
	s_mov_b32 s22, s19
	s_branch .LBB134_52
.LBB134_51:                             ;   in Loop: Header=BB134_52 Depth=3
	s_mul_i32 s6, s6, 40
	v_mov_b32_e32 v5, s6
	ds_read_b64 v[9:10], v5
	s_lshl_b64 s[4:5], s[4:5], 3
	v_mov_b32_e32 v5, s5
	s_add_i32 s21, s21, 1
	s_add_i32 s22, s22, -8
	s_waitcnt lgkmcnt(0)
	v_mul_f32_e32 v11, v10, v1
	v_mul_f32_e32 v12, v9, v1
	v_fma_f32 v11, v9, v0, -v11
	v_fmac_f32_e32 v12, v10, v0
	v_add_co_u32_e32 v0, vcc, s4, v7
	v_addc_co_u32_e32 v1, vcc, v8, v5, vcc
	s_cmp_eq_u32 s21, s16
	ds_write_b64 v4, v[11:12]
	global_store_dwordx2 v[0:1], v[11:12], off
	s_cbranch_scc1 .LBB134_43
.LBB134_52:                             ;   Parent Loop BB134_41 Depth=1
                                        ;     Parent Loop BB134_44 Depth=2
                                        ; =>    This Loop Header: Depth=3
                                        ;         Child Loop BB134_54 Depth 4
	s_cmp_lg_u32 s21, 0
	v_lshl_add_u32 v4, s21, 3, v6
	s_cbranch_scc0 .LBB134_56
; %bb.53:                               ;   in Loop: Header=BB134_52 Depth=3
	ds_read_b64 v[0:1], v4
	v_mov_b32_e32 v5, v6
	s_mov_b32 s4, s22
	s_mov_b32 s5, s21
.LBB134_54:                             ;   Parent Loop BB134_41 Depth=1
                                        ;     Parent Loop BB134_44 Depth=2
                                        ;       Parent Loop BB134_52 Depth=3
                                        ; =>      This Inner Loop Header: Depth=4
	v_mov_b32_e32 v11, s4
	ds_read_b64 v[9:10], v5
	ds_read_b64 v[11:12], v11
	s_add_i32 s5, s5, -1
	s_sub_i32 s4, s4, 32
	v_add_u32_e32 v5, 8, v5
	s_cmp_eq_u32 s5, 0
	s_waitcnt lgkmcnt(0)
	v_mul_f32_e32 v13, v12, v10
	v_mul_f32_e32 v10, v11, v10
	v_fma_f32 v11, v11, v9, -v13
	v_fmac_f32_e32 v10, v12, v9
	v_sub_f32_e32 v0, v0, v11
	v_sub_f32_e32 v1, v1, v10
	ds_write_b64 v4, v[0:1]
	s_cbranch_scc0 .LBB134_54
; %bb.55:                               ;   in Loop: Header=BB134_52 Depth=3
	s_sub_i32 s6, s2, s21
	s_ashr_i32 s7, s6, 31
	s_mov_b64 s[4:5], s[6:7]
	s_branch .LBB134_51
.LBB134_56:                             ;   in Loop: Header=BB134_52 Depth=3
                                        ; implicit-def: $vgpr0
                                        ; implicit-def: $sgpr6
                                        ; implicit-def: $sgpr4_sgpr5
	s_cbranch_execz .LBB134_51
; %bb.57:                               ;   in Loop: Header=BB134_52 Depth=3
	ds_read_b64 v[0:1], v6
	s_mov_b64 s[4:5], s[2:3]
	s_mov_b32 s6, s2
	s_branch .LBB134_51
.LBB134_58:
	s_endpgm
	.section	.rodata,"a",@progbits
	.p2align	6, 0x0
	.amdhsa_kernel _ZL30rocblas_trsm_small_left_deviceILi4ELi4ELb0E19rocblas_complex_numIfES1_PKS1_PS1_Ev13rocblas_fill_18rocblas_operation_17rocblas_diagonal_iiT3_T4_lilT5_lili
		.amdhsa_group_segment_fixed_size 256
		.amdhsa_private_segment_fixed_size 0
		.amdhsa_kernarg_size 360
		.amdhsa_user_sgpr_count 8
		.amdhsa_user_sgpr_private_segment_buffer 1
		.amdhsa_user_sgpr_dispatch_ptr 1
		.amdhsa_user_sgpr_queue_ptr 0
		.amdhsa_user_sgpr_kernarg_segment_ptr 1
		.amdhsa_user_sgpr_dispatch_id 0
		.amdhsa_user_sgpr_flat_scratch_init 0
		.amdhsa_user_sgpr_private_segment_size 0
		.amdhsa_uses_dynamic_stack 0
		.amdhsa_system_sgpr_private_segment_wavefront_offset 0
		.amdhsa_system_sgpr_workgroup_id_x 1
		.amdhsa_system_sgpr_workgroup_id_y 0
		.amdhsa_system_sgpr_workgroup_id_z 1
		.amdhsa_system_sgpr_workgroup_info 0
		.amdhsa_system_vgpr_workitem_id 2
		.amdhsa_next_free_vgpr 18
		.amdhsa_next_free_sgpr 32
		.amdhsa_reserve_vcc 1
		.amdhsa_reserve_flat_scratch 0
		.amdhsa_float_round_mode_32 0
		.amdhsa_float_round_mode_16_64 0
		.amdhsa_float_denorm_mode_32 3
		.amdhsa_float_denorm_mode_16_64 3
		.amdhsa_dx10_clamp 1
		.amdhsa_ieee_mode 1
		.amdhsa_fp16_overflow 0
		.amdhsa_exception_fp_ieee_invalid_op 0
		.amdhsa_exception_fp_denorm_src 0
		.amdhsa_exception_fp_ieee_div_zero 0
		.amdhsa_exception_fp_ieee_overflow 0
		.amdhsa_exception_fp_ieee_underflow 0
		.amdhsa_exception_fp_ieee_inexact 0
		.amdhsa_exception_int_div_zero 0
	.end_amdhsa_kernel
	.section	.text._ZL30rocblas_trsm_small_left_deviceILi4ELi4ELb0E19rocblas_complex_numIfES1_PKS1_PS1_Ev13rocblas_fill_18rocblas_operation_17rocblas_diagonal_iiT3_T4_lilT5_lili,"axG",@progbits,_ZL30rocblas_trsm_small_left_deviceILi4ELi4ELb0E19rocblas_complex_numIfES1_PKS1_PS1_Ev13rocblas_fill_18rocblas_operation_17rocblas_diagonal_iiT3_T4_lilT5_lili,comdat
.Lfunc_end134:
	.size	_ZL30rocblas_trsm_small_left_deviceILi4ELi4ELb0E19rocblas_complex_numIfES1_PKS1_PS1_Ev13rocblas_fill_18rocblas_operation_17rocblas_diagonal_iiT3_T4_lilT5_lili, .Lfunc_end134-_ZL30rocblas_trsm_small_left_deviceILi4ELi4ELb0E19rocblas_complex_numIfES1_PKS1_PS1_Ev13rocblas_fill_18rocblas_operation_17rocblas_diagonal_iiT3_T4_lilT5_lili
                                        ; -- End function
	.set _ZL30rocblas_trsm_small_left_deviceILi4ELi4ELb0E19rocblas_complex_numIfES1_PKS1_PS1_Ev13rocblas_fill_18rocblas_operation_17rocblas_diagonal_iiT3_T4_lilT5_lili.num_vgpr, 18
	.set _ZL30rocblas_trsm_small_left_deviceILi4ELi4ELb0E19rocblas_complex_numIfES1_PKS1_PS1_Ev13rocblas_fill_18rocblas_operation_17rocblas_diagonal_iiT3_T4_lilT5_lili.num_agpr, 0
	.set _ZL30rocblas_trsm_small_left_deviceILi4ELi4ELb0E19rocblas_complex_numIfES1_PKS1_PS1_Ev13rocblas_fill_18rocblas_operation_17rocblas_diagonal_iiT3_T4_lilT5_lili.numbered_sgpr, 32
	.set _ZL30rocblas_trsm_small_left_deviceILi4ELi4ELb0E19rocblas_complex_numIfES1_PKS1_PS1_Ev13rocblas_fill_18rocblas_operation_17rocblas_diagonal_iiT3_T4_lilT5_lili.num_named_barrier, 0
	.set _ZL30rocblas_trsm_small_left_deviceILi4ELi4ELb0E19rocblas_complex_numIfES1_PKS1_PS1_Ev13rocblas_fill_18rocblas_operation_17rocblas_diagonal_iiT3_T4_lilT5_lili.private_seg_size, 0
	.set _ZL30rocblas_trsm_small_left_deviceILi4ELi4ELb0E19rocblas_complex_numIfES1_PKS1_PS1_Ev13rocblas_fill_18rocblas_operation_17rocblas_diagonal_iiT3_T4_lilT5_lili.uses_vcc, 1
	.set _ZL30rocblas_trsm_small_left_deviceILi4ELi4ELb0E19rocblas_complex_numIfES1_PKS1_PS1_Ev13rocblas_fill_18rocblas_operation_17rocblas_diagonal_iiT3_T4_lilT5_lili.uses_flat_scratch, 0
	.set _ZL30rocblas_trsm_small_left_deviceILi4ELi4ELb0E19rocblas_complex_numIfES1_PKS1_PS1_Ev13rocblas_fill_18rocblas_operation_17rocblas_diagonal_iiT3_T4_lilT5_lili.has_dyn_sized_stack, 0
	.set _ZL30rocblas_trsm_small_left_deviceILi4ELi4ELb0E19rocblas_complex_numIfES1_PKS1_PS1_Ev13rocblas_fill_18rocblas_operation_17rocblas_diagonal_iiT3_T4_lilT5_lili.has_recursion, 0
	.set _ZL30rocblas_trsm_small_left_deviceILi4ELi4ELb0E19rocblas_complex_numIfES1_PKS1_PS1_Ev13rocblas_fill_18rocblas_operation_17rocblas_diagonal_iiT3_T4_lilT5_lili.has_indirect_call, 0
	.section	.AMDGPU.csdata,"",@progbits
; Kernel info:
; codeLenInByte = 2352
; TotalNumSgprs: 36
; NumVgprs: 18
; ScratchSize: 0
; MemoryBound: 0
; FloatMode: 240
; IeeeMode: 1
; LDSByteSize: 256 bytes/workgroup (compile time only)
; SGPRBlocks: 4
; VGPRBlocks: 4
; NumSGPRsForWavesPerEU: 36
; NumVGPRsForWavesPerEU: 18
; Occupancy: 10
; WaveLimiterHint : 0
; COMPUTE_PGM_RSRC2:SCRATCH_EN: 0
; COMPUTE_PGM_RSRC2:USER_SGPR: 8
; COMPUTE_PGM_RSRC2:TRAP_HANDLER: 0
; COMPUTE_PGM_RSRC2:TGID_X_EN: 1
; COMPUTE_PGM_RSRC2:TGID_Y_EN: 0
; COMPUTE_PGM_RSRC2:TGID_Z_EN: 1
; COMPUTE_PGM_RSRC2:TIDIG_COMP_CNT: 2
	.section	.text._ZL38rocblas_trsm_small_left_device_sharedBILi4ELi4ELb1E19rocblas_complex_numIfES1_PKS1_PS1_Ev13rocblas_fill_18rocblas_operation_17rocblas_diagonal_iiT3_T4_lilT5_lili,"axG",@progbits,_ZL38rocblas_trsm_small_left_device_sharedBILi4ELi4ELb1E19rocblas_complex_numIfES1_PKS1_PS1_Ev13rocblas_fill_18rocblas_operation_17rocblas_diagonal_iiT3_T4_lilT5_lili,comdat
	.globl	_ZL38rocblas_trsm_small_left_device_sharedBILi4ELi4ELb1E19rocblas_complex_numIfES1_PKS1_PS1_Ev13rocblas_fill_18rocblas_operation_17rocblas_diagonal_iiT3_T4_lilT5_lili ; -- Begin function _ZL38rocblas_trsm_small_left_device_sharedBILi4ELi4ELb1E19rocblas_complex_numIfES1_PKS1_PS1_Ev13rocblas_fill_18rocblas_operation_17rocblas_diagonal_iiT3_T4_lilT5_lili
	.p2align	8
	.type	_ZL38rocblas_trsm_small_left_device_sharedBILi4ELi4ELb1E19rocblas_complex_numIfES1_PKS1_PS1_Ev13rocblas_fill_18rocblas_operation_17rocblas_diagonal_iiT3_T4_lilT5_lili,@function
_ZL38rocblas_trsm_small_left_device_sharedBILi4ELi4ELb1E19rocblas_complex_numIfES1_PKS1_PS1_Ev13rocblas_fill_18rocblas_operation_17rocblas_diagonal_iiT3_T4_lilT5_lili: ; @_ZL38rocblas_trsm_small_left_device_sharedBILi4ELi4ELb1E19rocblas_complex_numIfES1_PKS1_PS1_Ev13rocblas_fill_18rocblas_operation_17rocblas_diagonal_iiT3_T4_lilT5_lili
; %bb.0:
	s_load_dwordx4 s[12:15], s[6:7], 0x4
	s_load_dwordx2 s[18:19], s[6:7], 0x14
	s_load_dwordx4 s[0:3], s[6:7], 0x38
	s_load_dwordx2 s[10:11], s[6:7], 0x48
	s_load_dword s25, s[6:7], 0x68
	s_waitcnt lgkmcnt(0)
	s_min_i32 s24, s14, 4
	v_cmp_gt_i32_e32 vcc, s24, v0
	s_and_saveexec_b64 s[16:17], vcc
	s_cbranch_execz .LBB135_15
; %bb.1:
	s_load_dword s22, s[6:7], 0x30
	s_load_dwordx4 s[28:31], s[6:7], 0x20
	s_mul_i32 s1, s1, s9
	s_mul_hi_u32 s26, s0, s9
	s_mul_i32 s0, s0, s9
	s_waitcnt lgkmcnt(0)
	s_ashr_i32 s23, s22, 31
	s_cmpk_lg_i32 s12, 0x71
	s_cselect_b64 s[20:21], -1, 0
	s_add_i32 s1, s26, s1
	s_lshl_b64 s[0:1], s[0:1], 3
	s_lshl_b64 s[26:27], s[30:31], 3
	s_add_u32 s0, s0, s26
	s_addc_u32 s1, s1, s27
	s_add_u32 s0, s28, s0
	v_lshlrev_b32_e32 v7, 3, v0
	s_addc_u32 s1, s29, s1
	v_mov_b32_e32 v3, s1
	v_add_co_u32_e32 v4, vcc, s0, v7
	v_addc_co_u32_e32 v5, vcc, 0, v3, vcc
	v_add_co_u32_e32 v3, vcc, 4, v4
	s_lshl_b64 s[0:1], s[22:23], 3
	v_addc_co_u32_e32 v4, vcc, 0, v5, vcc
	v_mov_b32_e32 v8, s1
	v_mov_b32_e32 v9, v7
	s_mov_b32 s1, s24
	s_branch .LBB135_3
.LBB135_2:                              ;   in Loop: Header=BB135_3 Depth=1
	global_load_dword v5, v[3:4], off offset:-4
	s_add_i32 s1, s1, -1
	v_add_co_u32_e32 v3, vcc, s0, v3
	v_addc_co_u32_e32 v4, vcc, v4, v8, vcc
	s_cmp_eq_u32 s1, 0
	s_waitcnt vmcnt(0)
	ds_write_b64 v9, v[5:6]
	v_add_u32_e32 v9, 32, v9
	s_cbranch_scc1 .LBB135_7
.LBB135_3:                              ; =>This Inner Loop Header: Depth=1
	s_mov_b64 s[22:23], -1
	s_and_b64 vcc, exec, s[20:21]
                                        ; implicit-def: $vgpr6
	s_cbranch_vccz .LBB135_5
; %bb.4:                                ;   in Loop: Header=BB135_3 Depth=1
	global_load_dword v6, v[3:4], off
	s_mov_b64 s[22:23], 0
.LBB135_5:                              ;   in Loop: Header=BB135_3 Depth=1
	s_andn2_b64 vcc, exec, s[22:23]
	s_cbranch_vccnz .LBB135_2
; %bb.6:                                ;   in Loop: Header=BB135_3 Depth=1
	global_load_dword v5, v[3:4], off
	s_waitcnt vmcnt(0)
	v_xor_b32_e32 v6, 0x80000000, v5
	s_branch .LBB135_2
.LBB135_7:
	v_lshlrev_b32_e32 v3, 5, v0
	s_cmpk_lg_i32 s13, 0x84
	s_mov_b64 s[0:1], -1
	v_add_u32_e32 v7, v7, v3
	s_cbranch_scc0 .LBB135_13
; %bb.8:
	ds_read_b64 v[3:4], v7
                                        ; implicit-def: $vgpr5
	s_waitcnt lgkmcnt(0)
	v_cmp_ngt_f32_e64 s[0:1], |v3|, |v4|
	s_and_saveexec_b64 s[20:21], s[0:1]
	s_xor_b64 s[0:1], exec, s[20:21]
	s_cbranch_execz .LBB135_10
; %bb.9:
	v_div_scale_f32 v5, s[20:21], v4, v4, v3
	v_div_scale_f32 v6, vcc, v3, v4, v3
	v_rcp_f32_e32 v8, v5
	v_fma_f32 v9, -v5, v8, 1.0
	v_fmac_f32_e32 v8, v9, v8
	v_mul_f32_e32 v9, v6, v8
	v_fma_f32 v10, -v5, v9, v6
	v_fmac_f32_e32 v9, v10, v8
	v_fma_f32 v5, -v5, v9, v6
	v_div_fmas_f32 v5, v5, v8, v9
	v_div_fixup_f32 v5, v5, v4, v3
	v_fmac_f32_e32 v4, v3, v5
	v_div_scale_f32 v3, s[20:21], v4, v4, 1.0
	v_div_scale_f32 v6, vcc, 1.0, v4, 1.0
	v_rcp_f32_e32 v8, v3
	v_fma_f32 v9, -v3, v8, 1.0
	v_fmac_f32_e32 v8, v9, v8
	v_mul_f32_e32 v9, v6, v8
	v_fma_f32 v10, -v3, v9, v6
	v_fmac_f32_e32 v9, v10, v8
	v_fma_f32 v3, -v3, v9, v6
	v_div_fmas_f32 v3, v3, v8, v9
	v_add_f32_e32 v6, 0, v5
	v_fma_f32 v8, v5, 0, -1.0
	v_div_fixup_f32 v3, v3, v4, 1.0
	v_mul_f32_e32 v5, v6, v3
	v_mul_f32_e32 v6, v8, v3
                                        ; implicit-def: $vgpr3_vgpr4
.LBB135_10:
	s_andn2_saveexec_b64 s[0:1], s[0:1]
	s_cbranch_execz .LBB135_12
; %bb.11:
	v_div_scale_f32 v5, s[20:21], v3, v3, v4
	v_div_scale_f32 v6, vcc, v4, v3, v4
	v_rcp_f32_e32 v8, v5
	v_fma_f32 v9, -v5, v8, 1.0
	v_fmac_f32_e32 v8, v9, v8
	v_mul_f32_e32 v9, v6, v8
	v_fma_f32 v10, -v5, v9, v6
	v_fmac_f32_e32 v9, v10, v8
	v_fma_f32 v5, -v5, v9, v6
	v_div_fmas_f32 v5, v5, v8, v9
	v_div_fixup_f32 v6, v5, v3, v4
	v_fmac_f32_e32 v3, v4, v6
	v_div_scale_f32 v4, s[20:21], v3, v3, 1.0
	v_div_scale_f32 v5, vcc, 1.0, v3, 1.0
	v_rcp_f32_e32 v8, v4
	v_fma_f32 v9, -v4, v8, 1.0
	v_fmac_f32_e32 v8, v9, v8
	v_mul_f32_e32 v9, v5, v8
	v_fma_f32 v10, -v4, v9, v5
	v_fmac_f32_e32 v9, v10, v8
	v_fma_f32 v4, -v4, v9, v5
	v_div_fmas_f32 v4, v4, v8, v9
	v_fma_f32 v5, v6, 0, 1.0
	v_div_fixup_f32 v3, v4, v3, 1.0
	v_mul_f32_e32 v5, v5, v3
	v_mul_f32_e64 v6, -v6, v3
.LBB135_12:
	s_or_b64 exec, exec, s[0:1]
	s_mov_b64 s[0:1], 0
	ds_write_b64 v7, v[5:6]
.LBB135_13:
	s_and_b64 vcc, exec, s[0:1]
	s_cbranch_vccz .LBB135_15
; %bb.14:
	v_mov_b32_e32 v3, 1.0
	v_mov_b32_e32 v4, 0
	ds_write_b64 v7, v[3:4]
.LBB135_15:
	s_or_b64 exec, exec, s[16:17]
	s_load_dword s22, s[6:7], 0x50
	s_load_dwordx2 s[0:1], s[6:7], 0x58
	s_add_i32 s25, s25, -1
	s_waitcnt lgkmcnt(0)
	s_ashr_i32 s13, s22, 31
	s_mul_i32 s1, s1, s9
	s_mul_hi_u32 s6, s0, s9
	s_add_i32 s17, s6, s1
	s_lshl_b32 s6, s8, 2
	s_mul_i32 s16, s0, s9
	s_sub_i32 s0, s15, s6
	s_cmp_ge_u32 s8, s25
	s_cselect_b32 s0, s0, 4
	s_ashr_i32 s7, s6, 31
	s_cmp_gt_i32 s14, 0
	v_cmp_gt_i32_e64 s[0:1], s0, v0
	s_cselect_b64 s[8:9], -1, 0
	s_and_b64 s[26:27], s[0:1], s[8:9]
	s_and_saveexec_b64 s[20:21], s[26:27]
	s_cbranch_execz .LBB135_18
; %bb.16:
	v_lshlrev_b32_e32 v5, 3, v0
	s_lshl_b64 s[28:29], s[6:7], 3
	s_lshl_b64 s[26:27], s[16:17], 3
	v_mov_b32_e32 v3, s29
	v_add_co_u32_e32 v6, vcc, s28, v5
	s_lshl_b64 s[28:29], s[10:11], 3
	s_add_u32 s7, s2, s28
	s_addc_u32 s15, s3, s29
	s_add_u32 s26, s7, s26
	v_addc_co_u32_e32 v7, vcc, 0, v3, vcc
	s_addc_u32 s27, s15, s27
	v_mov_b32_e32 v3, s26
	v_mov_b32_e32 v4, s27
	v_mad_u64_u32 v[3:4], s[26:27], v6, s22, v[3:4]
	v_mul_lo_u32 v6, v6, s13
	v_mul_lo_u32 v7, v7, s22
	v_add_co_u32_e32 v3, vcc, 4, v3
	v_or_b32_e32 v5, 0x80, v5
	v_add3_u32 v4, v7, v4, v6
	v_addc_co_u32_e32 v4, vcc, 0, v4, vcc
	s_mov_b32 s7, s24
.LBB135_17:                             ; =>This Inner Loop Header: Depth=1
	global_load_dwordx2 v[6:7], v[3:4], off offset:-4
	s_add_i32 s7, s7, -1
	v_add_co_u32_e32 v3, vcc, 8, v3
	v_addc_co_u32_e32 v4, vcc, 0, v4, vcc
	s_cmp_lg_u32 s7, 0
	s_waitcnt vmcnt(0)
	v_mul_f32_e32 v9, s19, v7
	v_mul_f32_e32 v8, s18, v7
	v_fma_f32 v7, s18, v6, -v9
	v_fmac_f32_e32 v8, s19, v6
	ds_write_b64 v5, v[7:8]
	v_add_u32_e32 v5, 32, v5
	s_cbranch_scc1 .LBB135_17
.LBB135_18:
	s_or_b64 exec, exec, s[20:21]
	s_load_dwordx2 s[18:19], s[4:5], 0x4
	v_mov_b32_e32 v3, 0x100
	s_waitcnt lgkmcnt(0)
	; wave barrier
	s_lshr_b32 s4, s18, 16
	s_mul_i32 s4, s4, s19
	v_mul_u32_u24_e32 v1, s19, v1
	v_mul_u32_u24_e32 v4, s4, v0
	v_add3_u32 v1, v4, v1, v2
	v_lshl_add_u32 v5, v1, 5, v3
	v_mov_b32_e32 v1, 0x80
	s_cmpk_eq_i32 s12, 0x6f
	v_lshl_or_b32 v6, v0, 3, v1
	s_mov_b64 s[4:5], -1
	s_cbranch_scc1 .LBB135_38
; %bb.19:
	s_add_i32 s4, s24, -1
	s_cmp_gt_i32 s14, 3
	s_mov_b32 s7, s4
	s_cbranch_scc0 .LBB135_21
; %bb.20:
	ds_read2_b64 v[1:4], v6 offset0:8 offset1:12
	v_mov_b32_e32 v23, 0
	ds_read2_b64 v[7:10], v23 offset0:7 offset1:15
	s_mov_b32 s7, -1
	s_waitcnt lgkmcnt(1)
	v_mov_b32_e32 v11, v3
	v_mov_b32_e32 v12, v4
	;; [unrolled: 1-line block ×4, first 2 shown]
	ds_write_b128 v5, v[11:14]
	ds_read_b128 v[11:14], v23 offset:80
	s_waitcnt lgkmcnt(2)
	v_mul_f32_e32 v20, v9, v4
	v_mul_f32_e32 v15, v10, v4
	v_fmac_f32_e32 v20, v10, v3
	v_fma_f32 v19, v9, v3, -v15
	ds_read2_b64 v[15:18], v23 offset0:5 offset1:6
	s_waitcnt lgkmcnt(1)
	v_mul_f32_e32 v4, v13, v20
	v_mul_f32_e32 v3, v14, v20
	v_fmac_f32_e32 v4, v14, v19
	v_fma_f32 v3, v13, v19, -v3
	v_sub_f32_e32 v2, v2, v4
	v_sub_f32_e32 v1, v1, v3
	v_mul_f32_e32 v3, v12, v2
	v_mul_f32_e32 v22, v11, v2
	v_fma_f32 v21, v11, v1, -v3
	v_fmac_f32_e32 v22, v12, v1
	v_mul_f32_e32 v1, v8, v20
	v_fma_f32 v11, v7, v19, -v1
	ds_read2_b64 v[1:4], v6 offset1:4
	v_mul_f32_e32 v12, v7, v20
	v_fmac_f32_e32 v12, v8, v19
	s_waitcnt lgkmcnt(0)
	v_mov_b32_e32 v8, v4
	v_mov_b32_e32 v10, v2
	v_sub_f32_e32 v2, v4, v12
	v_mul_f32_e32 v4, v17, v22
	v_mov_b32_e32 v7, v3
	v_mov_b32_e32 v9, v1
	v_sub_f32_e32 v1, v3, v11
	v_mul_f32_e32 v3, v18, v22
	v_fmac_f32_e32 v4, v18, v21
	v_fma_f32 v3, v17, v21, -v3
	v_sub_f32_e32 v2, v2, v4
	v_sub_f32_e32 v1, v1, v3
	v_mul_f32_e32 v3, v16, v2
	v_mul_f32_e32 v18, v15, v2
	v_fma_f32 v17, v15, v1, -v3
	v_fmac_f32_e32 v18, v16, v1
	ds_read_b128 v[1:4], v23
	ds_read_b128 v[11:14], v23 offset:16
	ds_write_b128 v5, v[7:10] offset:16
	ds_write2_b64 v5, v[19:20], v[21:22] offset1:1
	ds_write2_b64 v6, v[21:22], v[19:20] offset0:8 offset1:12
	ds_read_b64 v[7:8], v5 offset:24
	s_waitcnt lgkmcnt(4)
	v_mul_f32_e32 v9, v14, v20
	v_fma_f32 v9, v13, v19, -v9
	v_mul_f32_e32 v10, v13, v20
	s_waitcnt lgkmcnt(0)
	v_sub_f32_e32 v7, v7, v9
	v_mul_f32_e32 v9, v12, v22
	v_fmac_f32_e32 v10, v14, v19
	v_fma_f32 v9, v11, v21, -v9
	v_sub_f32_e32 v8, v8, v10
	v_mul_f32_e32 v10, v11, v22
	v_sub_f32_e32 v7, v7, v9
	v_mul_f32_e32 v9, v4, v18
	v_fmac_f32_e32 v10, v12, v21
	v_fma_f32 v9, v3, v17, -v9
	v_mul_f32_e32 v3, v3, v18
	v_sub_f32_e32 v8, v8, v10
	v_fmac_f32_e32 v3, v4, v17
	v_sub_f32_e32 v4, v8, v3
	v_sub_f32_e32 v7, v7, v9
	v_mul_f32_e32 v3, v2, v4
	v_mul_f32_e32 v4, v1, v4
	v_fma_f32 v3, v1, v7, -v3
	v_fmac_f32_e32 v4, v2, v7
	ds_write2_b64 v5, v[17:18], v[3:4] offset0:2 offset1:3
	ds_write2_b64 v6, v[3:4], v[17:18] offset1:4
.LBB135_21:
	s_cmp_gt_i32 s7, -1
	s_cbranch_scc0 .LBB135_37
; %bb.22:
	s_bitcmp1_b32 s7, 0
	s_cselect_b64 s[12:13], -1, 0
	s_and_b64 vcc, exec, s[12:13]
	s_mov_b32 s5, s7
	s_cbranch_vccnz .LBB135_28
; %bb.23:
	s_lshl_b32 s5, s7, 5
	v_add_u32_e32 v3, s5, v6
	ds_read_b64 v[1:2], v3
	s_cmp_le_i32 s4, s7
	s_waitcnt lgkmcnt(0)
	ds_write_b64 v5, v[1:2]
	s_cbranch_scc1 .LBB135_27
; %bb.24:
	s_lshl_b32 s12, s24, 3
	v_lshlrev_b32_e32 v4, 3, v0
	s_add_i32 s5, s5, s12
	v_lshl_or_b32 v4, s24, 5, v4
	s_add_i32 s5, s5, -8
	v_add_u32_e32 v4, 0x60, v4
	s_mov_b32 s12, s4
.LBB135_25:                             ; =>This Inner Loop Header: Depth=1
	v_mov_b32_e32 v9, s5
	ds_read_b64 v[7:8], v4
	ds_read_b64 v[9:10], v9
	s_add_i32 s12, s12, -1
	s_add_i32 s5, s5, -8
	v_subrev_u32_e32 v4, 32, v4
	s_cmp_gt_i32 s12, s7
	s_waitcnt lgkmcnt(0)
	v_mul_f32_e32 v11, v10, v8
	v_mul_f32_e32 v10, v10, v7
	v_fma_f32 v7, v9, v7, -v11
	v_fmac_f32_e32 v10, v9, v8
	v_sub_f32_e32 v1, v1, v7
	v_sub_f32_e32 v2, v2, v10
	s_cbranch_scc1 .LBB135_25
; %bb.26:
	ds_write_b64 v5, v[1:2]
.LBB135_27:
	s_mul_i32 s5, s7, 40
	v_mov_b32_e32 v4, s5
	ds_read_b64 v[7:8], v4
	s_add_i32 s5, s7, -1
	s_waitcnt lgkmcnt(0)
	v_mul_f32_e32 v4, v8, v2
	v_mul_f32_e32 v10, v7, v2
	v_fma_f32 v9, v7, v1, -v4
	v_fmac_f32_e32 v10, v8, v1
	ds_write_b64 v5, v[9:10]
	ds_write_b64 v3, v[9:10]
.LBB135_28:
	s_cmp_eq_u32 s7, 0
	s_cbranch_scc1 .LBB135_37
; %bb.29:
	s_lshl_b32 s7, s5, 5
	s_lshl_b32 s12, s24, 3
	v_lshlrev_b32_e32 v1, 3, v0
	s_add_i32 s12, s7, s12
	v_lshl_or_b32 v1, s24, 5, v1
	s_add_i32 s7, s12, -8
	v_add_u32_e32 v7, 0x60, v1
	s_sub_i32 s12, s12, 40
	s_branch .LBB135_31
.LBB135_30:                             ;   in Loop: Header=BB135_31 Depth=1
	s_sub_i32 s13, s13, 40
	v_mov_b32_e32 v3, s13
	ds_read_b64 v[3:4], v3
	s_add_i32 s13, s5, -2
	s_sub_i32 s7, s7, 64
	s_sub_i32 s12, s12, 64
	s_cmp_lt_i32 s5, 2
	s_waitcnt lgkmcnt(0)
	v_mul_f32_e32 v9, v4, v2
	v_mul_f32_e32 v10, v3, v2
	v_fma_f32 v9, v3, v1, -v9
	v_fmac_f32_e32 v10, v4, v1
	s_mov_b32 s5, s13
	ds_write_b64 v5, v[9:10]
	ds_write_b64 v8, v[9:10]
	s_cbranch_scc1 .LBB135_37
.LBB135_31:                             ; =>This Loop Header: Depth=1
                                        ;     Child Loop BB135_32 Depth 2
                                        ;     Child Loop BB135_35 Depth 2
	s_lshl_b32 s14, s5, 5
	v_add_u32_e32 v9, s14, v6
	ds_read_b64 v[3:4], v9
	v_mov_b32_e32 v1, v7
	s_mov_b32 s13, s7
	s_cmp_le_i32 s4, s5
	s_mov_b32 s15, s4
	s_waitcnt lgkmcnt(0)
	ds_write_b64 v5, v[3:4]
	s_cbranch_scc1 .LBB135_34
.LBB135_32:                             ;   Parent Loop BB135_31 Depth=1
                                        ; =>  This Inner Loop Header: Depth=2
	v_mov_b32_e32 v2, s13
	ds_read_b64 v[10:11], v1
	ds_read_b64 v[12:13], v2
	s_add_i32 s15, s15, -1
	s_add_i32 s13, s13, -8
	v_subrev_u32_e32 v1, 32, v1
	s_cmp_gt_i32 s15, s5
	s_waitcnt lgkmcnt(0)
	v_mul_f32_e32 v2, v13, v11
	v_mul_f32_e32 v8, v13, v10
	v_fma_f32 v2, v12, v10, -v2
	v_fmac_f32_e32 v8, v12, v11
	v_sub_f32_e32 v3, v3, v2
	v_sub_f32_e32 v4, v4, v8
	s_cbranch_scc1 .LBB135_32
; %bb.33:                               ;   in Loop: Header=BB135_31 Depth=1
	ds_write_b64 v5, v[3:4]
.LBB135_34:                             ;   in Loop: Header=BB135_31 Depth=1
	s_mul_i32 s13, s5, 40
	v_mov_b32_e32 v1, s13
	ds_read_b64 v[10:11], v1
	s_sub_i32 s14, s14, 32
	v_add_u32_e32 v8, s14, v6
	ds_read_b64 v[1:2], v8
	s_cmp_le_i32 s24, s5
	s_waitcnt lgkmcnt(1)
	v_mul_f32_e32 v12, v11, v4
	v_mul_f32_e32 v13, v10, v4
	v_fma_f32 v12, v10, v3, -v12
	v_fmac_f32_e32 v13, v11, v3
	v_mov_b32_e32 v3, v7
	s_mov_b32 s14, s12
	s_mov_b32 s15, s24
	ds_write_b64 v9, v[12:13]
	s_waitcnt lgkmcnt(1)
	ds_write_b64 v5, v[1:2]
	s_cbranch_scc1 .LBB135_30
.LBB135_35:                             ;   Parent Loop BB135_31 Depth=1
                                        ; =>  This Inner Loop Header: Depth=2
	v_mov_b32_e32 v4, s14
	ds_read_b64 v[9:10], v3
	ds_read_b64 v[11:12], v4
	s_add_i32 s15, s15, -1
	s_add_i32 s14, s14, -8
	v_subrev_u32_e32 v3, 32, v3
	s_cmp_gt_i32 s15, s5
	s_waitcnt lgkmcnt(0)
	v_mul_f32_e32 v4, v12, v10
	v_mul_f32_e32 v12, v12, v9
	v_fma_f32 v4, v11, v9, -v4
	v_fmac_f32_e32 v12, v11, v10
	v_sub_f32_e32 v1, v1, v4
	v_sub_f32_e32 v2, v2, v12
	s_cbranch_scc1 .LBB135_35
; %bb.36:                               ;   in Loop: Header=BB135_31 Depth=1
	ds_write_b64 v5, v[1:2]
	s_branch .LBB135_30
.LBB135_37:
	s_mov_b64 s[4:5], 0
.LBB135_38:
	s_and_b64 vcc, exec, s[4:5]
	s_cbranch_vccz .LBB135_59
; %bb.39:
	v_mov_b32_e32 v1, 0x80
	s_mov_b32 s5, 0
	v_lshl_or_b32 v3, v0, 3, v1
	s_mov_b32 s4, s5
	s_mov_b32 s7, s5
	s_branch .LBB135_41
.LBB135_40:                             ;   in Loop: Header=BB135_41 Depth=1
	s_cmp_ge_i32 s7, s24
	s_cselect_b64 s[12:13], -1, 0
	s_add_i32 s4, s4, 1
	s_cmp_eq_u32 s4, 3
	s_cselect_b64 s[14:15], -1, 0
	s_or_b64 s[12:13], s[12:13], s[14:15]
	s_and_b64 vcc, exec, s[12:13]
	s_cbranch_vccnz .LBB135_59
.LBB135_41:                             ; =>This Loop Header: Depth=1
                                        ;     Child Loop BB135_44 Depth 2
                                        ;       Child Loop BB135_45 Depth 3
                                        ;       Child Loop BB135_48 Depth 3
                                        ;         Child Loop BB135_49 Depth 4
                                        ;       Child Loop BB135_53 Depth 3
                                        ;         Child Loop BB135_55 Depth 4
	s_lshl_b64 s[12:13], s[4:5], 2
	s_getpc_b64 s[14:15]
	s_add_u32 s14, s14, __const._ZL38rocblas_trsm_small_left_device_sharedBILi4ELi4ELb1E19rocblas_complex_numIfES1_PKS1_PS1_Ev13rocblas_fill_18rocblas_operation_17rocblas_diagonal_iiT3_T4_lilT5_lili.step_sizes@rel32@lo+4
	s_addc_u32 s15, s15, __const._ZL38rocblas_trsm_small_left_device_sharedBILi4ELi4ELb1E19rocblas_complex_numIfES1_PKS1_PS1_Ev13rocblas_fill_18rocblas_operation_17rocblas_diagonal_iiT3_T4_lilT5_lili.step_sizes@rel32@hi+12
	s_add_u32 s12, s14, s12
	s_addc_u32 s13, s15, s13
	s_load_dword s14, s[12:13], 0x0
	s_waitcnt lgkmcnt(0)
	s_add_i32 s15, s14, -1
	s_add_i32 s12, s15, s7
	s_cmp_ge_i32 s12, s24
	s_cbranch_scc1 .LBB135_40
; %bb.42:                               ;   in Loop: Header=BB135_41 Depth=1
	s_max_i32 s18, s14, 1
	v_lshl_add_u32 v4, s7, 5, v3
	s_lshl_b32 s19, s14, 5
	s_lshl_b32 s20, s7, 3
	;; [unrolled: 1-line block ×3, first 2 shown]
	s_mul_i32 s23, s7, 40
	s_mul_i32 s25, s14, 40
	s_branch .LBB135_44
.LBB135_43:                             ;   in Loop: Header=BB135_44 Depth=2
	s_add_i32 s7, s7, s14
	s_add_i32 s12, s15, s7
	;; [unrolled: 1-line block ×4, first 2 shown]
	s_cmp_ge_i32 s12, s24
	v_add_u32_e32 v4, s19, v4
	s_cbranch_scc1 .LBB135_40
.LBB135_44:                             ;   Parent Loop BB135_41 Depth=1
                                        ; =>  This Loop Header: Depth=2
                                        ;       Child Loop BB135_45 Depth 3
                                        ;       Child Loop BB135_48 Depth 3
                                        ;         Child Loop BB135_49 Depth 4
                                        ;       Child Loop BB135_53 Depth 3
                                        ;         Child Loop BB135_55 Depth 4
	v_mov_b32_e32 v1, v5
	v_mov_b32_e32 v2, v4
	s_mov_b32 s12, s18
.LBB135_45:                             ;   Parent Loop BB135_41 Depth=1
                                        ;     Parent Loop BB135_44 Depth=2
                                        ; =>    This Inner Loop Header: Depth=3
	ds_read_b64 v[7:8], v2
	s_add_i32 s12, s12, -1
	v_add_u32_e32 v2, 32, v2
	s_cmp_eq_u32 s12, 0
	s_waitcnt lgkmcnt(0)
	ds_write_b64 v1, v[7:8]
	v_add_u32_e32 v1, 8, v1
	s_cbranch_scc0 .LBB135_45
; %bb.46:                               ;   in Loop: Header=BB135_44 Depth=2
	s_cmp_lt_i32 s7, 1
	s_cbranch_scc1 .LBB135_51
; %bb.47:                               ;   in Loop: Header=BB135_44 Depth=2
	s_mov_b32 s12, 0
	s_mov_b32 s13, s20
.LBB135_48:                             ;   Parent Loop BB135_41 Depth=1
                                        ;     Parent Loop BB135_44 Depth=2
                                        ; =>    This Loop Header: Depth=3
                                        ;         Child Loop BB135_49 Depth 4
	v_lshl_add_u32 v1, s12, 5, v6
	ds_read_b64 v[1:2], v1
	v_mov_b32_e32 v7, v5
	s_mov_b32 s26, s13
	s_mov_b32 s27, s18
.LBB135_49:                             ;   Parent Loop BB135_41 Depth=1
                                        ;     Parent Loop BB135_44 Depth=2
                                        ;       Parent Loop BB135_48 Depth=3
                                        ; =>      This Inner Loop Header: Depth=4
	v_mov_b32_e32 v10, s26
	ds_read_b64 v[10:11], v10
	ds_read_b64 v[8:9], v7
	s_add_i32 s27, s27, -1
	s_add_i32 s26, s26, 8
	s_cmp_eq_u32 s27, 0
	s_waitcnt lgkmcnt(1)
	v_mul_f32_e32 v12, v11, v2
	v_mul_f32_e32 v11, v11, v1
	v_fma_f32 v12, v10, v1, -v12
	v_fmac_f32_e32 v11, v10, v2
	s_waitcnt lgkmcnt(0)
	v_sub_f32_e32 v8, v8, v12
	v_sub_f32_e32 v9, v9, v11
	ds_write_b64 v7, v[8:9]
	v_add_u32_e32 v7, 8, v7
	s_cbranch_scc0 .LBB135_49
; %bb.50:                               ;   in Loop: Header=BB135_48 Depth=3
	s_add_i32 s12, s12, 1
	s_add_i32 s13, s13, 32
	s_cmp_eq_u32 s12, s7
	s_cbranch_scc0 .LBB135_48
.LBB135_51:                             ;   in Loop: Header=BB135_44 Depth=2
	s_mov_b32 s26, 0
	s_mov_b32 s27, s23
	s_branch .LBB135_53
.LBB135_52:                             ;   in Loop: Header=BB135_53 Depth=3
	s_add_i32 s12, s26, s7
	s_mul_i32 s13, s12, 40
	v_mov_b32_e32 v8, s13
	ds_read_b64 v[8:9], v8
	s_add_i32 s26, s26, 1
	s_add_i32 s27, s27, 8
	v_lshl_add_u32 v12, s12, 5, v6
	s_cmp_eq_u32 s26, s18
	s_waitcnt lgkmcnt(0)
	v_mul_f32_e32 v10, v9, v2
	v_mul_f32_e32 v11, v8, v2
	v_fma_f32 v10, v8, v1, -v10
	v_fmac_f32_e32 v11, v9, v1
	ds_write_b64 v7, v[10:11]
	ds_write_b64 v12, v[10:11]
	s_cbranch_scc1 .LBB135_43
.LBB135_53:                             ;   Parent Loop BB135_41 Depth=1
                                        ;     Parent Loop BB135_44 Depth=2
                                        ; =>    This Loop Header: Depth=3
                                        ;         Child Loop BB135_55 Depth 4
	s_cmp_lg_u32 s26, 0
	v_lshl_add_u32 v7, s26, 3, v5
	s_cbranch_scc0 .LBB135_57
; %bb.54:                               ;   in Loop: Header=BB135_53 Depth=3
	ds_read_b64 v[1:2], v7
	v_mov_b32_e32 v8, v5
	s_mov_b32 s12, s27
	s_mov_b32 s13, s26
.LBB135_55:                             ;   Parent Loop BB135_41 Depth=1
                                        ;     Parent Loop BB135_44 Depth=2
                                        ;       Parent Loop BB135_53 Depth=3
                                        ; =>      This Inner Loop Header: Depth=4
	v_mov_b32_e32 v11, s12
	ds_read_b64 v[9:10], v8
	ds_read_b64 v[11:12], v11
	s_add_i32 s13, s13, -1
	s_add_i32 s12, s12, 32
	v_add_u32_e32 v8, 8, v8
	s_cmp_eq_u32 s13, 0
	s_waitcnt lgkmcnt(0)
	v_mul_f32_e32 v13, v12, v10
	v_mul_f32_e32 v10, v11, v10
	v_fma_f32 v11, v11, v9, -v13
	v_fmac_f32_e32 v10, v12, v9
	v_sub_f32_e32 v1, v1, v11
	v_sub_f32_e32 v2, v2, v10
	ds_write_b64 v7, v[1:2]
	s_cbranch_scc0 .LBB135_55
; %bb.56:                               ;   in Loop: Header=BB135_53 Depth=3
	s_branch .LBB135_52
.LBB135_57:                             ;   in Loop: Header=BB135_53 Depth=3
                                        ; implicit-def: $vgpr1
	s_cbranch_execz .LBB135_52
; %bb.58:                               ;   in Loop: Header=BB135_53 Depth=3
	ds_read_b64 v[1:2], v5
	s_branch .LBB135_52
.LBB135_59:
	s_waitcnt lgkmcnt(0)
	; wave barrier
	s_and_saveexec_b64 s[4:5], s[0:1]
	s_cbranch_execz .LBB135_63
; %bb.60:
	s_andn2_b64 vcc, exec, s[8:9]
	s_cbranch_vccnz .LBB135_63
; %bb.61:
	s_lshl_b64 s[0:1], s[16:17], 3
	s_add_u32 s2, s2, s0
	s_addc_u32 s3, s3, s1
	s_lshl_b64 s[0:1], s[10:11], 3
	s_add_u32 s4, s2, s0
	s_addc_u32 s5, s3, s1
	v_mad_i64_i32 v[1:2], s[2:3], s22, v0, 0
	s_mul_hi_i32 s1, s22, s6
	s_mul_i32 s0, s22, s6
	s_lshl_b64 s[0:1], s[0:1], 3
	s_add_u32 s0, s4, s0
	v_lshlrev_b64 v[1:2], 3, v[1:2]
	s_addc_u32 s1, s5, s1
	v_mov_b32_e32 v3, s1
	v_add_co_u32_e32 v1, vcc, s0, v1
	v_addc_co_u32_e32 v2, vcc, v3, v2, vcc
	v_mov_b32_e32 v3, 0x80
	v_lshl_or_b32 v0, v0, 3, v3
.LBB135_62:                             ; =>This Inner Loop Header: Depth=1
	ds_read_b64 v[3:4], v0
	s_add_i32 s24, s24, -1
	v_add_u32_e32 v0, 32, v0
	s_cmp_lg_u32 s24, 0
	s_waitcnt lgkmcnt(0)
	global_store_dwordx2 v[1:2], v[3:4], off
	v_add_co_u32_e32 v1, vcc, 8, v1
	v_addc_co_u32_e32 v2, vcc, 0, v2, vcc
	s_cbranch_scc1 .LBB135_62
.LBB135_63:
	s_endpgm
	.section	.rodata,"a",@progbits
	.p2align	6, 0x0
	.amdhsa_kernel _ZL38rocblas_trsm_small_left_device_sharedBILi4ELi4ELb1E19rocblas_complex_numIfES1_PKS1_PS1_Ev13rocblas_fill_18rocblas_operation_17rocblas_diagonal_iiT3_T4_lilT5_lili
		.amdhsa_group_segment_fixed_size 384
		.amdhsa_private_segment_fixed_size 0
		.amdhsa_kernarg_size 360
		.amdhsa_user_sgpr_count 8
		.amdhsa_user_sgpr_private_segment_buffer 1
		.amdhsa_user_sgpr_dispatch_ptr 1
		.amdhsa_user_sgpr_queue_ptr 0
		.amdhsa_user_sgpr_kernarg_segment_ptr 1
		.amdhsa_user_sgpr_dispatch_id 0
		.amdhsa_user_sgpr_flat_scratch_init 0
		.amdhsa_user_sgpr_private_segment_size 0
		.amdhsa_uses_dynamic_stack 0
		.amdhsa_system_sgpr_private_segment_wavefront_offset 0
		.amdhsa_system_sgpr_workgroup_id_x 1
		.amdhsa_system_sgpr_workgroup_id_y 0
		.amdhsa_system_sgpr_workgroup_id_z 1
		.amdhsa_system_sgpr_workgroup_info 0
		.amdhsa_system_vgpr_workitem_id 2
		.amdhsa_next_free_vgpr 24
		.amdhsa_next_free_sgpr 32
		.amdhsa_reserve_vcc 1
		.amdhsa_reserve_flat_scratch 0
		.amdhsa_float_round_mode_32 0
		.amdhsa_float_round_mode_16_64 0
		.amdhsa_float_denorm_mode_32 3
		.amdhsa_float_denorm_mode_16_64 3
		.amdhsa_dx10_clamp 1
		.amdhsa_ieee_mode 1
		.amdhsa_fp16_overflow 0
		.amdhsa_exception_fp_ieee_invalid_op 0
		.amdhsa_exception_fp_denorm_src 0
		.amdhsa_exception_fp_ieee_div_zero 0
		.amdhsa_exception_fp_ieee_overflow 0
		.amdhsa_exception_fp_ieee_underflow 0
		.amdhsa_exception_fp_ieee_inexact 0
		.amdhsa_exception_int_div_zero 0
	.end_amdhsa_kernel
	.section	.text._ZL38rocblas_trsm_small_left_device_sharedBILi4ELi4ELb1E19rocblas_complex_numIfES1_PKS1_PS1_Ev13rocblas_fill_18rocblas_operation_17rocblas_diagonal_iiT3_T4_lilT5_lili,"axG",@progbits,_ZL38rocblas_trsm_small_left_device_sharedBILi4ELi4ELb1E19rocblas_complex_numIfES1_PKS1_PS1_Ev13rocblas_fill_18rocblas_operation_17rocblas_diagonal_iiT3_T4_lilT5_lili,comdat
.Lfunc_end135:
	.size	_ZL38rocblas_trsm_small_left_device_sharedBILi4ELi4ELb1E19rocblas_complex_numIfES1_PKS1_PS1_Ev13rocblas_fill_18rocblas_operation_17rocblas_diagonal_iiT3_T4_lilT5_lili, .Lfunc_end135-_ZL38rocblas_trsm_small_left_device_sharedBILi4ELi4ELb1E19rocblas_complex_numIfES1_PKS1_PS1_Ev13rocblas_fill_18rocblas_operation_17rocblas_diagonal_iiT3_T4_lilT5_lili
                                        ; -- End function
	.set _ZL38rocblas_trsm_small_left_device_sharedBILi4ELi4ELb1E19rocblas_complex_numIfES1_PKS1_PS1_Ev13rocblas_fill_18rocblas_operation_17rocblas_diagonal_iiT3_T4_lilT5_lili.num_vgpr, 24
	.set _ZL38rocblas_trsm_small_left_device_sharedBILi4ELi4ELb1E19rocblas_complex_numIfES1_PKS1_PS1_Ev13rocblas_fill_18rocblas_operation_17rocblas_diagonal_iiT3_T4_lilT5_lili.num_agpr, 0
	.set _ZL38rocblas_trsm_small_left_device_sharedBILi4ELi4ELb1E19rocblas_complex_numIfES1_PKS1_PS1_Ev13rocblas_fill_18rocblas_operation_17rocblas_diagonal_iiT3_T4_lilT5_lili.numbered_sgpr, 32
	.set _ZL38rocblas_trsm_small_left_device_sharedBILi4ELi4ELb1E19rocblas_complex_numIfES1_PKS1_PS1_Ev13rocblas_fill_18rocblas_operation_17rocblas_diagonal_iiT3_T4_lilT5_lili.num_named_barrier, 0
	.set _ZL38rocblas_trsm_small_left_device_sharedBILi4ELi4ELb1E19rocblas_complex_numIfES1_PKS1_PS1_Ev13rocblas_fill_18rocblas_operation_17rocblas_diagonal_iiT3_T4_lilT5_lili.private_seg_size, 0
	.set _ZL38rocblas_trsm_small_left_device_sharedBILi4ELi4ELb1E19rocblas_complex_numIfES1_PKS1_PS1_Ev13rocblas_fill_18rocblas_operation_17rocblas_diagonal_iiT3_T4_lilT5_lili.uses_vcc, 1
	.set _ZL38rocblas_trsm_small_left_device_sharedBILi4ELi4ELb1E19rocblas_complex_numIfES1_PKS1_PS1_Ev13rocblas_fill_18rocblas_operation_17rocblas_diagonal_iiT3_T4_lilT5_lili.uses_flat_scratch, 0
	.set _ZL38rocblas_trsm_small_left_device_sharedBILi4ELi4ELb1E19rocblas_complex_numIfES1_PKS1_PS1_Ev13rocblas_fill_18rocblas_operation_17rocblas_diagonal_iiT3_T4_lilT5_lili.has_dyn_sized_stack, 0
	.set _ZL38rocblas_trsm_small_left_device_sharedBILi4ELi4ELb1E19rocblas_complex_numIfES1_PKS1_PS1_Ev13rocblas_fill_18rocblas_operation_17rocblas_diagonal_iiT3_T4_lilT5_lili.has_recursion, 0
	.set _ZL38rocblas_trsm_small_left_device_sharedBILi4ELi4ELb1E19rocblas_complex_numIfES1_PKS1_PS1_Ev13rocblas_fill_18rocblas_operation_17rocblas_diagonal_iiT3_T4_lilT5_lili.has_indirect_call, 0
	.section	.AMDGPU.csdata,"",@progbits
; Kernel info:
; codeLenInByte = 2964
; TotalNumSgprs: 36
; NumVgprs: 24
; ScratchSize: 0
; MemoryBound: 0
; FloatMode: 240
; IeeeMode: 1
; LDSByteSize: 384 bytes/workgroup (compile time only)
; SGPRBlocks: 4
; VGPRBlocks: 5
; NumSGPRsForWavesPerEU: 36
; NumVGPRsForWavesPerEU: 24
; Occupancy: 10
; WaveLimiterHint : 0
; COMPUTE_PGM_RSRC2:SCRATCH_EN: 0
; COMPUTE_PGM_RSRC2:USER_SGPR: 8
; COMPUTE_PGM_RSRC2:TRAP_HANDLER: 0
; COMPUTE_PGM_RSRC2:TGID_X_EN: 1
; COMPUTE_PGM_RSRC2:TGID_Y_EN: 0
; COMPUTE_PGM_RSRC2:TGID_Z_EN: 1
; COMPUTE_PGM_RSRC2:TIDIG_COMP_CNT: 2
	.section	.text._ZL30rocblas_trsm_small_left_deviceILi4ELi4ELb1E19rocblas_complex_numIfES1_PKS1_PS1_Ev13rocblas_fill_18rocblas_operation_17rocblas_diagonal_iiT3_T4_lilT5_lili,"axG",@progbits,_ZL30rocblas_trsm_small_left_deviceILi4ELi4ELb1E19rocblas_complex_numIfES1_PKS1_PS1_Ev13rocblas_fill_18rocblas_operation_17rocblas_diagonal_iiT3_T4_lilT5_lili,comdat
	.globl	_ZL30rocblas_trsm_small_left_deviceILi4ELi4ELb1E19rocblas_complex_numIfES1_PKS1_PS1_Ev13rocblas_fill_18rocblas_operation_17rocblas_diagonal_iiT3_T4_lilT5_lili ; -- Begin function _ZL30rocblas_trsm_small_left_deviceILi4ELi4ELb1E19rocblas_complex_numIfES1_PKS1_PS1_Ev13rocblas_fill_18rocblas_operation_17rocblas_diagonal_iiT3_T4_lilT5_lili
	.p2align	8
	.type	_ZL30rocblas_trsm_small_left_deviceILi4ELi4ELb1E19rocblas_complex_numIfES1_PKS1_PS1_Ev13rocblas_fill_18rocblas_operation_17rocblas_diagonal_iiT3_T4_lilT5_lili,@function
_ZL30rocblas_trsm_small_left_deviceILi4ELi4ELb1E19rocblas_complex_numIfES1_PKS1_PS1_Ev13rocblas_fill_18rocblas_operation_17rocblas_diagonal_iiT3_T4_lilT5_lili: ; @_ZL30rocblas_trsm_small_left_deviceILi4ELi4ELb1E19rocblas_complex_numIfES1_PKS1_PS1_Ev13rocblas_fill_18rocblas_operation_17rocblas_diagonal_iiT3_T4_lilT5_lili
; %bb.0:
	s_load_dwordx4 s[12:15], s[6:7], 0x4
	s_load_dwordx2 s[10:11], s[6:7], 0x14
	s_load_dwordx4 s[0:3], s[6:7], 0x38
	s_load_dwordx2 s[16:17], s[6:7], 0x48
	s_load_dword s25, s[6:7], 0x68
	s_waitcnt lgkmcnt(0)
	s_min_i32 s24, s14, 4
	v_cmp_gt_i32_e32 vcc, s24, v0
	s_and_saveexec_b64 s[18:19], vcc
	s_cbranch_execz .LBB136_15
; %bb.1:
	s_load_dword s22, s[6:7], 0x30
	s_load_dwordx4 s[28:31], s[6:7], 0x20
	s_mul_i32 s1, s1, s9
	s_mul_hi_u32 s14, s0, s9
	s_mul_i32 s0, s0, s9
	s_waitcnt lgkmcnt(0)
	s_ashr_i32 s23, s22, 31
	s_cmpk_lg_i32 s12, 0x71
	s_cselect_b64 s[20:21], -1, 0
	s_add_i32 s1, s14, s1
	s_lshl_b64 s[0:1], s[0:1], 3
	s_lshl_b64 s[26:27], s[30:31], 3
	s_add_u32 s0, s0, s26
	s_addc_u32 s1, s1, s27
	s_add_u32 s0, s28, s0
	v_lshlrev_b32_e32 v7, 3, v0
	s_addc_u32 s1, s29, s1
	v_mov_b32_e32 v3, s1
	v_add_co_u32_e32 v4, vcc, s0, v7
	v_addc_co_u32_e32 v5, vcc, 0, v3, vcc
	v_add_co_u32_e32 v3, vcc, 4, v4
	s_lshl_b64 s[0:1], s[22:23], 3
	v_addc_co_u32_e32 v4, vcc, 0, v5, vcc
	v_mov_b32_e32 v8, s1
	v_mov_b32_e32 v9, v7
	s_mov_b32 s1, s24
	s_branch .LBB136_3
.LBB136_2:                              ;   in Loop: Header=BB136_3 Depth=1
	global_load_dword v5, v[3:4], off offset:-4
	s_add_i32 s1, s1, -1
	v_add_co_u32_e32 v3, vcc, s0, v3
	v_addc_co_u32_e32 v4, vcc, v4, v8, vcc
	s_cmp_eq_u32 s1, 0
	s_waitcnt vmcnt(0)
	ds_write_b64 v9, v[5:6]
	v_add_u32_e32 v9, 32, v9
	s_cbranch_scc1 .LBB136_7
.LBB136_3:                              ; =>This Inner Loop Header: Depth=1
	s_mov_b64 s[22:23], -1
	s_and_b64 vcc, exec, s[20:21]
                                        ; implicit-def: $vgpr6
	s_cbranch_vccz .LBB136_5
; %bb.4:                                ;   in Loop: Header=BB136_3 Depth=1
	global_load_dword v6, v[3:4], off
	s_mov_b64 s[22:23], 0
.LBB136_5:                              ;   in Loop: Header=BB136_3 Depth=1
	s_andn2_b64 vcc, exec, s[22:23]
	s_cbranch_vccnz .LBB136_2
; %bb.6:                                ;   in Loop: Header=BB136_3 Depth=1
	global_load_dword v5, v[3:4], off
	s_waitcnt vmcnt(0)
	v_xor_b32_e32 v6, 0x80000000, v5
	s_branch .LBB136_2
.LBB136_7:
	s_cmpk_lg_i32 s13, 0x84
	v_lshlrev_b32_e32 v8, 5, v0
	s_mov_b64 s[0:1], -1
	s_cbranch_scc0 .LBB136_13
; %bb.8:
	v_add_u32_e32 v9, v7, v8
	ds_read_b64 v[3:4], v9
                                        ; implicit-def: $vgpr5
	s_waitcnt lgkmcnt(0)
	v_cmp_ngt_f32_e64 s[0:1], |v3|, |v4|
	s_and_saveexec_b64 s[20:21], s[0:1]
	s_xor_b64 s[0:1], exec, s[20:21]
	s_cbranch_execz .LBB136_10
; %bb.9:
	v_div_scale_f32 v5, s[20:21], v4, v4, v3
	v_div_scale_f32 v6, vcc, v3, v4, v3
	v_rcp_f32_e32 v10, v5
	v_fma_f32 v11, -v5, v10, 1.0
	v_fmac_f32_e32 v10, v11, v10
	v_mul_f32_e32 v11, v6, v10
	v_fma_f32 v12, -v5, v11, v6
	v_fmac_f32_e32 v11, v12, v10
	v_fma_f32 v5, -v5, v11, v6
	v_div_fmas_f32 v5, v5, v10, v11
	v_div_fixup_f32 v5, v5, v4, v3
	v_fmac_f32_e32 v4, v3, v5
	v_div_scale_f32 v3, s[20:21], v4, v4, 1.0
	v_div_scale_f32 v6, vcc, 1.0, v4, 1.0
	v_rcp_f32_e32 v10, v3
	v_fma_f32 v11, -v3, v10, 1.0
	v_fmac_f32_e32 v10, v11, v10
	v_mul_f32_e32 v11, v6, v10
	v_fma_f32 v12, -v3, v11, v6
	v_fmac_f32_e32 v11, v12, v10
	v_fma_f32 v3, -v3, v11, v6
	v_div_fmas_f32 v3, v3, v10, v11
	v_add_f32_e32 v6, 0, v5
	v_fma_f32 v10, v5, 0, -1.0
	v_div_fixup_f32 v3, v3, v4, 1.0
	v_mul_f32_e32 v5, v6, v3
	v_mul_f32_e32 v6, v10, v3
                                        ; implicit-def: $vgpr3_vgpr4
.LBB136_10:
	s_andn2_saveexec_b64 s[0:1], s[0:1]
	s_cbranch_execz .LBB136_12
; %bb.11:
	v_div_scale_f32 v5, s[20:21], v3, v3, v4
	v_div_scale_f32 v6, vcc, v4, v3, v4
	v_rcp_f32_e32 v10, v5
	v_fma_f32 v11, -v5, v10, 1.0
	v_fmac_f32_e32 v10, v11, v10
	v_mul_f32_e32 v11, v6, v10
	v_fma_f32 v12, -v5, v11, v6
	v_fmac_f32_e32 v11, v12, v10
	v_fma_f32 v5, -v5, v11, v6
	v_div_fmas_f32 v5, v5, v10, v11
	v_div_fixup_f32 v6, v5, v3, v4
	v_fmac_f32_e32 v3, v4, v6
	v_div_scale_f32 v4, s[20:21], v3, v3, 1.0
	v_div_scale_f32 v5, vcc, 1.0, v3, 1.0
	v_rcp_f32_e32 v10, v4
	v_fma_f32 v11, -v4, v10, 1.0
	v_fmac_f32_e32 v10, v11, v10
	v_mul_f32_e32 v11, v5, v10
	v_fma_f32 v12, -v4, v11, v5
	v_fmac_f32_e32 v11, v12, v10
	v_fma_f32 v4, -v4, v11, v5
	v_div_fmas_f32 v4, v4, v10, v11
	v_fma_f32 v5, v6, 0, 1.0
	v_div_fixup_f32 v3, v4, v3, 1.0
	v_mul_f32_e32 v5, v5, v3
	v_mul_f32_e64 v6, -v6, v3
.LBB136_12:
	s_or_b64 exec, exec, s[0:1]
	s_mov_b64 s[0:1], 0
	ds_write_b64 v9, v[5:6]
.LBB136_13:
	s_and_b64 vcc, exec, s[0:1]
	s_cbranch_vccz .LBB136_15
; %bb.14:
	v_add_u32_e32 v5, v7, v8
	v_mov_b32_e32 v3, 1.0
	v_mov_b32_e32 v4, 0
	ds_write_b64 v5, v[3:4]
.LBB136_15:
	s_or_b64 exec, exec, s[18:19]
	s_lshl_b32 s13, s8, 2
	s_add_i32 s25, s25, -1
	s_sub_i32 s0, s15, s13
	s_cmp_ge_u32 s8, s25
	s_cselect_b32 s0, s0, 4
	v_cmp_gt_i32_e32 vcc, s0, v0
	s_waitcnt lgkmcnt(0)
	; wave barrier
	s_and_saveexec_b64 s[0:1], vcc
	s_cbranch_execz .LBB136_58
; %bb.16:
	s_load_dwordx2 s[0:1], s[4:5], 0x4
	s_load_dword s8, s[6:7], 0x50
	s_load_dwordx2 s[14:15], s[6:7], 0x58
	v_mov_b32_e32 v3, 0x80
	s_waitcnt lgkmcnt(0)
	s_lshr_b32 s0, s0, 16
	s_mul_i32 s0, s0, s1
	v_mul_u32_u24_e32 v1, s1, v1
	v_mul_u32_u24_e32 v4, s0, v0
	v_add3_u32 v1, v4, v1, v2
	s_mul_i32 s0, s15, s9
	s_mul_hi_u32 s1, s14, s9
	v_add_u32_e32 v0, s13, v0
	v_lshl_add_u32 v4, v1, 5, v3
	s_add_i32 s1, s1, s0
	s_mul_i32 s0, s14, s9
	v_mad_i64_i32 v[0:1], s[4:5], s8, v0, 0
	s_lshl_b64 s[0:1], s[0:1], 3
	s_add_u32 s6, s2, s0
	s_addc_u32 s7, s3, s1
	s_lshl_b64 s[4:5], s[16:17], 3
	s_add_u32 s6, s6, s4
	v_lshlrev_b64 v[0:1], 3, v[0:1]
	s_addc_u32 s7, s7, s5
	v_mov_b32_e32 v2, s7
	v_add_co_u32_e32 v5, vcc, s6, v0
	v_addc_co_u32_e32 v6, vcc, v2, v1, vcc
	s_cmpk_eq_i32 s12, 0x6f
	s_mov_b64 s[6:7], -1
	s_cbranch_scc1 .LBB136_37
; %bb.17:
	s_add_i32 s18, s24, -1
	s_add_u32 s6, s2, s4
	s_addc_u32 s7, s3, s5
	s_add_u32 s6, s6, s0
	s_addc_u32 s7, s7, s1
	v_mov_b32_e32 v2, s7
	v_add_co_u32_e32 v3, vcc, s6, v0
	v_addc_co_u32_e32 v2, vcc, v2, v1, vcc
	v_add_co_u32_e32 v7, vcc, 4, v3
	s_lshl_b32 s19, s24, 3
	s_mov_b32 s7, 0
	v_addc_co_u32_e32 v8, vcc, 0, v2, vcc
	s_add_i32 s19, s19, -8
	s_mov_b32 s6, s7
	s_mov_b32 s8, s18
	s_branch .LBB136_19
.LBB136_18:                             ;   in Loop: Header=BB136_19 Depth=1
	s_cmp_lt_i32 s8, 0
	s_cselect_b64 s[12:13], -1, 0
	s_add_i32 s6, s6, 1
	s_cmp_eq_u32 s6, 3
	s_cselect_b64 s[14:15], -1, 0
	s_or_b64 s[12:13], s[12:13], s[14:15]
	s_andn2_b64 vcc, exec, s[12:13]
	s_cbranch_vccz .LBB136_36
.LBB136_19:                             ; =>This Loop Header: Depth=1
                                        ;     Child Loop BB136_22 Depth 2
                                        ;       Child Loop BB136_23 Depth 3
                                        ;       Child Loop BB136_25 Depth 3
                                        ;         Child Loop BB136_26 Depth 4
                                        ;       Child Loop BB136_30 Depth 3
                                        ;         Child Loop BB136_32 Depth 4
	s_lshl_b64 s[12:13], s[6:7], 2
	s_getpc_b64 s[14:15]
	s_add_u32 s14, s14, __const._ZL30rocblas_trsm_small_left_deviceILi4ELi4ELb1E19rocblas_complex_numIfES1_PKS1_PS1_Ev13rocblas_fill_18rocblas_operation_17rocblas_diagonal_iiT3_T4_lilT5_lili.step_sizes@rel32@lo+4
	s_addc_u32 s15, s15, __const._ZL30rocblas_trsm_small_left_deviceILi4ELi4ELb1E19rocblas_complex_numIfES1_PKS1_PS1_Ev13rocblas_fill_18rocblas_operation_17rocblas_diagonal_iiT3_T4_lilT5_lili.step_sizes@rel32@hi+12
	s_add_u32 s12, s14, s12
	s_addc_u32 s13, s15, s13
	s_load_dword s20, s[12:13], 0x0
	s_waitcnt lgkmcnt(0)
	s_add_i32 s21, s20, -1
	s_cmp_lt_i32 s8, s21
	s_cbranch_scc1 .LBB136_18
; %bb.20:                               ;   in Loop: Header=BB136_19 Depth=1
	s_lshl_b32 s9, s8, 5
	s_add_i32 s23, s19, s9
	s_lshl_b32 s9, s20, 5
	s_max_i32 s22, s20, 1
	s_sub_i32 s25, 0, s9
	s_mul_i32 s26, s8, 40
	s_mul_i32 s27, s20, 0xffffffd8
	s_branch .LBB136_22
.LBB136_21:                             ;   in Loop: Header=BB136_22 Depth=2
	s_sub_i32 s8, s8, s20
	s_add_i32 s23, s23, s25
	s_add_i32 s26, s26, s27
	s_cmp_lt_i32 s8, s21
	s_cbranch_scc1 .LBB136_18
.LBB136_22:                             ;   Parent Loop BB136_19 Depth=1
                                        ; =>  This Loop Header: Depth=2
                                        ;       Child Loop BB136_23 Depth 3
                                        ;       Child Loop BB136_25 Depth 3
                                        ;         Child Loop BB136_26 Depth 4
                                        ;       Child Loop BB136_30 Depth 3
                                        ;         Child Loop BB136_32 Depth 4
	s_ashr_i32 s9, s8, 31
	s_lshl_b64 s[12:13], s[8:9], 3
	v_mov_b32_e32 v3, s13
	v_add_co_u32_e32 v2, vcc, s12, v7
	v_addc_co_u32_e32 v3, vcc, v8, v3, vcc
	v_mov_b32_e32 v9, v4
	s_mov_b32 s12, s22
.LBB136_23:                             ;   Parent Loop BB136_19 Depth=1
                                        ;     Parent Loop BB136_22 Depth=2
                                        ; =>    This Inner Loop Header: Depth=3
	global_load_dwordx2 v[10:11], v[2:3], off offset:-4
	s_add_i32 s12, s12, -1
	v_add_co_u32_e32 v2, vcc, -8, v2
	v_addc_co_u32_e32 v3, vcc, -1, v3, vcc
	s_cmp_eq_u32 s12, 0
	s_waitcnt vmcnt(0)
	v_mul_f32_e32 v13, s11, v11
	v_mul_f32_e32 v12, s10, v11
	v_fma_f32 v11, v10, s10, -v13
	v_fmac_f32_e32 v12, s11, v10
	ds_write_b64 v9, v[11:12]
	v_add_u32_e32 v9, 8, v9
	s_cbranch_scc0 .LBB136_23
; %bb.24:                               ;   in Loop: Header=BB136_22 Depth=2
	s_cmp_le_i32 s18, s8
	s_mov_b32 s14, s23
	s_mov_b32 s12, s18
	s_cbranch_scc1 .LBB136_28
.LBB136_25:                             ;   Parent Loop BB136_19 Depth=1
                                        ;     Parent Loop BB136_22 Depth=2
                                        ; =>    This Loop Header: Depth=3
                                        ;         Child Loop BB136_26 Depth 4
	s_ashr_i32 s13, s12, 31
	s_lshl_b64 s[16:17], s[12:13], 3
	v_mov_b32_e32 v3, s17
	v_add_co_u32_e32 v2, vcc, s16, v5
	v_addc_co_u32_e32 v3, vcc, v6, v3, vcc
	global_load_dwordx2 v[2:3], v[2:3], off
	v_mov_b32_e32 v9, v4
	s_mov_b32 s13, s14
	s_mov_b32 s15, s22
.LBB136_26:                             ;   Parent Loop BB136_19 Depth=1
                                        ;     Parent Loop BB136_22 Depth=2
                                        ;       Parent Loop BB136_25 Depth=3
                                        ; =>      This Inner Loop Header: Depth=4
	v_mov_b32_e32 v12, s13
	ds_read_b64 v[12:13], v12
	ds_read_b64 v[10:11], v9
	s_add_i32 s15, s15, -1
	s_sub_i32 s13, s13, 32
	s_cmp_eq_u32 s15, 0
	s_waitcnt vmcnt(0) lgkmcnt(1)
	v_mul_f32_e32 v14, v13, v3
	v_mul_f32_e32 v13, v13, v2
	v_fma_f32 v14, v12, v2, -v14
	v_fmac_f32_e32 v13, v12, v3
	s_waitcnt lgkmcnt(0)
	v_sub_f32_e32 v10, v10, v14
	v_sub_f32_e32 v11, v11, v13
	ds_write_b64 v9, v[10:11]
	v_add_u32_e32 v9, 8, v9
	s_cbranch_scc0 .LBB136_26
; %bb.27:                               ;   in Loop: Header=BB136_25 Depth=3
	s_add_i32 s12, s12, -1
	s_add_i32 s14, s14, -8
	s_cmp_le_i32 s12, s8
	s_cbranch_scc0 .LBB136_25
.LBB136_28:                             ;   in Loop: Header=BB136_22 Depth=2
	s_mov_b32 s28, 0
	s_mov_b32 s29, s26
	s_branch .LBB136_30
.LBB136_29:                             ;   in Loop: Header=BB136_30 Depth=3
	s_mul_i32 s14, s14, 40
	v_mov_b32_e32 v10, s14
	ds_read_b64 v[10:11], v10
	s_lshl_b64 s[12:13], s[12:13], 3
	v_mov_b32_e32 v14, s13
	s_add_i32 s28, s28, 1
	s_sub_i32 s29, s29, 32
	s_waitcnt lgkmcnt(0)
	v_mul_f32_e32 v12, v11, v3
	v_mul_f32_e32 v13, v10, v3
	v_fma_f32 v12, v10, v2, -v12
	v_fmac_f32_e32 v13, v11, v2
	v_add_co_u32_e32 v2, vcc, s12, v5
	v_addc_co_u32_e32 v3, vcc, v6, v14, vcc
	s_cmp_eq_u32 s28, s22
	ds_write_b64 v9, v[12:13]
	global_store_dwordx2 v[2:3], v[12:13], off
	s_cbranch_scc1 .LBB136_21
.LBB136_30:                             ;   Parent Loop BB136_19 Depth=1
                                        ;     Parent Loop BB136_22 Depth=2
                                        ; =>    This Loop Header: Depth=3
                                        ;         Child Loop BB136_32 Depth 4
	s_cmp_lg_u32 s28, 0
	v_lshl_add_u32 v9, s28, 3, v4
	s_cbranch_scc0 .LBB136_34
; %bb.31:                               ;   in Loop: Header=BB136_30 Depth=3
	ds_read_b64 v[2:3], v9
	v_mov_b32_e32 v10, v4
	s_mov_b32 s12, s29
	s_mov_b32 s13, s28
.LBB136_32:                             ;   Parent Loop BB136_19 Depth=1
                                        ;     Parent Loop BB136_22 Depth=2
                                        ;       Parent Loop BB136_30 Depth=3
                                        ; =>      This Inner Loop Header: Depth=4
	v_mov_b32_e32 v13, s12
	ds_read_b64 v[11:12], v10
	ds_read_b64 v[13:14], v13
	s_add_i32 s13, s13, -1
	s_add_i32 s12, s12, -8
	v_add_u32_e32 v10, 8, v10
	s_cmp_eq_u32 s13, 0
	s_waitcnt lgkmcnt(0)
	v_mul_f32_e32 v15, v14, v12
	v_mul_f32_e32 v12, v13, v12
	v_fma_f32 v13, v13, v11, -v15
	v_fmac_f32_e32 v12, v14, v11
	v_sub_f32_e32 v2, v2, v13
	v_sub_f32_e32 v3, v3, v12
	ds_write_b64 v9, v[2:3]
	s_cbranch_scc0 .LBB136_32
; %bb.33:                               ;   in Loop: Header=BB136_30 Depth=3
	s_sub_i32 s14, s8, s28
	s_ashr_i32 s15, s14, 31
	s_mov_b64 s[12:13], s[14:15]
	s_branch .LBB136_29
.LBB136_34:                             ;   in Loop: Header=BB136_30 Depth=3
                                        ; implicit-def: $vgpr2
                                        ; implicit-def: $sgpr14
                                        ; implicit-def: $sgpr12_sgpr13
	s_cbranch_execz .LBB136_29
; %bb.35:                               ;   in Loop: Header=BB136_30 Depth=3
	ds_read_b64 v[2:3], v4
	s_mov_b64 s[12:13], s[8:9]
	s_mov_b32 s14, s8
	s_branch .LBB136_29
.LBB136_36:
	s_mov_b64 s[6:7], 0
.LBB136_37:
	s_and_b64 vcc, exec, s[6:7]
	s_cbranch_vccz .LBB136_58
; %bb.38:
	s_add_u32 s2, s2, s4
	s_addc_u32 s3, s3, s5
	s_add_u32 s0, s2, s0
	s_addc_u32 s1, s3, s1
	v_mov_b32_e32 v2, s1
	v_add_co_u32_e32 v0, vcc, s0, v0
	v_addc_co_u32_e32 v1, vcc, v2, v1, vcc
	v_add_co_u32_e32 v7, vcc, 4, v0
	s_mov_b32 s1, 0
	v_addc_co_u32_e32 v8, vcc, 0, v1, vcc
	s_mov_b32 s2, s1
	s_mov_b32 s4, s1
	s_branch .LBB136_40
.LBB136_39:                             ;   in Loop: Header=BB136_40 Depth=1
	s_cmp_ge_i32 s2, s24
	s_cselect_b64 s[6:7], -1, 0
	s_add_i32 s4, s4, 1
	s_cmp_eq_u32 s4, 3
	s_cselect_b64 s[8:9], -1, 0
	s_or_b64 s[6:7], s[6:7], s[8:9]
	s_and_b64 vcc, exec, s[6:7]
	s_cbranch_vccnz .LBB136_58
.LBB136_40:                             ; =>This Loop Header: Depth=1
                                        ;     Child Loop BB136_43 Depth 2
                                        ;       Child Loop BB136_44 Depth 3
                                        ;       Child Loop BB136_47 Depth 3
                                        ;         Child Loop BB136_48 Depth 4
                                        ;       Child Loop BB136_52 Depth 3
                                        ;         Child Loop BB136_54 Depth 4
	s_mov_b32 s5, s1
	s_lshl_b64 s[6:7], s[4:5], 2
	s_getpc_b64 s[8:9]
	s_add_u32 s8, s8, __const._ZL30rocblas_trsm_small_left_deviceILi4ELi4ELb1E19rocblas_complex_numIfES1_PKS1_PS1_Ev13rocblas_fill_18rocblas_operation_17rocblas_diagonal_iiT3_T4_lilT5_lili.step_sizes@rel32@lo+4
	s_addc_u32 s9, s9, __const._ZL30rocblas_trsm_small_left_deviceILi4ELi4ELb1E19rocblas_complex_numIfES1_PKS1_PS1_Ev13rocblas_fill_18rocblas_operation_17rocblas_diagonal_iiT3_T4_lilT5_lili.step_sizes@rel32@hi+12
	s_add_u32 s6, s8, s6
	s_addc_u32 s7, s9, s7
	s_load_dword s6, s[6:7], 0x0
	s_waitcnt lgkmcnt(0)
	s_add_i32 s5, s6, -1
	s_add_i32 s0, s5, s2
	s_cmp_ge_i32 s0, s24
	s_cbranch_scc1 .LBB136_39
; %bb.41:                               ;   in Loop: Header=BB136_40 Depth=1
	s_ashr_i32 s3, s2, 31
	s_lshl_b64 s[8:9], s[2:3], 3
	v_mov_b32_e32 v1, s9
	v_add_co_u32_e32 v0, vcc, s8, v7
	s_ashr_i32 s7, s6, 31
	s_max_i32 s14, s6, 1
	v_addc_co_u32_e32 v1, vcc, v8, v1, vcc
	s_lshl_b64 s[8:9], s[6:7], 3
	s_lshl_b32 s3, s2, 3
	s_lshl_b32 s7, s6, 3
	s_mul_i32 s15, s2, 40
	s_mul_i32 s16, s6, 40
	s_branch .LBB136_43
.LBB136_42:                             ;   in Loop: Header=BB136_43 Depth=2
	s_add_i32 s2, s2, s6
	s_add_i32 s0, s5, s2
	v_mov_b32_e32 v2, s9
	s_add_i32 s3, s3, s7
	s_add_i32 s15, s15, s16
	v_add_co_u32_e32 v0, vcc, s8, v0
	s_cmp_ge_i32 s0, s24
	v_addc_co_u32_e32 v1, vcc, v1, v2, vcc
	s_cbranch_scc1 .LBB136_39
.LBB136_43:                             ;   Parent Loop BB136_40 Depth=1
                                        ; =>  This Loop Header: Depth=2
                                        ;       Child Loop BB136_44 Depth 3
                                        ;       Child Loop BB136_47 Depth 3
                                        ;         Child Loop BB136_48 Depth 4
                                        ;       Child Loop BB136_52 Depth 3
                                        ;         Child Loop BB136_54 Depth 4
	v_mov_b32_e32 v3, v1
	v_mov_b32_e32 v9, v4
	;; [unrolled: 1-line block ×3, first 2 shown]
	s_mov_b32 s0, s14
.LBB136_44:                             ;   Parent Loop BB136_40 Depth=1
                                        ;     Parent Loop BB136_43 Depth=2
                                        ; =>    This Inner Loop Header: Depth=3
	global_load_dwordx2 v[10:11], v[2:3], off offset:-4
	s_add_i32 s0, s0, -1
	v_add_co_u32_e32 v2, vcc, 8, v2
	v_addc_co_u32_e32 v3, vcc, 0, v3, vcc
	s_cmp_eq_u32 s0, 0
	s_waitcnt vmcnt(0)
	v_mul_f32_e32 v13, s11, v11
	v_mul_f32_e32 v12, s10, v11
	v_fma_f32 v11, v10, s10, -v13
	v_fmac_f32_e32 v12, s11, v10
	ds_write_b64 v9, v[11:12]
	v_add_u32_e32 v9, 8, v9
	s_cbranch_scc0 .LBB136_44
; %bb.45:                               ;   in Loop: Header=BB136_43 Depth=2
	s_cmp_lt_i32 s2, 1
	s_cbranch_scc1 .LBB136_50
; %bb.46:                               ;   in Loop: Header=BB136_43 Depth=2
	s_mov_b32 s0, 0
	s_mov_b32 s12, s3
.LBB136_47:                             ;   Parent Loop BB136_40 Depth=1
                                        ;     Parent Loop BB136_43 Depth=2
                                        ; =>    This Loop Header: Depth=3
                                        ;         Child Loop BB136_48 Depth 4
	s_lshl_b64 s[18:19], s[0:1], 3
	v_mov_b32_e32 v3, s19
	v_add_co_u32_e32 v2, vcc, s18, v5
	v_addc_co_u32_e32 v3, vcc, v6, v3, vcc
	global_load_dwordx2 v[2:3], v[2:3], off
	v_mov_b32_e32 v9, v4
	s_mov_b32 s13, s12
	s_mov_b32 s17, s14
.LBB136_48:                             ;   Parent Loop BB136_40 Depth=1
                                        ;     Parent Loop BB136_43 Depth=2
                                        ;       Parent Loop BB136_47 Depth=3
                                        ; =>      This Inner Loop Header: Depth=4
	v_mov_b32_e32 v12, s13
	ds_read_b64 v[12:13], v12
	ds_read_b64 v[10:11], v9
	s_add_i32 s17, s17, -1
	s_add_i32 s13, s13, 8
	s_cmp_eq_u32 s17, 0
	s_waitcnt vmcnt(0) lgkmcnt(1)
	v_mul_f32_e32 v14, v13, v3
	v_mul_f32_e32 v13, v13, v2
	v_fma_f32 v14, v12, v2, -v14
	v_fmac_f32_e32 v13, v12, v3
	s_waitcnt lgkmcnt(0)
	v_sub_f32_e32 v10, v10, v14
	v_sub_f32_e32 v11, v11, v13
	ds_write_b64 v9, v[10:11]
	v_add_u32_e32 v9, 8, v9
	s_cbranch_scc0 .LBB136_48
; %bb.49:                               ;   in Loop: Header=BB136_47 Depth=3
	s_add_i32 s0, s0, 1
	s_add_i32 s12, s12, 32
	s_cmp_eq_u32 s0, s2
	s_cbranch_scc0 .LBB136_47
.LBB136_50:                             ;   in Loop: Header=BB136_43 Depth=2
	s_mov_b32 s0, 0
	s_mov_b32 s17, s15
	s_branch .LBB136_52
.LBB136_51:                             ;   in Loop: Header=BB136_52 Depth=3
	s_add_i32 s12, s0, s2
	s_mul_i32 s13, s12, 40
	v_mov_b32_e32 v10, s13
	ds_read_b64 v[10:11], v10
	s_ashr_i32 s13, s12, 31
	s_lshl_b64 s[12:13], s[12:13], 3
	s_add_i32 s0, s0, 1
	s_add_i32 s17, s17, 8
	s_waitcnt lgkmcnt(0)
	v_mul_f32_e32 v12, v11, v3
	v_mul_f32_e32 v13, v10, v3
	v_fma_f32 v12, v10, v2, -v12
	v_fmac_f32_e32 v13, v11, v2
	v_mov_b32_e32 v3, s13
	v_add_co_u32_e32 v2, vcc, s12, v5
	v_addc_co_u32_e32 v3, vcc, v6, v3, vcc
	s_cmp_eq_u32 s0, s14
	ds_write_b64 v9, v[12:13]
	global_store_dwordx2 v[2:3], v[12:13], off
	s_cbranch_scc1 .LBB136_42
.LBB136_52:                             ;   Parent Loop BB136_40 Depth=1
                                        ;     Parent Loop BB136_43 Depth=2
                                        ; =>    This Loop Header: Depth=3
                                        ;         Child Loop BB136_54 Depth 4
	s_cmp_lg_u32 s0, 0
	v_lshl_add_u32 v9, s0, 3, v4
	s_cbranch_scc0 .LBB136_56
; %bb.53:                               ;   in Loop: Header=BB136_52 Depth=3
	ds_read_b64 v[2:3], v9
	v_mov_b32_e32 v10, v4
	s_mov_b32 s12, s17
	s_mov_b32 s13, s0
.LBB136_54:                             ;   Parent Loop BB136_40 Depth=1
                                        ;     Parent Loop BB136_43 Depth=2
                                        ;       Parent Loop BB136_52 Depth=3
                                        ; =>      This Inner Loop Header: Depth=4
	v_mov_b32_e32 v13, s12
	ds_read_b64 v[11:12], v10
	ds_read_b64 v[13:14], v13
	s_add_i32 s13, s13, -1
	s_add_i32 s12, s12, 32
	v_add_u32_e32 v10, 8, v10
	s_cmp_eq_u32 s13, 0
	s_waitcnt lgkmcnt(0)
	v_mul_f32_e32 v15, v14, v12
	v_mul_f32_e32 v12, v13, v12
	v_fma_f32 v13, v13, v11, -v15
	v_fmac_f32_e32 v12, v14, v11
	v_sub_f32_e32 v2, v2, v13
	v_sub_f32_e32 v3, v3, v12
	ds_write_b64 v9, v[2:3]
	s_cbranch_scc0 .LBB136_54
; %bb.55:                               ;   in Loop: Header=BB136_52 Depth=3
	s_branch .LBB136_51
.LBB136_56:                             ;   in Loop: Header=BB136_52 Depth=3
                                        ; implicit-def: $vgpr2
	s_cbranch_execz .LBB136_51
; %bb.57:                               ;   in Loop: Header=BB136_52 Depth=3
	ds_read_b64 v[2:3], v4
	s_branch .LBB136_51
.LBB136_58:
	s_endpgm
	.section	.rodata,"a",@progbits
	.p2align	6, 0x0
	.amdhsa_kernel _ZL30rocblas_trsm_small_left_deviceILi4ELi4ELb1E19rocblas_complex_numIfES1_PKS1_PS1_Ev13rocblas_fill_18rocblas_operation_17rocblas_diagonal_iiT3_T4_lilT5_lili
		.amdhsa_group_segment_fixed_size 256
		.amdhsa_private_segment_fixed_size 0
		.amdhsa_kernarg_size 360
		.amdhsa_user_sgpr_count 8
		.amdhsa_user_sgpr_private_segment_buffer 1
		.amdhsa_user_sgpr_dispatch_ptr 1
		.amdhsa_user_sgpr_queue_ptr 0
		.amdhsa_user_sgpr_kernarg_segment_ptr 1
		.amdhsa_user_sgpr_dispatch_id 0
		.amdhsa_user_sgpr_flat_scratch_init 0
		.amdhsa_user_sgpr_private_segment_size 0
		.amdhsa_uses_dynamic_stack 0
		.amdhsa_system_sgpr_private_segment_wavefront_offset 0
		.amdhsa_system_sgpr_workgroup_id_x 1
		.amdhsa_system_sgpr_workgroup_id_y 0
		.amdhsa_system_sgpr_workgroup_id_z 1
		.amdhsa_system_sgpr_workgroup_info 0
		.amdhsa_system_vgpr_workitem_id 2
		.amdhsa_next_free_vgpr 16
		.amdhsa_next_free_sgpr 32
		.amdhsa_reserve_vcc 1
		.amdhsa_reserve_flat_scratch 0
		.amdhsa_float_round_mode_32 0
		.amdhsa_float_round_mode_16_64 0
		.amdhsa_float_denorm_mode_32 3
		.amdhsa_float_denorm_mode_16_64 3
		.amdhsa_dx10_clamp 1
		.amdhsa_ieee_mode 1
		.amdhsa_fp16_overflow 0
		.amdhsa_exception_fp_ieee_invalid_op 0
		.amdhsa_exception_fp_denorm_src 0
		.amdhsa_exception_fp_ieee_div_zero 0
		.amdhsa_exception_fp_ieee_overflow 0
		.amdhsa_exception_fp_ieee_underflow 0
		.amdhsa_exception_fp_ieee_inexact 0
		.amdhsa_exception_int_div_zero 0
	.end_amdhsa_kernel
	.section	.text._ZL30rocblas_trsm_small_left_deviceILi4ELi4ELb1E19rocblas_complex_numIfES1_PKS1_PS1_Ev13rocblas_fill_18rocblas_operation_17rocblas_diagonal_iiT3_T4_lilT5_lili,"axG",@progbits,_ZL30rocblas_trsm_small_left_deviceILi4ELi4ELb1E19rocblas_complex_numIfES1_PKS1_PS1_Ev13rocblas_fill_18rocblas_operation_17rocblas_diagonal_iiT3_T4_lilT5_lili,comdat
.Lfunc_end136:
	.size	_ZL30rocblas_trsm_small_left_deviceILi4ELi4ELb1E19rocblas_complex_numIfES1_PKS1_PS1_Ev13rocblas_fill_18rocblas_operation_17rocblas_diagonal_iiT3_T4_lilT5_lili, .Lfunc_end136-_ZL30rocblas_trsm_small_left_deviceILi4ELi4ELb1E19rocblas_complex_numIfES1_PKS1_PS1_Ev13rocblas_fill_18rocblas_operation_17rocblas_diagonal_iiT3_T4_lilT5_lili
                                        ; -- End function
	.set _ZL30rocblas_trsm_small_left_deviceILi4ELi4ELb1E19rocblas_complex_numIfES1_PKS1_PS1_Ev13rocblas_fill_18rocblas_operation_17rocblas_diagonal_iiT3_T4_lilT5_lili.num_vgpr, 16
	.set _ZL30rocblas_trsm_small_left_deviceILi4ELi4ELb1E19rocblas_complex_numIfES1_PKS1_PS1_Ev13rocblas_fill_18rocblas_operation_17rocblas_diagonal_iiT3_T4_lilT5_lili.num_agpr, 0
	.set _ZL30rocblas_trsm_small_left_deviceILi4ELi4ELb1E19rocblas_complex_numIfES1_PKS1_PS1_Ev13rocblas_fill_18rocblas_operation_17rocblas_diagonal_iiT3_T4_lilT5_lili.numbered_sgpr, 32
	.set _ZL30rocblas_trsm_small_left_deviceILi4ELi4ELb1E19rocblas_complex_numIfES1_PKS1_PS1_Ev13rocblas_fill_18rocblas_operation_17rocblas_diagonal_iiT3_T4_lilT5_lili.num_named_barrier, 0
	.set _ZL30rocblas_trsm_small_left_deviceILi4ELi4ELb1E19rocblas_complex_numIfES1_PKS1_PS1_Ev13rocblas_fill_18rocblas_operation_17rocblas_diagonal_iiT3_T4_lilT5_lili.private_seg_size, 0
	.set _ZL30rocblas_trsm_small_left_deviceILi4ELi4ELb1E19rocblas_complex_numIfES1_PKS1_PS1_Ev13rocblas_fill_18rocblas_operation_17rocblas_diagonal_iiT3_T4_lilT5_lili.uses_vcc, 1
	.set _ZL30rocblas_trsm_small_left_deviceILi4ELi4ELb1E19rocblas_complex_numIfES1_PKS1_PS1_Ev13rocblas_fill_18rocblas_operation_17rocblas_diagonal_iiT3_T4_lilT5_lili.uses_flat_scratch, 0
	.set _ZL30rocblas_trsm_small_left_deviceILi4ELi4ELb1E19rocblas_complex_numIfES1_PKS1_PS1_Ev13rocblas_fill_18rocblas_operation_17rocblas_diagonal_iiT3_T4_lilT5_lili.has_dyn_sized_stack, 0
	.set _ZL30rocblas_trsm_small_left_deviceILi4ELi4ELb1E19rocblas_complex_numIfES1_PKS1_PS1_Ev13rocblas_fill_18rocblas_operation_17rocblas_diagonal_iiT3_T4_lilT5_lili.has_recursion, 0
	.set _ZL30rocblas_trsm_small_left_deviceILi4ELi4ELb1E19rocblas_complex_numIfES1_PKS1_PS1_Ev13rocblas_fill_18rocblas_operation_17rocblas_diagonal_iiT3_T4_lilT5_lili.has_indirect_call, 0
	.section	.AMDGPU.csdata,"",@progbits
; Kernel info:
; codeLenInByte = 2348
; TotalNumSgprs: 36
; NumVgprs: 16
; ScratchSize: 0
; MemoryBound: 0
; FloatMode: 240
; IeeeMode: 1
; LDSByteSize: 256 bytes/workgroup (compile time only)
; SGPRBlocks: 4
; VGPRBlocks: 3
; NumSGPRsForWavesPerEU: 36
; NumVGPRsForWavesPerEU: 16
; Occupancy: 10
; WaveLimiterHint : 0
; COMPUTE_PGM_RSRC2:SCRATCH_EN: 0
; COMPUTE_PGM_RSRC2:USER_SGPR: 8
; COMPUTE_PGM_RSRC2:TRAP_HANDLER: 0
; COMPUTE_PGM_RSRC2:TGID_X_EN: 1
; COMPUTE_PGM_RSRC2:TGID_Y_EN: 0
; COMPUTE_PGM_RSRC2:TGID_Z_EN: 1
; COMPUTE_PGM_RSRC2:TIDIG_COMP_CNT: 2
	.section	.text._ZL31rocblas_trsm_small_right_deviceI19rocblas_complex_numIfES1_PKS1_PS1_Li4EEv13rocblas_fill_18rocblas_operation_17rocblas_diagonal_iiT0_T1_lilT2_lili,"axG",@progbits,_ZL31rocblas_trsm_small_right_deviceI19rocblas_complex_numIfES1_PKS1_PS1_Li4EEv13rocblas_fill_18rocblas_operation_17rocblas_diagonal_iiT0_T1_lilT2_lili,comdat
	.globl	_ZL31rocblas_trsm_small_right_deviceI19rocblas_complex_numIfES1_PKS1_PS1_Li4EEv13rocblas_fill_18rocblas_operation_17rocblas_diagonal_iiT0_T1_lilT2_lili ; -- Begin function _ZL31rocblas_trsm_small_right_deviceI19rocblas_complex_numIfES1_PKS1_PS1_Li4EEv13rocblas_fill_18rocblas_operation_17rocblas_diagonal_iiT0_T1_lilT2_lili
	.p2align	8
	.type	_ZL31rocblas_trsm_small_right_deviceI19rocblas_complex_numIfES1_PKS1_PS1_Li4EEv13rocblas_fill_18rocblas_operation_17rocblas_diagonal_iiT0_T1_lilT2_lili,@function
_ZL31rocblas_trsm_small_right_deviceI19rocblas_complex_numIfES1_PKS1_PS1_Li4EEv13rocblas_fill_18rocblas_operation_17rocblas_diagonal_iiT0_T1_lilT2_lili: ; @_ZL31rocblas_trsm_small_right_deviceI19rocblas_complex_numIfES1_PKS1_PS1_Li4EEv13rocblas_fill_18rocblas_operation_17rocblas_diagonal_iiT0_T1_lilT2_lili
; %bb.0:
	s_load_dwordx8 s[8:15], s[4:5], 0x0
	s_load_dwordx4 s[0:3], s[4:5], 0x38
	s_load_dwordx2 s[16:17], s[4:5], 0x48
	s_waitcnt lgkmcnt(0)
	s_min_i32 s24, s12, 4
	v_cmp_gt_i32_e32 vcc, s24, v0
	s_and_saveexec_b64 s[18:19], vcc
	s_cbranch_execz .LBB137_9
; %bb.1:
	s_load_dword s22, s[4:5], 0x30
	s_load_dwordx4 s[28:31], s[4:5], 0x20
	s_mul_i32 s1, s1, s7
	s_mul_hi_u32 s15, s0, s7
	s_mul_i32 s0, s0, s7
	s_waitcnt lgkmcnt(0)
	s_ashr_i32 s23, s22, 31
	s_cmpk_lg_i32 s9, 0x71
	s_cselect_b64 s[20:21], -1, 0
	s_add_i32 s1, s15, s1
	s_lshl_b64 s[0:1], s[0:1], 3
	s_lshl_b64 s[26:27], s[30:31], 3
	s_add_u32 s0, s0, s26
	s_addc_u32 s1, s1, s27
	s_add_u32 s0, s28, s0
	v_lshlrev_b32_e32 v5, 3, v0
	s_addc_u32 s1, s29, s1
	v_mov_b32_e32 v1, s1
	v_add_co_u32_e32 v2, vcc, s0, v5
	v_addc_co_u32_e32 v3, vcc, 0, v1, vcc
	v_add_co_u32_e32 v1, vcc, 4, v2
	s_lshl_b64 s[0:1], s[22:23], 3
	v_addc_co_u32_e32 v2, vcc, 0, v3, vcc
	v_mov_b32_e32 v6, s1
	v_mov_b32_e32 v7, v5
	s_mov_b32 s1, s24
	s_branch .LBB137_3
.LBB137_2:                              ;   in Loop: Header=BB137_3 Depth=1
	global_load_dword v3, v[1:2], off offset:-4
	s_add_i32 s1, s1, -1
	v_add_co_u32_e32 v1, vcc, s0, v1
	v_addc_co_u32_e32 v2, vcc, v2, v6, vcc
	s_cmp_eq_u32 s1, 0
	s_waitcnt vmcnt(0)
	ds_write_b64 v7, v[3:4]
	v_add_u32_e32 v7, 32, v7
	s_cbranch_scc1 .LBB137_7
.LBB137_3:                              ; =>This Inner Loop Header: Depth=1
	s_mov_b64 s[22:23], -1
	s_and_b64 vcc, exec, s[20:21]
                                        ; implicit-def: $vgpr4
	s_cbranch_vccz .LBB137_5
; %bb.4:                                ;   in Loop: Header=BB137_3 Depth=1
	global_load_dword v4, v[1:2], off
	s_mov_b64 s[22:23], 0
.LBB137_5:                              ;   in Loop: Header=BB137_3 Depth=1
	s_andn2_b64 vcc, exec, s[22:23]
	s_cbranch_vccnz .LBB137_2
; %bb.6:                                ;   in Loop: Header=BB137_3 Depth=1
	global_load_dword v3, v[1:2], off
	s_waitcnt vmcnt(0)
	v_xor_b32_e32 v4, 0x80000000, v3
	s_branch .LBB137_2
.LBB137_7:
	s_cmpk_eq_i32 s10, 0x84
	s_cbranch_scc0 .LBB137_9
; %bb.8:
	v_lshl_or_b32 v3, v0, 5, v5
	v_mov_b32_e32 v1, 1.0
	v_mov_b32_e32 v2, 0
	ds_write_b64 v3, v[1:2]
.LBB137_9:
	s_or_b64 exec, exec, s[18:19]
	s_load_dword s0, s[4:5], 0x68
	s_load_dwordx2 s[18:19], s[4:5], 0x58
	s_load_dword s10, s[4:5], 0x50
	s_waitcnt lgkmcnt(0)
	s_add_i32 s0, s0, -1
	s_mul_i32 s1, s19, s7
	s_mul_hi_u32 s5, s18, s7
	s_add_i32 s5, s5, s1
	s_lshl_b32 s1, s6, 2
	s_sub_i32 s1, s11, s1
	s_cmp_ge_u32 s6, s0
	s_mul_i32 s4, s18, s7
	s_cselect_b32 s0, s1, 4
	s_ashr_i32 s7, s6, 31
	s_lshl_b64 s[6:7], s[6:7], 5
	v_cmp_gt_i32_e64 s[0:1], s0, v0
	s_and_saveexec_b64 s[18:19], s[0:1]
	s_cbranch_execz .LBB137_13
; %bb.10:
	s_cmp_lt_i32 s12, 1
	s_cbranch_scc1 .LBB137_13
; %bb.11:
	s_ashr_i32 s11, s10, 31
	s_lshl_b64 s[20:21], s[4:5], 3
	s_add_u32 s15, s20, s6
	s_addc_u32 s22, s21, s7
	s_lshl_b64 s[20:21], s[16:17], 3
	s_add_u32 s15, s15, s20
	s_addc_u32 s20, s22, s21
	s_add_u32 s15, s2, s15
	v_lshlrev_b32_e32 v3, 3, v0
	s_addc_u32 s20, s3, s20
	v_mov_b32_e32 v1, s20
	v_add_co_u32_e32 v2, vcc, s15, v3
	v_addc_co_u32_e32 v4, vcc, 0, v1, vcc
	v_add_co_u32_e32 v1, vcc, 4, v2
	s_lshl_b64 s[20:21], s[10:11], 3
	v_addc_co_u32_e32 v2, vcc, 0, v4, vcc
	v_or_b32_e32 v3, 0x80, v3
	v_mov_b32_e32 v4, s21
	s_mov_b32 s11, s12
.LBB137_12:                             ; =>This Inner Loop Header: Depth=1
	global_load_dwordx2 v[5:6], v[1:2], off offset:-4
	s_add_i32 s11, s11, -1
	v_add_co_u32_e32 v1, vcc, s20, v1
	v_addc_co_u32_e32 v2, vcc, v2, v4, vcc
	s_cmp_lg_u32 s11, 0
	s_waitcnt vmcnt(0)
	v_mul_f32_e32 v8, s14, v6
	v_mul_f32_e32 v7, s13, v6
	v_fma_f32 v6, s13, v5, -v8
	v_fmac_f32_e32 v7, s14, v5
	ds_write_b64 v3, v[6:7]
	v_add_u32_e32 v3, 32, v3
	s_cbranch_scc1 .LBB137_12
.LBB137_13:
	s_or_b64 exec, exec, s[18:19]
	s_cmpk_eq_i32 s9, 0x6f
	s_cselect_b64 s[18:19], -1, 0
	s_cmpk_lg_i32 s8, 0x79
	s_cselect_b64 s[14:15], -1, 0
	s_cmpk_eq_i32 s8, 0x79
	s_cselect_b64 s[20:21], -1, 0
	s_and_b64 s[20:21], s[20:21], s[18:19]
	s_andn2_b64 vcc, exec, s[20:21]
	s_mov_b64 s[20:21], -1
	s_waitcnt lgkmcnt(0)
	; wave barrier
	s_cbranch_vccz .LBB137_110
; %bb.14:
	s_cmpk_lg_i32 s8, 0x7a
	s_cselect_b64 s[8:9], -1, 0
	s_xor_b64 s[18:19], s[18:19], -1
	s_add_i32 s11, s24, -1
	s_or_b64 s[18:19], s[8:9], s[18:19]
	v_mov_b32_e32 v1, 0x80
	s_cmp_gt_i32 s12, 3
	v_lshl_or_b32 v15, v0, 3, v1
	s_cselect_b64 s[8:9], -1, 0
	s_and_b64 vcc, exec, s[18:19]
	s_cbranch_vccz .LBB137_81
; %bb.15:
	s_andn2_b64 vcc, exec, s[14:15]
	s_mov_b64 s[14:15], -1
	s_cbranch_vccnz .LBB137_48
; %bb.16:
	s_andn2_b64 vcc, exec, s[8:9]
	s_mov_b32 s13, 0
	s_cbranch_vccnz .LBB137_38
; %bb.17:
	v_mov_b32_e32 v1, 0
	ds_read_b64 v[9:10], v1
	ds_read2_b64 v[5:8], v15 offset1:4
	ds_read2_b64 v[1:4], v15 offset0:8 offset1:12
	s_waitcnt lgkmcnt(2)
	v_cmp_ngt_f32_e64 s[14:15], |v9|, |v10|
	s_and_b64 vcc, exec, s[14:15]
	s_cbranch_vccz .LBB137_19
; %bb.18:
	v_div_scale_f32 v11, s[14:15], v10, v10, v9
	v_div_scale_f32 v12, vcc, v9, v10, v9
	v_rcp_f32_e32 v13, v11
	v_fma_f32 v14, -v11, v13, 1.0
	v_fmac_f32_e32 v13, v14, v13
	v_mul_f32_e32 v14, v12, v13
	v_fma_f32 v16, -v11, v14, v12
	v_fmac_f32_e32 v14, v16, v13
	v_fma_f32 v11, -v11, v14, v12
	v_div_fmas_f32 v11, v11, v13, v14
	v_div_fixup_f32 v11, v11, v10, v9
	v_fma_f32 v12, v9, v11, v10
	v_div_scale_f32 v13, s[14:15], v12, v12, 1.0
	v_div_scale_f32 v14, vcc, 1.0, v12, 1.0
	s_mov_b64 s[14:15], 0
	v_rcp_f32_e32 v16, v13
	v_fma_f32 v17, -v13, v16, 1.0
	v_fmac_f32_e32 v16, v17, v16
	v_mul_f32_e32 v17, v14, v16
	v_fma_f32 v18, -v13, v17, v14
	v_fmac_f32_e32 v17, v18, v16
	v_fma_f32 v13, -v13, v17, v14
	v_div_fmas_f32 v13, v13, v16, v17
	s_waitcnt lgkmcnt(1)
	v_fma_f32 v14, v5, v11, v6
	v_fma_f32 v11, v6, v11, -v5
	v_div_fixup_f32 v12, v13, v12, 1.0
	v_mul_f32_e32 v13, v14, v12
	v_mul_f32_e32 v14, v11, v12
	s_branch .LBB137_20
.LBB137_19:
	s_mov_b64 s[14:15], -1
                                        ; implicit-def: $vgpr14
.LBB137_20:
	s_andn2_b64 vcc, exec, s[14:15]
	s_cbranch_vccnz .LBB137_22
; %bb.21:
	v_div_scale_f32 v11, s[14:15], v9, v9, v10
	v_div_scale_f32 v12, vcc, v10, v9, v10
	v_rcp_f32_e32 v13, v11
	v_fma_f32 v14, -v11, v13, 1.0
	v_fmac_f32_e32 v13, v14, v13
	v_mul_f32_e32 v14, v12, v13
	v_fma_f32 v16, -v11, v14, v12
	v_fmac_f32_e32 v14, v16, v13
	v_fma_f32 v11, -v11, v14, v12
	v_div_fmas_f32 v11, v11, v13, v14
	v_div_fixup_f32 v11, v11, v9, v10
	v_fmac_f32_e32 v9, v10, v11
	v_div_scale_f32 v10, s[14:15], v9, v9, 1.0
	v_div_scale_f32 v12, vcc, 1.0, v9, 1.0
	v_rcp_f32_e32 v13, v10
	v_fma_f32 v14, -v10, v13, 1.0
	v_fmac_f32_e32 v13, v14, v13
	v_mul_f32_e32 v14, v12, v13
	v_fma_f32 v16, -v10, v14, v12
	v_fmac_f32_e32 v14, v16, v13
	v_fma_f32 v10, -v10, v14, v12
	v_div_fmas_f32 v10, v10, v13, v14
	s_waitcnt lgkmcnt(1)
	v_fma_f32 v12, v6, v11, v5
	v_fma_f32 v5, -v5, v11, v6
	v_div_fixup_f32 v6, v10, v9, 1.0
	v_mul_f32_e32 v13, v12, v6
	v_mul_f32_e32 v14, v5, v6
.LBB137_22:
	s_waitcnt lgkmcnt(1)
	v_mov_b32_e32 v5, 0
	ds_read2_b64 v[9:12], v5 offset0:1 offset1:5
	ds_write_b64 v15, v[13:14]
	s_waitcnt lgkmcnt(1)
	v_mul_f32_e32 v5, v14, v10
	v_mul_f32_e32 v6, v13, v10
	v_fma_f32 v5, v13, v9, -v5
	v_fmac_f32_e32 v6, v14, v9
	v_cmp_ngt_f32_e64 s[14:15], |v11|, |v12|
	v_sub_f32_e32 v7, v7, v5
	v_sub_f32_e32 v8, v8, v6
	s_and_b64 vcc, exec, s[14:15]
	s_cbranch_vccz .LBB137_24
; %bb.23:
	v_div_scale_f32 v5, s[14:15], v12, v12, v11
	v_div_scale_f32 v6, vcc, v11, v12, v11
	v_rcp_f32_e32 v9, v5
	v_fma_f32 v10, -v5, v9, 1.0
	v_fmac_f32_e32 v9, v10, v9
	v_mul_f32_e32 v10, v6, v9
	v_fma_f32 v16, -v5, v10, v6
	v_fmac_f32_e32 v10, v16, v9
	v_fma_f32 v5, -v5, v10, v6
	v_div_fmas_f32 v5, v5, v9, v10
	v_div_fixup_f32 v5, v5, v12, v11
	v_fma_f32 v6, v11, v5, v12
	v_div_scale_f32 v9, s[14:15], v6, v6, 1.0
	v_div_scale_f32 v10, vcc, 1.0, v6, 1.0
	s_mov_b64 s[14:15], 0
	v_rcp_f32_e32 v16, v9
	v_fma_f32 v17, -v9, v16, 1.0
	v_fmac_f32_e32 v16, v17, v16
	v_mul_f32_e32 v17, v10, v16
	v_fma_f32 v18, -v9, v17, v10
	v_fmac_f32_e32 v17, v18, v16
	v_fma_f32 v9, -v9, v17, v10
	v_div_fmas_f32 v9, v9, v16, v17
	v_fma_f32 v10, v5, v7, v8
	v_fma_f32 v16, v5, v8, -v7
	v_div_fixup_f32 v6, v9, v6, 1.0
	v_mul_f32_e32 v5, v10, v6
	v_mul_f32_e32 v6, v16, v6
	s_branch .LBB137_25
.LBB137_24:
	s_mov_b64 s[14:15], -1
                                        ; implicit-def: $vgpr6
.LBB137_25:
	s_andn2_b64 vcc, exec, s[14:15]
	s_cbranch_vccnz .LBB137_27
; %bb.26:
	v_div_scale_f32 v5, s[14:15], v11, v11, v12
	v_div_scale_f32 v6, vcc, v12, v11, v12
	v_rcp_f32_e32 v9, v5
	v_fma_f32 v10, -v5, v9, 1.0
	v_fmac_f32_e32 v9, v10, v9
	v_mul_f32_e32 v10, v6, v9
	v_fma_f32 v16, -v5, v10, v6
	v_fmac_f32_e32 v10, v16, v9
	v_fma_f32 v5, -v5, v10, v6
	v_div_fmas_f32 v5, v5, v9, v10
	v_div_fixup_f32 v5, v5, v11, v12
	v_fmac_f32_e32 v11, v12, v5
	v_div_scale_f32 v6, s[14:15], v11, v11, 1.0
	v_div_scale_f32 v9, vcc, 1.0, v11, 1.0
	v_rcp_f32_e32 v10, v6
	v_fma_f32 v12, -v6, v10, 1.0
	v_fmac_f32_e32 v10, v12, v10
	v_mul_f32_e32 v12, v9, v10
	v_fma_f32 v16, -v6, v12, v9
	v_fmac_f32_e32 v12, v16, v10
	v_fma_f32 v6, -v6, v12, v9
	v_div_fmas_f32 v6, v6, v10, v12
	v_fma_f32 v9, v5, v8, v7
	v_fma_f32 v7, -v5, v7, v8
	v_div_fixup_f32 v6, v6, v11, 1.0
	v_mul_f32_e32 v5, v9, v6
	v_mul_f32_e32 v6, v7, v6
.LBB137_27:
	v_mov_b32_e32 v11, 0
	ds_read2_b64 v[7:10], v11 offset0:2 offset1:6
	ds_write_b64 v15, v[5:6] offset:32
	s_waitcnt lgkmcnt(1)
	v_mul_f32_e32 v12, v14, v8
	v_mul_f32_e32 v8, v13, v8
	v_fma_f32 v12, v13, v7, -v12
	v_fmac_f32_e32 v8, v14, v7
	v_sub_f32_e32 v7, v1, v12
	v_mul_f32_e32 v1, v6, v10
	v_sub_f32_e32 v8, v2, v8
	v_fma_f32 v12, v5, v9, -v1
	ds_read_b64 v[1:2], v11 offset:80
	v_mul_f32_e32 v10, v5, v10
	v_fmac_f32_e32 v10, v6, v9
	v_sub_f32_e32 v9, v7, v12
	v_sub_f32_e32 v10, v8, v10
	s_waitcnt lgkmcnt(0)
	v_cmp_ngt_f32_e64 s[14:15], |v1|, |v2|
	s_and_b64 vcc, exec, s[14:15]
	s_cbranch_vccz .LBB137_29
; %bb.28:
	v_div_scale_f32 v7, s[14:15], v2, v2, v1
	v_div_scale_f32 v8, vcc, v1, v2, v1
	v_rcp_f32_e32 v11, v7
	v_fma_f32 v12, -v7, v11, 1.0
	v_fmac_f32_e32 v11, v12, v11
	v_mul_f32_e32 v12, v8, v11
	v_fma_f32 v16, -v7, v12, v8
	v_fmac_f32_e32 v12, v16, v11
	v_fma_f32 v7, -v7, v12, v8
	v_div_fmas_f32 v7, v7, v11, v12
	v_div_fixup_f32 v7, v7, v2, v1
	v_fma_f32 v8, v1, v7, v2
	v_div_scale_f32 v11, s[14:15], v8, v8, 1.0
	v_div_scale_f32 v12, vcc, 1.0, v8, 1.0
	s_mov_b64 s[14:15], 0
	v_rcp_f32_e32 v16, v11
	v_fma_f32 v17, -v11, v16, 1.0
	v_fmac_f32_e32 v16, v17, v16
	v_mul_f32_e32 v17, v12, v16
	v_fma_f32 v18, -v11, v17, v12
	v_fmac_f32_e32 v17, v18, v16
	v_fma_f32 v11, -v11, v17, v12
	v_div_fmas_f32 v11, v11, v16, v17
	v_fma_f32 v12, v7, v9, v10
	v_fma_f32 v16, v7, v10, -v9
	v_div_fixup_f32 v8, v11, v8, 1.0
	v_mul_f32_e32 v7, v12, v8
	v_mul_f32_e32 v8, v16, v8
	s_branch .LBB137_30
.LBB137_29:
	s_mov_b64 s[14:15], -1
                                        ; implicit-def: $vgpr8
.LBB137_30:
	s_andn2_b64 vcc, exec, s[14:15]
	s_cbranch_vccnz .LBB137_32
; %bb.31:
	v_div_scale_f32 v7, s[14:15], v1, v1, v2
	v_div_scale_f32 v8, vcc, v2, v1, v2
	v_rcp_f32_e32 v11, v7
	v_fma_f32 v12, -v7, v11, 1.0
	v_fmac_f32_e32 v11, v12, v11
	v_mul_f32_e32 v12, v8, v11
	v_fma_f32 v16, -v7, v12, v8
	v_fmac_f32_e32 v12, v16, v11
	v_fma_f32 v7, -v7, v12, v8
	v_div_fmas_f32 v7, v7, v11, v12
	v_div_fixup_f32 v7, v7, v1, v2
	v_fmac_f32_e32 v1, v2, v7
	v_div_scale_f32 v2, s[14:15], v1, v1, 1.0
	v_div_scale_f32 v8, vcc, 1.0, v1, 1.0
	v_rcp_f32_e32 v11, v2
	v_fma_f32 v12, -v2, v11, 1.0
	v_fmac_f32_e32 v11, v12, v11
	v_mul_f32_e32 v12, v8, v11
	v_fma_f32 v16, -v2, v12, v8
	v_fmac_f32_e32 v12, v16, v11
	v_fma_f32 v2, -v2, v12, v8
	v_div_fmas_f32 v2, v2, v11, v12
	v_fma_f32 v8, v7, v10, v9
	v_fma_f32 v9, -v7, v9, v10
	v_div_fixup_f32 v1, v2, v1, 1.0
	v_mul_f32_e32 v7, v8, v1
	v_mul_f32_e32 v8, v9, v1
.LBB137_32:
	v_mov_b32_e32 v1, 0
	ds_read2_b64 v[9:12], v1 offset0:3 offset1:7
	ds_write_b64 v15, v[7:8] offset:64
	s_waitcnt lgkmcnt(1)
	v_mul_f32_e32 v2, v14, v10
	v_mul_f32_e32 v10, v13, v10
	v_fma_f32 v2, v13, v9, -v2
	v_fmac_f32_e32 v10, v14, v9
	v_sub_f32_e32 v9, v3, v2
	v_mul_f32_e32 v2, v6, v12
	v_sub_f32_e32 v10, v4, v10
	v_fma_f32 v13, v5, v11, -v2
	ds_read2_b64 v[1:4], v1 offset0:11 offset1:15
	v_mul_f32_e32 v5, v5, v12
	v_fmac_f32_e32 v5, v6, v11
	v_sub_f32_e32 v6, v9, v13
	v_sub_f32_e32 v9, v10, v5
	s_waitcnt lgkmcnt(0)
	v_mul_f32_e32 v5, v8, v2
	v_mul_f32_e32 v2, v7, v2
	v_fma_f32 v5, v7, v1, -v5
	v_fmac_f32_e32 v2, v8, v1
	v_cmp_ngt_f32_e64 s[14:15], |v3|, |v4|
	v_sub_f32_e32 v5, v6, v5
	v_sub_f32_e32 v6, v9, v2
	s_and_b64 vcc, exec, s[14:15]
	s_cbranch_vccz .LBB137_34
; %bb.33:
	v_div_scale_f32 v1, s[14:15], v4, v4, v3
	v_div_scale_f32 v2, vcc, v3, v4, v3
	v_rcp_f32_e32 v7, v1
	v_fma_f32 v8, -v1, v7, 1.0
	v_fmac_f32_e32 v7, v8, v7
	v_mul_f32_e32 v8, v2, v7
	v_fma_f32 v9, -v1, v8, v2
	v_fmac_f32_e32 v8, v9, v7
	v_fma_f32 v1, -v1, v8, v2
	v_div_fmas_f32 v1, v1, v7, v8
	v_div_fixup_f32 v1, v1, v4, v3
	v_fma_f32 v2, v3, v1, v4
	v_div_scale_f32 v7, s[14:15], v2, v2, 1.0
	v_div_scale_f32 v8, vcc, 1.0, v2, 1.0
	s_mov_b64 s[14:15], 0
	v_rcp_f32_e32 v9, v7
	v_fma_f32 v10, -v7, v9, 1.0
	v_fmac_f32_e32 v9, v10, v9
	v_mul_f32_e32 v10, v8, v9
	v_fma_f32 v11, -v7, v10, v8
	v_fmac_f32_e32 v10, v11, v9
	v_fma_f32 v7, -v7, v10, v8
	v_div_fmas_f32 v7, v7, v9, v10
	v_fma_f32 v8, v1, v5, v6
	v_fma_f32 v9, v1, v6, -v5
	v_div_fixup_f32 v2, v7, v2, 1.0
	v_mul_f32_e32 v1, v8, v2
	v_mul_f32_e32 v2, v9, v2
	s_branch .LBB137_35
.LBB137_34:
	s_mov_b64 s[14:15], -1
                                        ; implicit-def: $vgpr2
.LBB137_35:
	s_andn2_b64 vcc, exec, s[14:15]
	s_cbranch_vccnz .LBB137_37
; %bb.36:
	v_div_scale_f32 v1, s[14:15], v3, v3, v4
	v_div_scale_f32 v2, vcc, v4, v3, v4
	v_rcp_f32_e32 v7, v1
	v_fma_f32 v8, -v1, v7, 1.0
	v_fmac_f32_e32 v7, v8, v7
	v_mul_f32_e32 v8, v2, v7
	v_fma_f32 v9, -v1, v8, v2
	v_fmac_f32_e32 v8, v9, v7
	v_fma_f32 v1, -v1, v8, v2
	v_div_fmas_f32 v1, v1, v7, v8
	v_div_fixup_f32 v1, v1, v3, v4
	v_fmac_f32_e32 v3, v4, v1
	v_div_scale_f32 v2, s[14:15], v3, v3, 1.0
	v_div_scale_f32 v4, vcc, 1.0, v3, 1.0
	v_rcp_f32_e32 v7, v2
	v_fma_f32 v8, -v2, v7, 1.0
	v_fmac_f32_e32 v7, v8, v7
	v_mul_f32_e32 v8, v4, v7
	v_fma_f32 v9, -v2, v8, v4
	v_fmac_f32_e32 v8, v9, v7
	v_fma_f32 v2, -v2, v8, v4
	v_div_fmas_f32 v2, v2, v7, v8
	v_fma_f32 v4, v1, v6, v5
	v_fma_f32 v5, -v1, v5, v6
	v_div_fixup_f32 v2, v2, v3, 1.0
	v_mul_f32_e32 v1, v4, v2
	v_mul_f32_e32 v2, v5, v2
.LBB137_37:
	s_mov_b32 s13, 4
	ds_write_b64 v15, v[1:2] offset:96
.LBB137_38:
	s_cmp_ge_i32 s13, s24
	s_cbranch_scc1 .LBB137_47
; %bb.39:
	v_mov_b32_e32 v1, 0x80
	s_lshl_b32 s18, s13, 3
	v_lshl_or_b32 v7, v0, 3, v1
	s_branch .LBB137_41
.LBB137_40:                             ;   in Loop: Header=BB137_41 Depth=1
	s_add_i32 s13, s13, 1
	s_add_i32 s18, s18, 8
	s_cmp_ge_i32 s13, s24
	ds_write_b64 v8, v[5:6]
	s_cbranch_scc1 .LBB137_47
.LBB137_41:                             ; =>This Loop Header: Depth=1
                                        ;     Child Loop BB137_42 Depth 2
	s_lshl_b32 s14, s13, 5
	v_add_u32_e32 v8, s14, v15
	ds_read_b64 v[1:2], v8
	s_cmp_eq_u32 s13, 0
	v_mov_b32_e32 v3, v7
	s_mov_b32 s15, s18
	s_mov_b32 s19, s13
	s_cbranch_scc1 .LBB137_43
.LBB137_42:                             ;   Parent Loop BB137_41 Depth=1
                                        ; =>  This Inner Loop Header: Depth=2
	v_mov_b32_e32 v6, s15
	ds_read_b64 v[4:5], v3
	ds_read_b64 v[9:10], v6
	s_add_i32 s19, s19, -1
	s_add_i32 s15, s15, 32
	v_add_u32_e32 v3, 32, v3
	s_cmp_eq_u32 s19, 0
	s_waitcnt lgkmcnt(0)
	v_mul_f32_e32 v6, v10, v5
	v_mul_f32_e32 v5, v9, v5
	v_fma_f32 v6, v9, v4, -v6
	v_fmac_f32_e32 v5, v10, v4
	v_sub_f32_e32 v1, v1, v6
	v_sub_f32_e32 v2, v2, v5
	s_cbranch_scc0 .LBB137_42
.LBB137_43:                             ;   in Loop: Header=BB137_41 Depth=1
	s_lshl_b32 s15, s13, 3
	s_add_i32 s14, s15, s14
	v_mov_b32_e32 v3, s14
	ds_read_b64 v[3:4], v3
	s_mov_b64 s[14:15], -1
                                        ; implicit-def: $vgpr5
	s_waitcnt lgkmcnt(0)
	v_cmp_ngt_f32_e64 s[20:21], |v3|, |v4|
	s_and_b64 vcc, exec, s[20:21]
	s_cbranch_vccz .LBB137_45
; %bb.44:                               ;   in Loop: Header=BB137_41 Depth=1
	v_div_scale_f32 v5, s[14:15], v4, v4, v3
	v_div_scale_f32 v6, vcc, v3, v4, v3
	v_rcp_f32_e32 v9, v5
	v_fma_f32 v10, -v5, v9, 1.0
	v_fmac_f32_e32 v9, v10, v9
	v_mul_f32_e32 v10, v6, v9
	v_fma_f32 v11, -v5, v10, v6
	v_fmac_f32_e32 v10, v11, v9
	v_fma_f32 v5, -v5, v10, v6
	v_div_fmas_f32 v5, v5, v9, v10
	v_div_fixup_f32 v5, v5, v4, v3
	v_fma_f32 v6, v3, v5, v4
	v_div_scale_f32 v9, s[14:15], v6, v6, 1.0
	v_div_scale_f32 v10, vcc, 1.0, v6, 1.0
	s_mov_b64 s[14:15], 0
	v_rcp_f32_e32 v11, v9
	v_fma_f32 v12, -v9, v11, 1.0
	v_fmac_f32_e32 v11, v12, v11
	v_mul_f32_e32 v12, v10, v11
	v_fma_f32 v13, -v9, v12, v10
	v_fmac_f32_e32 v12, v13, v11
	v_fma_f32 v9, -v9, v12, v10
	v_div_fmas_f32 v9, v9, v11, v12
	v_fma_f32 v10, v1, v5, v2
	v_fma_f32 v11, v2, v5, -v1
	v_div_fixup_f32 v6, v9, v6, 1.0
	v_mul_f32_e32 v5, v10, v6
	v_mul_f32_e32 v6, v11, v6
.LBB137_45:                             ;   in Loop: Header=BB137_41 Depth=1
	s_andn2_b64 vcc, exec, s[14:15]
	s_cbranch_vccnz .LBB137_40
; %bb.46:                               ;   in Loop: Header=BB137_41 Depth=1
	v_div_scale_f32 v5, s[14:15], v3, v3, v4
	v_div_scale_f32 v6, vcc, v4, v3, v4
	v_rcp_f32_e32 v9, v5
	v_fma_f32 v10, -v5, v9, 1.0
	v_fmac_f32_e32 v9, v10, v9
	v_mul_f32_e32 v10, v6, v9
	v_fma_f32 v11, -v5, v10, v6
	v_fmac_f32_e32 v10, v11, v9
	v_fma_f32 v5, -v5, v10, v6
	v_div_fmas_f32 v5, v5, v9, v10
	v_div_fixup_f32 v5, v5, v3, v4
	v_fmac_f32_e32 v3, v4, v5
	v_div_scale_f32 v4, s[14:15], v3, v3, 1.0
	v_div_scale_f32 v6, vcc, 1.0, v3, 1.0
	v_rcp_f32_e32 v9, v4
	v_fma_f32 v10, -v4, v9, 1.0
	v_fmac_f32_e32 v9, v10, v9
	v_mul_f32_e32 v10, v6, v9
	v_fma_f32 v11, -v4, v10, v6
	v_fmac_f32_e32 v10, v11, v9
	v_fma_f32 v4, -v4, v10, v6
	v_div_fmas_f32 v4, v4, v9, v10
	v_fma_f32 v6, v2, v5, v1
	v_fma_f32 v1, -v1, v5, v2
	v_div_fixup_f32 v2, v4, v3, 1.0
	v_mul_f32_e32 v5, v6, v2
	v_mul_f32_e32 v6, v1, v2
	s_branch .LBB137_40
.LBB137_47:
	s_mov_b64 s[14:15], 0
.LBB137_48:
	s_and_b64 vcc, exec, s[14:15]
	s_cbranch_vccz .LBB137_80
; %bb.49:
	s_and_b64 vcc, exec, s[8:9]
	s_mov_b32 s13, s11
	s_cbranch_vccz .LBB137_71
; %bb.50:
	s_lshl_b32 s14, s24, 5
	s_mul_i32 s19, s11, 40
	s_add_i32 s18, s24, -2
	s_add_i32 s13, s24, -3
	s_addk_i32 s14, 0xff80
	v_mov_b32_e32 v1, s19
	v_lshl_add_u32 v17, s11, 5, v15
	v_lshl_add_u32 v16, s18, 5, v15
	;; [unrolled: 1-line block ×3, first 2 shown]
	v_add_u32_e32 v13, s14, v15
	ds_read_b64 v[9:10], v1
	ds_read_b64 v[11:12], v17
	;; [unrolled: 1-line block ×5, first 2 shown]
	s_waitcnt lgkmcnt(4)
	v_cmp_ngt_f32_e64 s[14:15], |v9|, |v10|
	s_and_b64 vcc, exec, s[14:15]
	s_cbranch_vccz .LBB137_52
; %bb.51:
	v_div_scale_f32 v3, s[14:15], v10, v10, v9
	v_div_scale_f32 v4, vcc, v9, v10, v9
	v_rcp_f32_e32 v18, v3
	v_fma_f32 v19, -v3, v18, 1.0
	v_fmac_f32_e32 v18, v19, v18
	v_mul_f32_e32 v19, v4, v18
	v_fma_f32 v20, -v3, v19, v4
	v_fmac_f32_e32 v19, v20, v18
	v_fma_f32 v3, -v3, v19, v4
	v_div_fmas_f32 v3, v3, v18, v19
	v_div_fixup_f32 v3, v3, v10, v9
	v_fma_f32 v4, v9, v3, v10
	v_div_scale_f32 v18, s[14:15], v4, v4, 1.0
	v_div_scale_f32 v19, vcc, 1.0, v4, 1.0
	s_mov_b64 s[14:15], 0
	v_rcp_f32_e32 v20, v18
	v_fma_f32 v21, -v18, v20, 1.0
	v_fmac_f32_e32 v20, v21, v20
	v_mul_f32_e32 v21, v19, v20
	v_fma_f32 v22, -v18, v21, v19
	v_fmac_f32_e32 v21, v22, v20
	v_fma_f32 v18, -v18, v21, v19
	v_div_fmas_f32 v18, v18, v20, v21
	s_waitcnt lgkmcnt(3)
	v_fma_f32 v19, v11, v3, v12
	v_fma_f32 v20, v12, v3, -v11
	v_div_fixup_f32 v4, v18, v4, 1.0
	v_mul_f32_e32 v3, v19, v4
	v_mul_f32_e32 v4, v20, v4
	s_branch .LBB137_53
.LBB137_52:
	s_mov_b64 s[14:15], -1
                                        ; implicit-def: $vgpr4
.LBB137_53:
	s_andn2_b64 vcc, exec, s[14:15]
	s_cbranch_vccnz .LBB137_55
; %bb.54:
	v_div_scale_f32 v3, s[14:15], v9, v9, v10
	v_div_scale_f32 v4, vcc, v10, v9, v10
	v_rcp_f32_e32 v18, v3
	v_fma_f32 v19, -v3, v18, 1.0
	v_fmac_f32_e32 v18, v19, v18
	v_mul_f32_e32 v19, v4, v18
	v_fma_f32 v20, -v3, v19, v4
	v_fmac_f32_e32 v19, v20, v18
	v_fma_f32 v3, -v3, v19, v4
	v_div_fmas_f32 v3, v3, v18, v19
	v_div_fixup_f32 v3, v3, v9, v10
	v_fmac_f32_e32 v9, v10, v3
	v_div_scale_f32 v4, s[14:15], v9, v9, 1.0
	v_div_scale_f32 v10, vcc, 1.0, v9, 1.0
	v_rcp_f32_e32 v18, v4
	v_fma_f32 v19, -v4, v18, 1.0
	v_fmac_f32_e32 v18, v19, v18
	v_mul_f32_e32 v19, v10, v18
	v_fma_f32 v20, -v4, v19, v10
	v_fmac_f32_e32 v19, v20, v18
	v_fma_f32 v4, -v4, v19, v10
	v_div_fmas_f32 v4, v4, v18, v19
	s_waitcnt lgkmcnt(3)
	v_fma_f32 v10, v12, v3, v11
	v_fma_f32 v11, -v11, v3, v12
	v_div_fixup_f32 v4, v4, v9, 1.0
	v_mul_f32_e32 v3, v10, v4
	v_mul_f32_e32 v4, v11, v4
.LBB137_55:
	s_lshl_b32 s14, s11, 3
	s_sub_i32 s20, s19, s14
	s_lshl_b32 s18, s18, 3
	s_add_i32 s14, s20, s18
	v_mov_b32_e32 v9, s14
	s_sub_i32 s19, s19, 40
	s_waitcnt lgkmcnt(3)
	ds_read_b64 v[11:12], v9
	v_mov_b32_e32 v9, s19
	ds_read_b64 v[9:10], v9
	ds_write_b64 v17, v[3:4]
	s_waitcnt lgkmcnt(2)
	v_mul_f32_e32 v17, v4, v12
	v_mul_f32_e32 v12, v3, v12
	v_fma_f32 v17, v3, v11, -v17
	v_fmac_f32_e32 v12, v4, v11
	s_waitcnt lgkmcnt(1)
	v_cmp_ngt_f32_e64 s[14:15], |v9|, |v10|
	v_sub_f32_e32 v11, v7, v17
	v_sub_f32_e32 v12, v8, v12
	s_and_b64 vcc, exec, s[14:15]
	s_cbranch_vccz .LBB137_57
; %bb.56:
	v_div_scale_f32 v7, s[14:15], v10, v10, v9
	v_div_scale_f32 v8, vcc, v9, v10, v9
	v_rcp_f32_e32 v17, v7
	v_fma_f32 v18, -v7, v17, 1.0
	v_fmac_f32_e32 v17, v18, v17
	v_mul_f32_e32 v18, v8, v17
	v_fma_f32 v19, -v7, v18, v8
	v_fmac_f32_e32 v18, v19, v17
	v_fma_f32 v7, -v7, v18, v8
	v_div_fmas_f32 v7, v7, v17, v18
	v_div_fixup_f32 v7, v7, v10, v9
	v_fma_f32 v8, v9, v7, v10
	v_div_scale_f32 v17, s[14:15], v8, v8, 1.0
	v_div_scale_f32 v18, vcc, 1.0, v8, 1.0
	s_mov_b64 s[14:15], 0
	v_rcp_f32_e32 v19, v17
	v_fma_f32 v20, -v17, v19, 1.0
	v_fmac_f32_e32 v19, v20, v19
	v_mul_f32_e32 v20, v18, v19
	v_fma_f32 v21, -v17, v20, v18
	v_fmac_f32_e32 v20, v21, v19
	v_fma_f32 v17, -v17, v20, v18
	v_div_fmas_f32 v17, v17, v19, v20
	v_fma_f32 v18, v7, v11, v12
	v_fma_f32 v19, v7, v12, -v11
	v_div_fixup_f32 v8, v17, v8, 1.0
	v_mul_f32_e32 v7, v18, v8
	v_mul_f32_e32 v8, v19, v8
	s_branch .LBB137_58
.LBB137_57:
	s_mov_b64 s[14:15], -1
                                        ; implicit-def: $vgpr8
.LBB137_58:
	s_andn2_b64 vcc, exec, s[14:15]
	s_cbranch_vccnz .LBB137_60
; %bb.59:
	v_div_scale_f32 v7, s[14:15], v9, v9, v10
	v_div_scale_f32 v8, vcc, v10, v9, v10
	v_rcp_f32_e32 v17, v7
	v_fma_f32 v18, -v7, v17, 1.0
	v_fmac_f32_e32 v17, v18, v17
	v_mul_f32_e32 v18, v8, v17
	v_fma_f32 v19, -v7, v18, v8
	v_fmac_f32_e32 v18, v19, v17
	v_fma_f32 v7, -v7, v18, v8
	v_div_fmas_f32 v7, v7, v17, v18
	v_div_fixup_f32 v7, v7, v9, v10
	v_fmac_f32_e32 v9, v10, v7
	v_div_scale_f32 v8, s[14:15], v9, v9, 1.0
	v_div_scale_f32 v10, vcc, 1.0, v9, 1.0
	v_rcp_f32_e32 v17, v8
	v_fma_f32 v18, -v8, v17, 1.0
	v_fmac_f32_e32 v17, v18, v17
	v_mul_f32_e32 v18, v10, v17
	v_fma_f32 v19, -v8, v18, v10
	v_fmac_f32_e32 v18, v19, v17
	v_fma_f32 v8, -v8, v18, v10
	v_div_fmas_f32 v8, v8, v17, v18
	v_fma_f32 v10, v7, v12, v11
	v_fma_f32 v11, -v7, v11, v12
	v_div_fixup_f32 v8, v8, v9, 1.0
	v_mul_f32_e32 v7, v10, v8
	v_mul_f32_e32 v8, v11, v8
.LBB137_60:
	s_lshl_b32 s13, s13, 3
	s_add_i32 s14, s20, s13
	v_mov_b32_e32 v9, s14
	s_sub_i32 s18, s19, s18
	ds_read_b64 v[11:12], v9
	s_add_i32 s13, s18, s13
	v_mov_b32_e32 v9, s13
	s_sub_i32 s13, s19, 40
	ds_write_b64 v16, v[7:8]
	v_mov_b32_e32 v10, s13
	ds_read_b64 v[16:17], v9
	ds_read_b64 v[9:10], v10
	s_waitcnt lgkmcnt(3)
	v_mul_f32_e32 v18, v4, v12
	v_mul_f32_e32 v12, v3, v12
	v_fmac_f32_e32 v12, v4, v11
	v_fma_f32 v18, v3, v11, -v18
	v_sub_f32_e32 v6, v6, v12
	s_waitcnt lgkmcnt(1)
	v_mul_f32_e32 v11, v8, v17
	v_mul_f32_e32 v12, v7, v17
	v_sub_f32_e32 v5, v5, v18
	v_fma_f32 v11, v7, v16, -v11
	v_fmac_f32_e32 v12, v8, v16
	s_waitcnt lgkmcnt(0)
	v_cmp_ngt_f32_e64 s[14:15], |v9|, |v10|
	v_sub_f32_e32 v5, v5, v11
	v_sub_f32_e32 v6, v6, v12
	s_and_b64 vcc, exec, s[14:15]
	s_cbranch_vccz .LBB137_62
; %bb.61:
	v_div_scale_f32 v11, s[14:15], v10, v10, v9
	v_div_scale_f32 v12, vcc, v9, v10, v9
	v_rcp_f32_e32 v16, v11
	v_fma_f32 v17, -v11, v16, 1.0
	v_fmac_f32_e32 v16, v17, v16
	v_mul_f32_e32 v17, v12, v16
	v_fma_f32 v18, -v11, v17, v12
	v_fmac_f32_e32 v17, v18, v16
	v_fma_f32 v11, -v11, v17, v12
	v_div_fmas_f32 v11, v11, v16, v17
	v_div_fixup_f32 v11, v11, v10, v9
	v_fma_f32 v12, v9, v11, v10
	v_div_scale_f32 v16, s[14:15], v12, v12, 1.0
	v_div_scale_f32 v17, vcc, 1.0, v12, 1.0
	s_mov_b64 s[14:15], 0
	v_rcp_f32_e32 v18, v16
	v_fma_f32 v19, -v16, v18, 1.0
	v_fmac_f32_e32 v18, v19, v18
	v_mul_f32_e32 v19, v17, v18
	v_fma_f32 v20, -v16, v19, v17
	v_fmac_f32_e32 v19, v20, v18
	v_fma_f32 v16, -v16, v19, v17
	v_div_fmas_f32 v16, v16, v18, v19
	v_fma_f32 v17, v11, v5, v6
	v_fma_f32 v18, v11, v6, -v5
	v_div_fixup_f32 v12, v16, v12, 1.0
	v_mul_f32_e32 v11, v17, v12
	v_mul_f32_e32 v12, v18, v12
	s_branch .LBB137_63
.LBB137_62:
	s_mov_b64 s[14:15], -1
                                        ; implicit-def: $vgpr12
.LBB137_63:
	s_andn2_b64 vcc, exec, s[14:15]
	s_cbranch_vccnz .LBB137_65
; %bb.64:
	v_div_scale_f32 v11, s[14:15], v9, v9, v10
	v_div_scale_f32 v12, vcc, v10, v9, v10
	v_rcp_f32_e32 v16, v11
	v_fma_f32 v17, -v11, v16, 1.0
	v_fmac_f32_e32 v16, v17, v16
	v_mul_f32_e32 v17, v12, v16
	v_fma_f32 v18, -v11, v17, v12
	v_fmac_f32_e32 v17, v18, v16
	v_fma_f32 v11, -v11, v17, v12
	v_div_fmas_f32 v11, v11, v16, v17
	v_div_fixup_f32 v11, v11, v9, v10
	v_fmac_f32_e32 v9, v10, v11
	v_div_scale_f32 v10, s[14:15], v9, v9, 1.0
	v_div_scale_f32 v12, vcc, 1.0, v9, 1.0
	v_rcp_f32_e32 v16, v10
	v_fma_f32 v17, -v10, v16, 1.0
	v_fmac_f32_e32 v16, v17, v16
	v_mul_f32_e32 v17, v12, v16
	v_fma_f32 v18, -v10, v17, v12
	v_fmac_f32_e32 v17, v18, v16
	v_fma_f32 v10, -v10, v17, v12
	v_div_fmas_f32 v10, v10, v16, v17
	v_fma_f32 v12, v11, v6, v5
	v_fma_f32 v5, -v11, v5, v6
	v_div_fixup_f32 v6, v10, v9, 1.0
	v_mul_f32_e32 v11, v12, v6
	v_mul_f32_e32 v12, v5, v6
.LBB137_65:
	s_lshl_b32 s14, s24, 3
	s_add_i32 s14, s18, s14
	v_mov_b32_e32 v5, s14
	ds_read_b64 v[9:10], v5
	s_sub_i32 s15, s14, 32
	s_sub_i32 s14, s14, 64
	;; [unrolled: 1-line block ×3, first 2 shown]
	ds_write_b64 v14, v[11:12]
	v_mov_b32_e32 v5, s15
	v_mov_b32_e32 v6, s14
	;; [unrolled: 1-line block ×3, first 2 shown]
	ds_read_b64 v[16:17], v5
	ds_read_b64 v[18:19], v6
	ds_read_b64 v[5:6], v14
	s_waitcnt lgkmcnt(4)
	v_mul_f32_e32 v14, v4, v10
	v_fma_f32 v14, v3, v9, -v14
	v_mul_f32_e32 v3, v3, v10
	v_fmac_f32_e32 v3, v4, v9
	v_sub_f32_e32 v2, v2, v3
	s_waitcnt lgkmcnt(2)
	v_mul_f32_e32 v3, v8, v17
	v_mul_f32_e32 v4, v7, v17
	v_sub_f32_e32 v1, v1, v14
	v_fma_f32 v3, v7, v16, -v3
	v_fmac_f32_e32 v4, v8, v16
	v_sub_f32_e32 v1, v1, v3
	v_sub_f32_e32 v2, v2, v4
	s_waitcnt lgkmcnt(1)
	v_mul_f32_e32 v3, v12, v19
	v_mul_f32_e32 v4, v11, v19
	v_fma_f32 v3, v11, v18, -v3
	v_fmac_f32_e32 v4, v12, v18
	s_waitcnt lgkmcnt(0)
	v_cmp_ngt_f32_e64 s[14:15], |v5|, |v6|
	v_sub_f32_e32 v3, v1, v3
	v_sub_f32_e32 v4, v2, v4
	s_and_b64 vcc, exec, s[14:15]
	s_cbranch_vccz .LBB137_67
; %bb.66:
	v_div_scale_f32 v1, s[14:15], v6, v6, v5
	v_div_scale_f32 v2, vcc, v5, v6, v5
	v_rcp_f32_e32 v7, v1
	v_fma_f32 v8, -v1, v7, 1.0
	v_fmac_f32_e32 v7, v8, v7
	v_mul_f32_e32 v8, v2, v7
	v_fma_f32 v9, -v1, v8, v2
	v_fmac_f32_e32 v8, v9, v7
	v_fma_f32 v1, -v1, v8, v2
	v_div_fmas_f32 v1, v1, v7, v8
	v_div_fixup_f32 v1, v1, v6, v5
	v_fma_f32 v2, v5, v1, v6
	v_div_scale_f32 v7, s[14:15], v2, v2, 1.0
	v_div_scale_f32 v8, vcc, 1.0, v2, 1.0
	s_mov_b64 s[14:15], 0
	v_rcp_f32_e32 v9, v7
	v_fma_f32 v10, -v7, v9, 1.0
	v_fmac_f32_e32 v9, v10, v9
	v_mul_f32_e32 v10, v8, v9
	v_fma_f32 v11, -v7, v10, v8
	v_fmac_f32_e32 v10, v11, v9
	v_fma_f32 v7, -v7, v10, v8
	v_div_fmas_f32 v7, v7, v9, v10
	v_fma_f32 v8, v1, v3, v4
	v_fma_f32 v9, v1, v4, -v3
	v_div_fixup_f32 v2, v7, v2, 1.0
	v_mul_f32_e32 v1, v8, v2
	v_mul_f32_e32 v2, v9, v2
	s_branch .LBB137_68
.LBB137_67:
	s_mov_b64 s[14:15], -1
                                        ; implicit-def: $vgpr2
.LBB137_68:
	s_andn2_b64 vcc, exec, s[14:15]
	s_cbranch_vccnz .LBB137_70
; %bb.69:
	v_div_scale_f32 v1, s[14:15], v5, v5, v6
	v_div_scale_f32 v2, vcc, v6, v5, v6
	v_rcp_f32_e32 v7, v1
	v_fma_f32 v8, -v1, v7, 1.0
	v_fmac_f32_e32 v7, v8, v7
	v_mul_f32_e32 v8, v2, v7
	v_fma_f32 v9, -v1, v8, v2
	v_fmac_f32_e32 v8, v9, v7
	v_fma_f32 v1, -v1, v8, v2
	v_div_fmas_f32 v1, v1, v7, v8
	v_div_fixup_f32 v1, v1, v5, v6
	v_fmac_f32_e32 v5, v6, v1
	v_div_scale_f32 v2, s[14:15], v5, v5, 1.0
	v_div_scale_f32 v6, vcc, 1.0, v5, 1.0
	v_rcp_f32_e32 v7, v2
	v_fma_f32 v8, -v2, v7, 1.0
	v_fmac_f32_e32 v7, v8, v7
	v_mul_f32_e32 v8, v6, v7
	v_fma_f32 v9, -v2, v8, v6
	v_fmac_f32_e32 v8, v9, v7
	v_fma_f32 v2, -v2, v8, v6
	v_div_fmas_f32 v2, v2, v7, v8
	v_fma_f32 v6, v1, v4, v3
	v_fma_f32 v3, -v1, v3, v4
	v_div_fixup_f32 v2, v2, v5, 1.0
	v_mul_f32_e32 v1, v6, v2
	v_mul_f32_e32 v2, v3, v2
.LBB137_70:
	ds_write_b64 v13, v[1:2]
	s_add_i32 s13, s24, -5
.LBB137_71:
	s_cmp_lt_i32 s13, 0
	s_cbranch_scc1 .LBB137_80
; %bb.72:
	s_lshl_b32 s14, s24, 5
	s_lshl_b32 s15, s13, 3
	s_add_i32 s15, s14, s15
	v_lshl_or_b32 v1, v0, 3, s14
	s_sub_i32 s18, s15, 32
	v_add_u32_e32 v7, 0x60, v1
	s_branch .LBB137_74
.LBB137_73:                             ;   in Loop: Header=BB137_74 Depth=1
	v_sub_co_u32_e64 v1, s[14:15], s13, 1
	v_readfirstlane_b32 s13, v1
	s_add_i32 s18, s18, -8
	s_and_b64 vcc, exec, s[14:15]
	ds_write_b64 v8, v[5:6]
	s_cbranch_vccnz .LBB137_80
.LBB137_74:                             ; =>This Loop Header: Depth=1
                                        ;     Child Loop BB137_75 Depth 2
	s_lshl_b32 s14, s13, 5
	v_add_u32_e32 v8, s14, v15
	ds_read_b64 v[1:2], v8
	s_cmp_le_i32 s11, s13
	v_mov_b32_e32 v3, v7
	s_mov_b32 s15, s18
	s_mov_b32 s19, s11
	s_cbranch_scc1 .LBB137_76
.LBB137_75:                             ;   Parent Loop BB137_74 Depth=1
                                        ; =>  This Inner Loop Header: Depth=2
	v_mov_b32_e32 v6, s15
	ds_read_b64 v[4:5], v3
	ds_read_b64 v[9:10], v6
	s_add_i32 s19, s19, -1
	s_sub_i32 s15, s15, 32
	v_subrev_u32_e32 v3, 32, v3
	s_cmp_le_u32 s19, s13
	s_waitcnt lgkmcnt(0)
	v_mul_f32_e32 v6, v10, v5
	v_mul_f32_e32 v5, v9, v5
	v_fma_f32 v6, v9, v4, -v6
	v_fmac_f32_e32 v5, v10, v4
	v_sub_f32_e32 v1, v1, v6
	v_sub_f32_e32 v2, v2, v5
	s_cbranch_scc0 .LBB137_75
.LBB137_76:                             ;   in Loop: Header=BB137_74 Depth=1
	s_lshl_b32 s15, s13, 3
	s_add_i32 s14, s15, s14
	v_mov_b32_e32 v3, s14
	ds_read_b64 v[3:4], v3
	s_mov_b64 s[14:15], -1
                                        ; implicit-def: $vgpr5
	s_waitcnt lgkmcnt(0)
	v_cmp_ngt_f32_e64 s[20:21], |v3|, |v4|
	s_and_b64 vcc, exec, s[20:21]
	s_cbranch_vccz .LBB137_78
; %bb.77:                               ;   in Loop: Header=BB137_74 Depth=1
	v_div_scale_f32 v5, s[14:15], v4, v4, v3
	v_div_scale_f32 v6, vcc, v3, v4, v3
	v_rcp_f32_e32 v9, v5
	v_fma_f32 v10, -v5, v9, 1.0
	v_fmac_f32_e32 v9, v10, v9
	v_mul_f32_e32 v10, v6, v9
	v_fma_f32 v11, -v5, v10, v6
	v_fmac_f32_e32 v10, v11, v9
	v_fma_f32 v5, -v5, v10, v6
	v_div_fmas_f32 v5, v5, v9, v10
	v_div_fixup_f32 v5, v5, v4, v3
	v_fma_f32 v6, v3, v5, v4
	v_div_scale_f32 v9, s[14:15], v6, v6, 1.0
	v_div_scale_f32 v10, vcc, 1.0, v6, 1.0
	s_mov_b64 s[14:15], 0
	v_rcp_f32_e32 v11, v9
	v_fma_f32 v12, -v9, v11, 1.0
	v_fmac_f32_e32 v11, v12, v11
	v_mul_f32_e32 v12, v10, v11
	v_fma_f32 v13, -v9, v12, v10
	v_fmac_f32_e32 v12, v13, v11
	v_fma_f32 v9, -v9, v12, v10
	v_div_fmas_f32 v9, v9, v11, v12
	v_fma_f32 v10, v1, v5, v2
	v_fma_f32 v11, v2, v5, -v1
	v_div_fixup_f32 v6, v9, v6, 1.0
	v_mul_f32_e32 v5, v10, v6
	v_mul_f32_e32 v6, v11, v6
.LBB137_78:                             ;   in Loop: Header=BB137_74 Depth=1
	s_andn2_b64 vcc, exec, s[14:15]
	s_cbranch_vccnz .LBB137_73
; %bb.79:                               ;   in Loop: Header=BB137_74 Depth=1
	v_div_scale_f32 v5, s[14:15], v3, v3, v4
	v_div_scale_f32 v6, vcc, v4, v3, v4
	v_rcp_f32_e32 v9, v5
	v_fma_f32 v10, -v5, v9, 1.0
	v_fmac_f32_e32 v9, v10, v9
	v_mul_f32_e32 v10, v6, v9
	v_fma_f32 v11, -v5, v10, v6
	v_fmac_f32_e32 v10, v11, v9
	v_fma_f32 v5, -v5, v10, v6
	v_div_fmas_f32 v5, v5, v9, v10
	v_div_fixup_f32 v5, v5, v3, v4
	v_fmac_f32_e32 v3, v4, v5
	v_div_scale_f32 v4, s[14:15], v3, v3, 1.0
	v_div_scale_f32 v6, vcc, 1.0, v3, 1.0
	v_rcp_f32_e32 v9, v4
	v_fma_f32 v10, -v4, v9, 1.0
	v_fmac_f32_e32 v9, v10, v9
	v_mul_f32_e32 v10, v6, v9
	v_fma_f32 v11, -v4, v10, v6
	v_fmac_f32_e32 v10, v11, v9
	v_fma_f32 v4, -v4, v10, v6
	v_div_fmas_f32 v4, v4, v9, v10
	v_fma_f32 v6, v2, v5, v1
	v_fma_f32 v1, -v1, v5, v2
	v_div_fixup_f32 v2, v4, v3, 1.0
	v_mul_f32_e32 v5, v6, v2
	v_mul_f32_e32 v6, v1, v2
	s_branch .LBB137_73
.LBB137_80:
	s_mov_b64 s[20:21], 0
.LBB137_81:
	s_andn2_b64 vcc, exec, s[20:21]
	s_cbranch_vccnz .LBB137_109
; %bb.82:
	s_and_b64 vcc, exec, s[8:9]
	s_mov_b32 s13, s11
	s_cbranch_vccz .LBB137_100
; %bb.83:
	s_lshl_b32 s8, s11, 5
	v_add_u32_e32 v17, s8, v15
	s_mul_i32 s8, s11, 40
	s_add_i32 s14, s24, -2
	s_add_i32 s15, s24, -3
	s_add_i32 s13, s24, -4
	v_mov_b32_e32 v1, s8
	v_lshl_add_u32 v16, s14, 5, v15
	v_lshl_add_u32 v14, s15, 5, v15
	;; [unrolled: 1-line block ×3, first 2 shown]
	ds_read_b64 v[1:2], v1
	ds_read_b64 v[3:4], v17
	;; [unrolled: 1-line block ×5, first 2 shown]
	s_waitcnt lgkmcnt(4)
	v_cmp_ngt_f32_e64 s[8:9], |v1|, |v2|
	s_and_b64 vcc, exec, s[8:9]
	s_cbranch_vccz .LBB137_85
; %bb.84:
	v_div_scale_f32 v7, s[8:9], v2, v2, v1
	v_div_scale_f32 v8, vcc, v1, v2, v1
	v_rcp_f32_e32 v18, v7
	v_fma_f32 v19, -v7, v18, 1.0
	v_fmac_f32_e32 v18, v19, v18
	v_mul_f32_e32 v19, v8, v18
	v_fma_f32 v20, -v7, v19, v8
	v_fmac_f32_e32 v19, v20, v18
	v_fma_f32 v7, -v7, v19, v8
	v_div_fmas_f32 v7, v7, v18, v19
	v_div_fixup_f32 v7, v7, v2, v1
	v_fma_f32 v8, v1, v7, v2
	v_div_scale_f32 v18, s[8:9], v8, v8, 1.0
	v_div_scale_f32 v19, vcc, 1.0, v8, 1.0
	v_rcp_f32_e32 v20, v18
	v_fma_f32 v21, -v18, v20, 1.0
	v_fmac_f32_e32 v20, v21, v20
	v_mul_f32_e32 v21, v19, v20
	v_fma_f32 v22, -v18, v21, v19
	v_fmac_f32_e32 v21, v22, v20
	v_fma_f32 v18, -v18, v21, v19
	v_div_fmas_f32 v18, v18, v20, v21
	s_waitcnt lgkmcnt(3)
	v_fma_f32 v19, v3, v7, v4
	v_fma_f32 v20, v4, v7, -v3
	v_div_fixup_f32 v8, v18, v8, 1.0
	v_mul_f32_e32 v7, v19, v8
	v_mul_f32_e32 v8, v20, v8
	s_lshl_b32 s8, s14, 2
	s_cbranch_execz .LBB137_86
	s_branch .LBB137_87
.LBB137_85:
                                        ; implicit-def: $vgpr8
	s_lshl_b32 s8, s14, 2
.LBB137_86:
	v_div_scale_f32 v7, s[18:19], v1, v1, v2
	v_div_scale_f32 v8, vcc, v2, v1, v2
	v_rcp_f32_e32 v18, v7
	v_fma_f32 v19, -v7, v18, 1.0
	v_fmac_f32_e32 v18, v19, v18
	v_mul_f32_e32 v19, v8, v18
	v_fma_f32 v20, -v7, v19, v8
	v_fmac_f32_e32 v19, v20, v18
	v_fma_f32 v7, -v7, v19, v8
	v_div_fmas_f32 v7, v7, v18, v19
	v_div_fixup_f32 v7, v7, v1, v2
	v_fmac_f32_e32 v1, v2, v7
	v_div_scale_f32 v2, s[18:19], v1, v1, 1.0
	v_div_scale_f32 v8, vcc, 1.0, v1, 1.0
	v_rcp_f32_e32 v18, v2
	v_fma_f32 v19, -v2, v18, 1.0
	v_fmac_f32_e32 v18, v19, v18
	v_mul_f32_e32 v19, v8, v18
	v_fma_f32 v20, -v2, v19, v8
	v_fmac_f32_e32 v19, v20, v18
	v_fma_f32 v2, -v2, v19, v8
	v_div_fmas_f32 v2, v2, v18, v19
	s_waitcnt lgkmcnt(3)
	v_fma_f32 v8, v4, v7, v3
	v_fma_f32 v3, -v3, v7, v4
	v_div_fixup_f32 v1, v2, v1, 1.0
	v_mul_f32_e32 v7, v8, v1
	v_mul_f32_e32 v8, v3, v1
.LBB137_87:
	s_lshl_b32 s8, s8, 3
	s_lshl_b32 s14, s14, 3
	s_add_i32 s8, s8, s14
	v_mov_b32_e32 v1, s8
	s_waitcnt lgkmcnt(3)
	ds_read2_b64 v[1:4], v1 offset1:1
	ds_write_b64 v17, v[7:8]
	s_waitcnt lgkmcnt(1)
	v_mul_f32_e32 v17, v8, v4
	v_mul_f32_e32 v4, v7, v4
	v_fma_f32 v17, v7, v3, -v17
	v_fmac_f32_e32 v4, v8, v3
	v_cmp_ngt_f32_e64 s[8:9], |v1|, |v2|
	v_sub_f32_e32 v3, v11, v17
	v_sub_f32_e32 v4, v12, v4
	s_and_b64 vcc, exec, s[8:9]
	s_cbranch_vccz .LBB137_89
; %bb.88:
	v_div_scale_f32 v11, s[8:9], v2, v2, v1
	v_div_scale_f32 v12, vcc, v1, v2, v1
	v_rcp_f32_e32 v17, v11
	v_fma_f32 v18, -v11, v17, 1.0
	v_fmac_f32_e32 v17, v18, v17
	v_mul_f32_e32 v18, v12, v17
	v_fma_f32 v19, -v11, v18, v12
	v_fmac_f32_e32 v18, v19, v17
	v_fma_f32 v11, -v11, v18, v12
	v_div_fmas_f32 v11, v11, v17, v18
	v_div_fixup_f32 v11, v11, v2, v1
	v_fma_f32 v12, v1, v11, v2
	v_div_scale_f32 v17, s[8:9], v12, v12, 1.0
	v_div_scale_f32 v18, vcc, 1.0, v12, 1.0
	v_rcp_f32_e32 v19, v17
	v_fma_f32 v20, -v17, v19, 1.0
	v_fmac_f32_e32 v19, v20, v19
	v_mul_f32_e32 v20, v18, v19
	v_fma_f32 v21, -v17, v20, v18
	v_fmac_f32_e32 v20, v21, v19
	v_fma_f32 v17, -v17, v20, v18
	v_div_fmas_f32 v17, v17, v19, v20
	v_fma_f32 v18, v11, v3, v4
	v_fma_f32 v19, v11, v4, -v3
	v_div_fixup_f32 v12, v17, v12, 1.0
	v_mul_f32_e32 v11, v18, v12
	v_mul_f32_e32 v12, v19, v12
	s_lshl_b32 s8, s15, 2
	s_cbranch_execz .LBB137_90
	s_branch .LBB137_91
.LBB137_89:
                                        ; implicit-def: $vgpr12
	s_lshl_b32 s8, s15, 2
.LBB137_90:
	v_div_scale_f32 v11, s[18:19], v1, v1, v2
	v_div_scale_f32 v12, vcc, v2, v1, v2
	v_rcp_f32_e32 v17, v11
	v_fma_f32 v18, -v11, v17, 1.0
	v_fmac_f32_e32 v17, v18, v17
	v_mul_f32_e32 v18, v12, v17
	v_fma_f32 v19, -v11, v18, v12
	v_fmac_f32_e32 v18, v19, v17
	v_fma_f32 v11, -v11, v18, v12
	v_div_fmas_f32 v11, v11, v17, v18
	v_div_fixup_f32 v11, v11, v1, v2
	v_fmac_f32_e32 v1, v2, v11
	v_div_scale_f32 v2, s[18:19], v1, v1, 1.0
	v_div_scale_f32 v12, vcc, 1.0, v1, 1.0
	v_rcp_f32_e32 v17, v2
	v_fma_f32 v18, -v2, v17, 1.0
	v_fmac_f32_e32 v17, v18, v17
	v_mul_f32_e32 v18, v12, v17
	v_fma_f32 v19, -v2, v18, v12
	v_fmac_f32_e32 v18, v19, v17
	v_fma_f32 v2, -v2, v18, v12
	v_div_fmas_f32 v2, v2, v17, v18
	v_fma_f32 v12, v11, v4, v3
	v_fma_f32 v3, -v11, v3, v4
	v_div_fixup_f32 v1, v2, v1, 1.0
	v_mul_f32_e32 v11, v12, v1
	v_mul_f32_e32 v12, v3, v1
.LBB137_91:
	s_lshl_b32 s8, s8, 3
	s_lshl_b32 s9, s11, 3
	s_add_i32 s9, s8, s9
	v_mov_b32_e32 v1, s9
	s_lshl_b32 s9, s15, 3
	s_add_i32 s8, s8, s9
	ds_write_b64 v16, v[11:12]
	ds_read_b64 v[16:17], v1
	v_mov_b32_e32 v1, s8
	ds_read2_b64 v[1:4], v1 offset1:1
	s_waitcnt lgkmcnt(1)
	v_mul_f32_e32 v18, v8, v17
	v_mul_f32_e32 v17, v7, v17
	v_fma_f32 v18, v7, v16, -v18
	v_fmac_f32_e32 v17, v8, v16
	s_waitcnt lgkmcnt(0)
	v_mul_f32_e32 v16, v12, v4
	v_mul_f32_e32 v4, v11, v4
	v_sub_f32_e32 v9, v9, v18
	v_sub_f32_e32 v10, v10, v17
	v_fma_f32 v16, v11, v3, -v16
	v_fmac_f32_e32 v4, v12, v3
	v_cmp_ngt_f32_e64 s[8:9], |v1|, |v2|
	v_sub_f32_e32 v3, v9, v16
	v_sub_f32_e32 v4, v10, v4
	s_and_b64 vcc, exec, s[8:9]
	s_cbranch_vccz .LBB137_93
; %bb.92:
	v_div_scale_f32 v9, s[8:9], v2, v2, v1
	v_div_scale_f32 v10, vcc, v1, v2, v1
	v_rcp_f32_e32 v16, v9
	v_fma_f32 v17, -v9, v16, 1.0
	v_fmac_f32_e32 v16, v17, v16
	v_mul_f32_e32 v17, v10, v16
	v_fma_f32 v18, -v9, v17, v10
	v_fmac_f32_e32 v17, v18, v16
	v_fma_f32 v9, -v9, v17, v10
	v_div_fmas_f32 v9, v9, v16, v17
	v_div_fixup_f32 v9, v9, v2, v1
	v_fma_f32 v10, v1, v9, v2
	v_div_scale_f32 v16, s[8:9], v10, v10, 1.0
	v_div_scale_f32 v17, vcc, 1.0, v10, 1.0
	v_rcp_f32_e32 v18, v16
	v_fma_f32 v19, -v16, v18, 1.0
	v_fmac_f32_e32 v18, v19, v18
	v_mul_f32_e32 v19, v17, v18
	v_fma_f32 v20, -v16, v19, v17
	v_fmac_f32_e32 v19, v20, v18
	v_fma_f32 v16, -v16, v19, v17
	v_div_fmas_f32 v16, v16, v18, v19
	v_fma_f32 v17, v9, v3, v4
	v_fma_f32 v18, v9, v4, -v3
	v_div_fixup_f32 v10, v16, v10, 1.0
	v_mul_f32_e32 v9, v17, v10
	v_mul_f32_e32 v10, v18, v10
	s_lshl_b32 s8, s13, 2
	s_cbranch_execz .LBB137_94
	s_branch .LBB137_95
.LBB137_93:
                                        ; implicit-def: $vgpr10
	s_lshl_b32 s8, s13, 2
.LBB137_94:
	v_div_scale_f32 v9, s[18:19], v1, v1, v2
	v_div_scale_f32 v10, vcc, v2, v1, v2
	v_rcp_f32_e32 v16, v9
	v_fma_f32 v17, -v9, v16, 1.0
	v_fmac_f32_e32 v16, v17, v16
	v_mul_f32_e32 v17, v10, v16
	v_fma_f32 v18, -v9, v17, v10
	v_fmac_f32_e32 v17, v18, v16
	v_fma_f32 v9, -v9, v17, v10
	v_div_fmas_f32 v9, v9, v16, v17
	v_div_fixup_f32 v9, v9, v1, v2
	v_fmac_f32_e32 v1, v2, v9
	v_div_scale_f32 v2, s[18:19], v1, v1, 1.0
	v_div_scale_f32 v10, vcc, 1.0, v1, 1.0
	v_rcp_f32_e32 v16, v2
	v_fma_f32 v17, -v2, v16, 1.0
	v_fmac_f32_e32 v16, v17, v16
	v_mul_f32_e32 v17, v10, v16
	v_fma_f32 v18, -v2, v17, v10
	v_fmac_f32_e32 v17, v18, v16
	v_fma_f32 v2, -v2, v17, v10
	v_div_fmas_f32 v2, v2, v16, v17
	v_fma_f32 v10, v9, v4, v3
	v_fma_f32 v3, -v9, v3, v4
	v_div_fixup_f32 v1, v2, v1, 1.0
	v_mul_f32_e32 v9, v10, v1
	v_mul_f32_e32 v10, v3, v1
.LBB137_95:
	s_lshl_b32 s8, s8, 3
	s_add_i32 s9, s8, s14
	v_mov_b32_e32 v1, s9
	ds_read2_b64 v[16:19], v1 offset1:1
	s_lshl_b32 s9, s13, 3
	s_add_i32 s8, s8, s9
	v_mov_b32_e32 v1, s8
	ds_write_b64 v14, v[9:10]
	ds_read2_b64 v[1:4], v1 offset1:1
	s_waitcnt lgkmcnt(2)
	v_mul_f32_e32 v14, v8, v19
	v_fma_f32 v14, v7, v18, -v14
	v_mul_f32_e32 v7, v7, v19
	v_fmac_f32_e32 v7, v8, v18
	v_sub_f32_e32 v6, v6, v7
	v_mul_f32_e32 v7, v12, v17
	v_sub_f32_e32 v5, v5, v14
	v_fma_f32 v7, v11, v16, -v7
	v_mul_f32_e32 v8, v11, v17
	v_fmac_f32_e32 v8, v12, v16
	v_sub_f32_e32 v5, v5, v7
	s_waitcnt lgkmcnt(0)
	v_mul_f32_e32 v7, v10, v4
	v_mul_f32_e32 v4, v9, v4
	v_sub_f32_e32 v6, v6, v8
	v_fma_f32 v7, v9, v3, -v7
	v_fmac_f32_e32 v4, v10, v3
	v_cmp_ngt_f32_e64 s[8:9], |v1|, |v2|
	v_sub_f32_e32 v5, v5, v7
	v_sub_f32_e32 v6, v6, v4
	s_and_b64 vcc, exec, s[8:9]
	s_cbranch_vccz .LBB137_97
; %bb.96:
	v_div_scale_f32 v3, s[8:9], v2, v2, v1
	v_div_scale_f32 v4, vcc, v1, v2, v1
	v_rcp_f32_e32 v7, v3
	v_fma_f32 v8, -v3, v7, 1.0
	v_fmac_f32_e32 v7, v8, v7
	v_mul_f32_e32 v8, v4, v7
	v_fma_f32 v9, -v3, v8, v4
	v_fmac_f32_e32 v8, v9, v7
	v_fma_f32 v3, -v3, v8, v4
	v_div_fmas_f32 v3, v3, v7, v8
	v_div_fixup_f32 v3, v3, v2, v1
	v_fma_f32 v4, v1, v3, v2
	v_div_scale_f32 v7, s[8:9], v4, v4, 1.0
	v_div_scale_f32 v8, vcc, 1.0, v4, 1.0
	v_rcp_f32_e32 v9, v7
	v_fma_f32 v10, -v7, v9, 1.0
	v_fmac_f32_e32 v9, v10, v9
	v_mul_f32_e32 v10, v8, v9
	v_fma_f32 v11, -v7, v10, v8
	v_fmac_f32_e32 v10, v11, v9
	v_fma_f32 v7, -v7, v10, v8
	v_div_fmas_f32 v7, v7, v9, v10
	v_fma_f32 v8, v3, v5, v6
	v_fma_f32 v9, v3, v6, -v5
	v_div_fixup_f32 v4, v7, v4, 1.0
	v_mul_f32_e32 v3, v8, v4
	v_mul_f32_e32 v4, v9, v4
	s_cbranch_execz .LBB137_98
	s_branch .LBB137_99
.LBB137_97:
                                        ; implicit-def: $vgpr4
.LBB137_98:
	v_div_scale_f32 v3, s[8:9], v1, v1, v2
	v_div_scale_f32 v4, vcc, v2, v1, v2
	v_rcp_f32_e32 v7, v3
	v_fma_f32 v8, -v3, v7, 1.0
	v_fmac_f32_e32 v7, v8, v7
	v_mul_f32_e32 v8, v4, v7
	v_fma_f32 v9, -v3, v8, v4
	v_fmac_f32_e32 v8, v9, v7
	v_fma_f32 v3, -v3, v8, v4
	v_div_fmas_f32 v3, v3, v7, v8
	v_div_fixup_f32 v3, v3, v1, v2
	v_fmac_f32_e32 v1, v2, v3
	v_div_scale_f32 v2, s[8:9], v1, v1, 1.0
	v_div_scale_f32 v4, vcc, 1.0, v1, 1.0
	v_rcp_f32_e32 v7, v2
	v_fma_f32 v8, -v2, v7, 1.0
	v_fmac_f32_e32 v7, v8, v7
	v_mul_f32_e32 v8, v4, v7
	v_fma_f32 v9, -v2, v8, v4
	v_fmac_f32_e32 v8, v9, v7
	v_fma_f32 v2, -v2, v8, v4
	v_div_fmas_f32 v2, v2, v7, v8
	v_fma_f32 v4, v3, v6, v5
	v_fma_f32 v5, -v3, v5, v6
	v_div_fixup_f32 v1, v2, v1, 1.0
	v_mul_f32_e32 v3, v4, v1
	v_mul_f32_e32 v4, v5, v1
.LBB137_99:
	s_add_i32 s13, s24, -5
	ds_write_b64 v13, v[3:4]
.LBB137_100:
	s_cmp_lt_i32 s13, 0
	s_cbranch_scc1 .LBB137_109
; %bb.101:
	v_lshlrev_b32_e32 v1, 3, v0
	s_lshl_b32 s8, s13, 5
	s_lshl_b32 s9, s24, 3
	v_lshl_or_b32 v1, s24, 5, v1
	s_add_i32 s8, s8, s9
	v_add_u32_e32 v7, 0x60, v1
	s_add_i32 s14, s8, -8
	s_branch .LBB137_103
.LBB137_102:                            ;   in Loop: Header=BB137_103 Depth=1
	v_sub_co_u32_e64 v1, s[8:9], s13, 1
	v_readfirstlane_b32 s13, v1
	s_sub_i32 s14, s14, 32
	s_and_b64 vcc, exec, s[8:9]
	ds_write_b64 v8, v[5:6]
	s_cbranch_vccnz .LBB137_109
.LBB137_103:                            ; =>This Loop Header: Depth=1
                                        ;     Child Loop BB137_104 Depth 2
	v_lshl_add_u32 v8, s13, 5, v15
	ds_read_b64 v[1:2], v8
	s_cmp_le_i32 s11, s13
	s_mov_b32 s8, s14
	v_mov_b32_e32 v3, v7
	s_mov_b32 s9, s11
	s_cbranch_scc1 .LBB137_105
.LBB137_104:                            ;   Parent Loop BB137_103 Depth=1
                                        ; =>  This Inner Loop Header: Depth=2
	v_mov_b32_e32 v6, s8
	ds_read_b64 v[4:5], v3
	ds_read_b64 v[9:10], v6
	s_add_i32 s9, s9, -1
	s_add_i32 s8, s8, -8
	v_subrev_u32_e32 v3, 32, v3
	s_cmp_le_u32 s9, s13
	s_waitcnt lgkmcnt(0)
	v_mul_f32_e32 v6, v10, v5
	v_mul_f32_e32 v5, v9, v5
	v_fma_f32 v6, v9, v4, -v6
	v_fmac_f32_e32 v5, v10, v4
	v_sub_f32_e32 v1, v1, v6
	v_sub_f32_e32 v2, v2, v5
	s_cbranch_scc0 .LBB137_104
.LBB137_105:                            ;   in Loop: Header=BB137_103 Depth=1
	s_mul_i32 s8, s13, 40
	v_mov_b32_e32 v3, s8
	ds_read_b64 v[3:4], v3
	s_mov_b64 s[8:9], -1
                                        ; implicit-def: $vgpr5
	s_waitcnt lgkmcnt(0)
	v_cmp_ngt_f32_e64 s[18:19], |v3|, |v4|
	s_and_b64 vcc, exec, s[18:19]
	s_cbranch_vccz .LBB137_107
; %bb.106:                              ;   in Loop: Header=BB137_103 Depth=1
	v_div_scale_f32 v5, s[8:9], v4, v4, v3
	v_div_scale_f32 v6, vcc, v3, v4, v3
	v_rcp_f32_e32 v9, v5
	v_fma_f32 v10, -v5, v9, 1.0
	v_fmac_f32_e32 v9, v10, v9
	v_mul_f32_e32 v10, v6, v9
	v_fma_f32 v11, -v5, v10, v6
	v_fmac_f32_e32 v10, v11, v9
	v_fma_f32 v5, -v5, v10, v6
	v_div_fmas_f32 v5, v5, v9, v10
	v_div_fixup_f32 v5, v5, v4, v3
	v_fma_f32 v6, v3, v5, v4
	v_div_scale_f32 v9, s[8:9], v6, v6, 1.0
	v_div_scale_f32 v10, vcc, 1.0, v6, 1.0
	s_mov_b64 s[8:9], 0
	v_rcp_f32_e32 v11, v9
	v_fma_f32 v12, -v9, v11, 1.0
	v_fmac_f32_e32 v11, v12, v11
	v_mul_f32_e32 v12, v10, v11
	v_fma_f32 v13, -v9, v12, v10
	v_fmac_f32_e32 v12, v13, v11
	v_fma_f32 v9, -v9, v12, v10
	v_div_fmas_f32 v9, v9, v11, v12
	v_fma_f32 v10, v1, v5, v2
	v_fma_f32 v11, v2, v5, -v1
	v_div_fixup_f32 v6, v9, v6, 1.0
	v_mul_f32_e32 v5, v10, v6
	v_mul_f32_e32 v6, v11, v6
.LBB137_107:                            ;   in Loop: Header=BB137_103 Depth=1
	s_andn2_b64 vcc, exec, s[8:9]
	s_cbranch_vccnz .LBB137_102
; %bb.108:                              ;   in Loop: Header=BB137_103 Depth=1
	v_div_scale_f32 v5, s[8:9], v3, v3, v4
	v_div_scale_f32 v6, vcc, v4, v3, v4
	v_rcp_f32_e32 v9, v5
	v_fma_f32 v10, -v5, v9, 1.0
	v_fmac_f32_e32 v9, v10, v9
	v_mul_f32_e32 v10, v6, v9
	v_fma_f32 v11, -v5, v10, v6
	v_fmac_f32_e32 v10, v11, v9
	v_fma_f32 v5, -v5, v10, v6
	v_div_fmas_f32 v5, v5, v9, v10
	v_div_fixup_f32 v5, v5, v3, v4
	v_fmac_f32_e32 v3, v4, v5
	v_div_scale_f32 v4, s[8:9], v3, v3, 1.0
	v_div_scale_f32 v6, vcc, 1.0, v3, 1.0
	v_rcp_f32_e32 v9, v4
	v_fma_f32 v10, -v4, v9, 1.0
	v_fmac_f32_e32 v9, v10, v9
	v_mul_f32_e32 v10, v6, v9
	v_fma_f32 v11, -v4, v10, v6
	v_fmac_f32_e32 v10, v11, v9
	v_fma_f32 v4, -v4, v10, v6
	v_div_fmas_f32 v4, v4, v9, v10
	v_fma_f32 v6, v2, v5, v1
	v_fma_f32 v1, -v1, v5, v2
	v_div_fixup_f32 v2, v4, v3, 1.0
	v_mul_f32_e32 v5, v6, v2
	v_mul_f32_e32 v6, v1, v2
	s_branch .LBB137_102
.LBB137_109:
	s_mov_b64 s[20:21], 0
.LBB137_110:
	s_andn2_b64 vcc, exec, s[20:21]
	s_cbranch_vccnz .LBB137_138
; %bb.111:
	v_mov_b32_e32 v1, 0x80
	v_lshl_or_b32 v15, v0, 3, v1
	s_cmp_lt_i32 s12, 4
	s_mov_b32 s11, 0
	s_cbranch_scc1 .LBB137_129
; %bb.112:
	v_mov_b32_e32 v1, 0
	ds_read_b64 v[9:10], v1
	ds_read2_b64 v[5:8], v15 offset1:4
	ds_read2_b64 v[1:4], v15 offset0:8 offset1:12
	s_waitcnt lgkmcnt(2)
	v_cmp_ngt_f32_e64 s[8:9], |v9|, |v10|
	s_and_b64 vcc, exec, s[8:9]
	s_cbranch_vccz .LBB137_114
; %bb.113:
	v_div_scale_f32 v11, s[8:9], v10, v10, v9
	v_div_scale_f32 v12, vcc, v9, v10, v9
	v_rcp_f32_e32 v13, v11
	v_fma_f32 v14, -v11, v13, 1.0
	v_fmac_f32_e32 v13, v14, v13
	v_mul_f32_e32 v14, v12, v13
	v_fma_f32 v16, -v11, v14, v12
	v_fmac_f32_e32 v14, v16, v13
	v_fma_f32 v11, -v11, v14, v12
	v_div_fmas_f32 v11, v11, v13, v14
	v_div_fixup_f32 v11, v11, v10, v9
	v_fma_f32 v12, v9, v11, v10
	v_div_scale_f32 v13, s[8:9], v12, v12, 1.0
	v_div_scale_f32 v14, vcc, 1.0, v12, 1.0
	v_rcp_f32_e32 v16, v13
	v_fma_f32 v17, -v13, v16, 1.0
	v_fmac_f32_e32 v16, v17, v16
	v_mul_f32_e32 v17, v14, v16
	v_fma_f32 v18, -v13, v17, v14
	v_fmac_f32_e32 v17, v18, v16
	v_fma_f32 v13, -v13, v17, v14
	v_div_fmas_f32 v13, v13, v16, v17
	s_waitcnt lgkmcnt(1)
	v_fma_f32 v14, v5, v11, v6
	v_fma_f32 v11, v6, v11, -v5
	v_div_fixup_f32 v12, v13, v12, 1.0
	v_mul_f32_e32 v13, v14, v12
	v_mul_f32_e32 v14, v11, v12
	s_cbranch_execz .LBB137_115
	s_branch .LBB137_116
.LBB137_114:
                                        ; implicit-def: $vgpr14
.LBB137_115:
	v_div_scale_f32 v11, s[8:9], v9, v9, v10
	v_div_scale_f32 v12, vcc, v10, v9, v10
	v_rcp_f32_e32 v13, v11
	v_fma_f32 v14, -v11, v13, 1.0
	v_fmac_f32_e32 v13, v14, v13
	v_mul_f32_e32 v14, v12, v13
	v_fma_f32 v16, -v11, v14, v12
	v_fmac_f32_e32 v14, v16, v13
	v_fma_f32 v11, -v11, v14, v12
	v_div_fmas_f32 v11, v11, v13, v14
	v_div_fixup_f32 v11, v11, v9, v10
	v_fmac_f32_e32 v9, v10, v11
	v_div_scale_f32 v10, s[8:9], v9, v9, 1.0
	v_div_scale_f32 v12, vcc, 1.0, v9, 1.0
	v_rcp_f32_e32 v13, v10
	v_fma_f32 v14, -v10, v13, 1.0
	v_fmac_f32_e32 v13, v14, v13
	v_mul_f32_e32 v14, v12, v13
	v_fma_f32 v16, -v10, v14, v12
	v_fmac_f32_e32 v14, v16, v13
	v_fma_f32 v10, -v10, v14, v12
	v_div_fmas_f32 v10, v10, v13, v14
	s_waitcnt lgkmcnt(1)
	v_fma_f32 v12, v6, v11, v5
	v_fma_f32 v5, -v5, v11, v6
	v_div_fixup_f32 v6, v10, v9, 1.0
	v_mul_f32_e32 v13, v12, v6
	v_mul_f32_e32 v14, v5, v6
.LBB137_116:
	s_waitcnt lgkmcnt(1)
	v_mov_b32_e32 v5, 0
	ds_read_b128 v[9:12], v5 offset:32
	ds_write_b64 v15, v[13:14]
	s_waitcnt lgkmcnt(1)
	v_mul_f32_e32 v5, v14, v10
	v_mul_f32_e32 v6, v13, v10
	v_fma_f32 v5, v13, v9, -v5
	v_fmac_f32_e32 v6, v14, v9
	v_cmp_ngt_f32_e64 s[8:9], |v11|, |v12|
	v_sub_f32_e32 v5, v7, v5
	v_sub_f32_e32 v6, v8, v6
	s_and_b64 vcc, exec, s[8:9]
	s_cbranch_vccz .LBB137_118
; %bb.117:
	v_div_scale_f32 v7, s[8:9], v12, v12, v11
	v_div_scale_f32 v8, vcc, v11, v12, v11
	v_rcp_f32_e32 v9, v7
	v_fma_f32 v10, -v7, v9, 1.0
	v_fmac_f32_e32 v9, v10, v9
	v_mul_f32_e32 v10, v8, v9
	v_fma_f32 v16, -v7, v10, v8
	v_fmac_f32_e32 v10, v16, v9
	v_fma_f32 v7, -v7, v10, v8
	v_div_fmas_f32 v7, v7, v9, v10
	v_div_fixup_f32 v7, v7, v12, v11
	v_fma_f32 v8, v11, v7, v12
	v_div_scale_f32 v9, s[8:9], v8, v8, 1.0
	v_div_scale_f32 v10, vcc, 1.0, v8, 1.0
	v_rcp_f32_e32 v16, v9
	v_fma_f32 v17, -v9, v16, 1.0
	v_fmac_f32_e32 v16, v17, v16
	v_mul_f32_e32 v17, v10, v16
	v_fma_f32 v18, -v9, v17, v10
	v_fmac_f32_e32 v17, v18, v16
	v_fma_f32 v9, -v9, v17, v10
	v_div_fmas_f32 v9, v9, v16, v17
	v_fma_f32 v10, v7, v5, v6
	v_fma_f32 v7, v7, v6, -v5
	v_div_fixup_f32 v8, v9, v8, 1.0
	v_mul_f32_e32 v9, v10, v8
	v_mul_f32_e32 v10, v7, v8
	s_cbranch_execz .LBB137_119
	s_branch .LBB137_120
.LBB137_118:
                                        ; implicit-def: $vgpr10
.LBB137_119:
	v_div_scale_f32 v7, s[8:9], v11, v11, v12
	v_div_scale_f32 v8, vcc, v12, v11, v12
	v_rcp_f32_e32 v9, v7
	v_fma_f32 v10, -v7, v9, 1.0
	v_fmac_f32_e32 v9, v10, v9
	v_mul_f32_e32 v10, v8, v9
	v_fma_f32 v16, -v7, v10, v8
	v_fmac_f32_e32 v10, v16, v9
	v_fma_f32 v7, -v7, v10, v8
	v_div_fmas_f32 v7, v7, v9, v10
	v_div_fixup_f32 v7, v7, v11, v12
	v_fmac_f32_e32 v11, v12, v7
	v_div_scale_f32 v8, s[8:9], v11, v11, 1.0
	v_div_scale_f32 v9, vcc, 1.0, v11, 1.0
	v_rcp_f32_e32 v10, v8
	v_fma_f32 v12, -v8, v10, 1.0
	v_fmac_f32_e32 v10, v12, v10
	v_mul_f32_e32 v12, v9, v10
	v_fma_f32 v16, -v8, v12, v9
	v_fmac_f32_e32 v12, v16, v10
	v_fma_f32 v8, -v8, v12, v9
	v_div_fmas_f32 v8, v8, v10, v12
	v_fma_f32 v9, v7, v6, v5
	v_fma_f32 v5, -v7, v5, v6
	v_div_fixup_f32 v6, v8, v11, 1.0
	v_mul_f32_e32 v9, v9, v6
	v_mul_f32_e32 v10, v5, v6
.LBB137_120:
	v_mov_b32_e32 v5, 0
	ds_read_b128 v[16:19], v5 offset:64
	ds_read_b64 v[5:6], v5 offset:80
	ds_write_b64 v15, v[9:10] offset:32
	s_waitcnt lgkmcnt(2)
	v_mul_f32_e32 v7, v14, v17
	v_mul_f32_e32 v8, v13, v17
	v_fma_f32 v7, v13, v16, -v7
	v_fmac_f32_e32 v8, v14, v16
	v_sub_f32_e32 v1, v1, v7
	v_sub_f32_e32 v2, v2, v8
	v_mul_f32_e32 v7, v10, v19
	v_mul_f32_e32 v8, v9, v19
	v_fma_f32 v7, v9, v18, -v7
	v_fmac_f32_e32 v8, v10, v18
	s_waitcnt lgkmcnt(1)
	v_cmp_ngt_f32_e64 s[8:9], |v5|, |v6|
	v_sub_f32_e32 v7, v1, v7
	v_sub_f32_e32 v8, v2, v8
	s_and_b64 vcc, exec, s[8:9]
	s_cbranch_vccz .LBB137_122
; %bb.121:
	v_div_scale_f32 v1, s[8:9], v6, v6, v5
	v_div_scale_f32 v2, vcc, v5, v6, v5
	v_rcp_f32_e32 v11, v1
	v_fma_f32 v12, -v1, v11, 1.0
	v_fmac_f32_e32 v11, v12, v11
	v_mul_f32_e32 v12, v2, v11
	v_fma_f32 v16, -v1, v12, v2
	v_fmac_f32_e32 v12, v16, v11
	v_fma_f32 v1, -v1, v12, v2
	v_div_fmas_f32 v1, v1, v11, v12
	v_div_fixup_f32 v1, v1, v6, v5
	v_fma_f32 v2, v5, v1, v6
	v_div_scale_f32 v11, s[8:9], v2, v2, 1.0
	v_div_scale_f32 v12, vcc, 1.0, v2, 1.0
	v_rcp_f32_e32 v16, v11
	v_fma_f32 v17, -v11, v16, 1.0
	v_fmac_f32_e32 v16, v17, v16
	v_mul_f32_e32 v17, v12, v16
	v_fma_f32 v18, -v11, v17, v12
	v_fmac_f32_e32 v17, v18, v16
	v_fma_f32 v11, -v11, v17, v12
	v_div_fmas_f32 v11, v11, v16, v17
	v_fma_f32 v12, v1, v7, v8
	v_fma_f32 v16, v1, v8, -v7
	v_div_fixup_f32 v2, v11, v2, 1.0
	v_mul_f32_e32 v1, v12, v2
	v_mul_f32_e32 v2, v16, v2
	s_cbranch_execz .LBB137_123
	s_branch .LBB137_124
.LBB137_122:
                                        ; implicit-def: $vgpr2
.LBB137_123:
	v_div_scale_f32 v1, s[8:9], v5, v5, v6
	v_div_scale_f32 v2, vcc, v6, v5, v6
	v_rcp_f32_e32 v11, v1
	v_fma_f32 v12, -v1, v11, 1.0
	v_fmac_f32_e32 v11, v12, v11
	v_mul_f32_e32 v12, v2, v11
	v_fma_f32 v16, -v1, v12, v2
	v_fmac_f32_e32 v12, v16, v11
	v_fma_f32 v1, -v1, v12, v2
	v_div_fmas_f32 v1, v1, v11, v12
	v_div_fixup_f32 v1, v1, v5, v6
	v_fmac_f32_e32 v5, v6, v1
	v_div_scale_f32 v2, s[8:9], v5, v5, 1.0
	v_div_scale_f32 v6, vcc, 1.0, v5, 1.0
	v_rcp_f32_e32 v11, v2
	v_fma_f32 v12, -v2, v11, 1.0
	v_fmac_f32_e32 v11, v12, v11
	v_mul_f32_e32 v12, v6, v11
	v_fma_f32 v16, -v2, v12, v6
	v_fmac_f32_e32 v12, v16, v11
	v_fma_f32 v2, -v2, v12, v6
	v_div_fmas_f32 v2, v2, v11, v12
	v_fma_f32 v6, v1, v8, v7
	v_fma_f32 v7, -v1, v7, v8
	v_div_fixup_f32 v2, v2, v5, 1.0
	v_mul_f32_e32 v1, v6, v2
	v_mul_f32_e32 v2, v7, v2
.LBB137_124:
	v_mov_b32_e32 v5, 0
	ds_read_b128 v[16:19], v5 offset:96
	ds_read_b128 v[5:8], v5 offset:112
	ds_write_b64 v15, v[1:2] offset:64
	s_waitcnt lgkmcnt(2)
	v_mul_f32_e32 v11, v14, v17
	v_fma_f32 v11, v13, v16, -v11
	v_mul_f32_e32 v12, v13, v17
	v_sub_f32_e32 v3, v3, v11
	v_mul_f32_e32 v11, v10, v19
	v_fmac_f32_e32 v12, v14, v16
	v_fma_f32 v11, v9, v18, -v11
	v_mul_f32_e32 v9, v9, v19
	v_sub_f32_e32 v4, v4, v12
	v_fmac_f32_e32 v9, v10, v18
	v_sub_f32_e32 v4, v4, v9
	s_waitcnt lgkmcnt(1)
	v_mul_f32_e32 v9, v2, v6
	v_fma_f32 v9, v1, v5, -v9
	v_mul_f32_e32 v1, v1, v6
	v_sub_f32_e32 v3, v3, v11
	v_fmac_f32_e32 v1, v2, v5
	v_cmp_ngt_f32_e64 s[8:9], |v7|, |v8|
	v_sub_f32_e32 v3, v3, v9
	v_sub_f32_e32 v4, v4, v1
	s_and_b64 vcc, exec, s[8:9]
	s_cbranch_vccz .LBB137_126
; %bb.125:
	v_div_scale_f32 v1, s[8:9], v8, v8, v7
	v_div_scale_f32 v2, vcc, v7, v8, v7
	v_rcp_f32_e32 v5, v1
	v_fma_f32 v6, -v1, v5, 1.0
	v_fmac_f32_e32 v5, v6, v5
	v_mul_f32_e32 v6, v2, v5
	v_fma_f32 v9, -v1, v6, v2
	v_fmac_f32_e32 v6, v9, v5
	v_fma_f32 v1, -v1, v6, v2
	v_div_fmas_f32 v1, v1, v5, v6
	v_div_fixup_f32 v1, v1, v8, v7
	v_fma_f32 v2, v7, v1, v8
	v_div_scale_f32 v5, s[8:9], v2, v2, 1.0
	v_div_scale_f32 v6, vcc, 1.0, v2, 1.0
	v_rcp_f32_e32 v9, v5
	v_fma_f32 v10, -v5, v9, 1.0
	v_fmac_f32_e32 v9, v10, v9
	v_mul_f32_e32 v10, v6, v9
	v_fma_f32 v11, -v5, v10, v6
	v_fmac_f32_e32 v10, v11, v9
	v_fma_f32 v5, -v5, v10, v6
	v_div_fmas_f32 v5, v5, v9, v10
	v_fma_f32 v6, v1, v3, v4
	v_fma_f32 v9, v1, v4, -v3
	v_div_fixup_f32 v2, v5, v2, 1.0
	v_mul_f32_e32 v1, v6, v2
	v_mul_f32_e32 v2, v9, v2
	s_cbranch_execz .LBB137_127
	s_branch .LBB137_128
.LBB137_126:
                                        ; implicit-def: $vgpr2
.LBB137_127:
	v_div_scale_f32 v1, s[8:9], v7, v7, v8
	v_div_scale_f32 v2, vcc, v8, v7, v8
	v_rcp_f32_e32 v5, v1
	v_fma_f32 v6, -v1, v5, 1.0
	v_fmac_f32_e32 v5, v6, v5
	v_mul_f32_e32 v6, v2, v5
	v_fma_f32 v9, -v1, v6, v2
	v_fmac_f32_e32 v6, v9, v5
	v_fma_f32 v1, -v1, v6, v2
	v_div_fmas_f32 v1, v1, v5, v6
	v_div_fixup_f32 v1, v1, v7, v8
	v_fmac_f32_e32 v7, v8, v1
	v_div_scale_f32 v2, s[8:9], v7, v7, 1.0
	v_div_scale_f32 v5, vcc, 1.0, v7, 1.0
	v_rcp_f32_e32 v6, v2
	v_fma_f32 v8, -v2, v6, 1.0
	v_fmac_f32_e32 v6, v8, v6
	v_mul_f32_e32 v8, v5, v6
	v_fma_f32 v9, -v2, v8, v5
	v_fmac_f32_e32 v8, v9, v6
	v_fma_f32 v2, -v2, v8, v5
	v_div_fmas_f32 v2, v2, v6, v8
	v_fma_f32 v5, v1, v4, v3
	v_fma_f32 v3, -v1, v3, v4
	v_div_fixup_f32 v2, v2, v7, 1.0
	v_mul_f32_e32 v1, v5, v2
	v_mul_f32_e32 v2, v3, v2
.LBB137_128:
	s_mov_b32 s11, 4
	ds_write_b64 v15, v[1:2] offset:96
.LBB137_129:
	s_cmp_ge_i32 s11, s24
	s_cbranch_scc1 .LBB137_138
; %bb.130:
	v_mov_b32_e32 v1, 0x80
	v_lshl_or_b32 v7, v0, 3, v1
	s_lshl_b32 s13, s11, 5
	s_branch .LBB137_132
.LBB137_131:                            ;   in Loop: Header=BB137_132 Depth=1
	s_add_i32 s11, s11, 1
	s_add_i32 s13, s13, 32
	s_cmp_ge_i32 s11, s24
	ds_write_b64 v8, v[5:6]
	s_cbranch_scc1 .LBB137_138
.LBB137_132:                            ; =>This Loop Header: Depth=1
                                        ;     Child Loop BB137_133 Depth 2
	v_lshl_add_u32 v8, s11, 5, v15
	ds_read_b64 v[1:2], v8
	s_cmp_eq_u32 s11, 0
	s_mov_b32 s8, s13
	v_mov_b32_e32 v3, v7
	s_mov_b32 s9, s11
	s_cbranch_scc1 .LBB137_134
.LBB137_133:                            ;   Parent Loop BB137_132 Depth=1
                                        ; =>  This Inner Loop Header: Depth=2
	v_mov_b32_e32 v6, s8
	ds_read_b64 v[4:5], v3
	ds_read_b64 v[9:10], v6
	s_add_i32 s9, s9, -1
	s_add_i32 s8, s8, 8
	v_add_u32_e32 v3, 32, v3
	s_cmp_eq_u32 s9, 0
	s_waitcnt lgkmcnt(0)
	v_mul_f32_e32 v6, v10, v5
	v_mul_f32_e32 v5, v9, v5
	v_fma_f32 v6, v9, v4, -v6
	v_fmac_f32_e32 v5, v10, v4
	v_sub_f32_e32 v1, v1, v6
	v_sub_f32_e32 v2, v2, v5
	s_cbranch_scc0 .LBB137_133
.LBB137_134:                            ;   in Loop: Header=BB137_132 Depth=1
	s_mul_i32 s8, s11, 40
	v_mov_b32_e32 v3, s8
	ds_read_b64 v[3:4], v3
	s_mov_b64 s[8:9], -1
                                        ; implicit-def: $vgpr5
	s_waitcnt lgkmcnt(0)
	v_cmp_ngt_f32_e64 s[14:15], |v3|, |v4|
	s_and_b64 vcc, exec, s[14:15]
	s_cbranch_vccz .LBB137_136
; %bb.135:                              ;   in Loop: Header=BB137_132 Depth=1
	v_div_scale_f32 v5, s[8:9], v4, v4, v3
	v_div_scale_f32 v6, vcc, v3, v4, v3
	v_rcp_f32_e32 v9, v5
	v_fma_f32 v10, -v5, v9, 1.0
	v_fmac_f32_e32 v9, v10, v9
	v_mul_f32_e32 v10, v6, v9
	v_fma_f32 v11, -v5, v10, v6
	v_fmac_f32_e32 v10, v11, v9
	v_fma_f32 v5, -v5, v10, v6
	v_div_fmas_f32 v5, v5, v9, v10
	v_div_fixup_f32 v5, v5, v4, v3
	v_fma_f32 v6, v3, v5, v4
	v_div_scale_f32 v9, s[8:9], v6, v6, 1.0
	v_div_scale_f32 v10, vcc, 1.0, v6, 1.0
	s_mov_b64 s[8:9], 0
	v_rcp_f32_e32 v11, v9
	v_fma_f32 v12, -v9, v11, 1.0
	v_fmac_f32_e32 v11, v12, v11
	v_mul_f32_e32 v12, v10, v11
	v_fma_f32 v13, -v9, v12, v10
	v_fmac_f32_e32 v12, v13, v11
	v_fma_f32 v9, -v9, v12, v10
	v_div_fmas_f32 v9, v9, v11, v12
	v_fma_f32 v10, v1, v5, v2
	v_fma_f32 v11, v2, v5, -v1
	v_div_fixup_f32 v6, v9, v6, 1.0
	v_mul_f32_e32 v5, v10, v6
	v_mul_f32_e32 v6, v11, v6
.LBB137_136:                            ;   in Loop: Header=BB137_132 Depth=1
	s_andn2_b64 vcc, exec, s[8:9]
	s_cbranch_vccnz .LBB137_131
; %bb.137:                              ;   in Loop: Header=BB137_132 Depth=1
	v_div_scale_f32 v5, s[8:9], v3, v3, v4
	v_div_scale_f32 v6, vcc, v4, v3, v4
	v_rcp_f32_e32 v9, v5
	v_fma_f32 v10, -v5, v9, 1.0
	v_fmac_f32_e32 v9, v10, v9
	v_mul_f32_e32 v10, v6, v9
	v_fma_f32 v11, -v5, v10, v6
	v_fmac_f32_e32 v10, v11, v9
	v_fma_f32 v5, -v5, v10, v6
	v_div_fmas_f32 v5, v5, v9, v10
	v_div_fixup_f32 v5, v5, v3, v4
	v_fmac_f32_e32 v3, v4, v5
	v_div_scale_f32 v4, s[8:9], v3, v3, 1.0
	v_div_scale_f32 v6, vcc, 1.0, v3, 1.0
	v_rcp_f32_e32 v9, v4
	v_fma_f32 v10, -v4, v9, 1.0
	v_fmac_f32_e32 v9, v10, v9
	v_mul_f32_e32 v10, v6, v9
	v_fma_f32 v11, -v4, v10, v6
	v_fmac_f32_e32 v10, v11, v9
	v_fma_f32 v4, -v4, v10, v6
	v_div_fmas_f32 v4, v4, v9, v10
	v_fma_f32 v6, v2, v5, v1
	v_fma_f32 v1, -v1, v5, v2
	v_div_fixup_f32 v2, v4, v3, 1.0
	v_mul_f32_e32 v5, v6, v2
	v_mul_f32_e32 v6, v1, v2
	s_branch .LBB137_131
.LBB137_138:
	s_and_saveexec_b64 s[8:9], s[0:1]
	s_cbranch_execz .LBB137_142
; %bb.139:
	s_cmp_lt_i32 s12, 1
	s_cbranch_scc1 .LBB137_142
; %bb.140:
	s_lshl_b64 s[0:1], s[4:5], 3
	s_add_u32 s2, s2, s0
	s_addc_u32 s3, s3, s1
	s_lshl_b64 s[0:1], s[16:17], 3
	s_add_u32 s0, s2, s0
	s_addc_u32 s1, s3, s1
	s_add_u32 s0, s0, s6
	s_addc_u32 s1, s1, s7
	s_ashr_i32 s11, s10, 31
	v_lshlrev_b32_e32 v2, 3, v0
	v_mov_b32_e32 v1, s1
	v_add_co_u32_e32 v0, vcc, s0, v2
	s_lshl_b64 s[0:1], s[10:11], 3
	v_addc_co_u32_e32 v1, vcc, 0, v1, vcc
	v_or_b32_e32 v2, 0x80, v2
	v_mov_b32_e32 v3, s1
.LBB137_141:                            ; =>This Inner Loop Header: Depth=1
	ds_read_b64 v[4:5], v2
	s_add_i32 s12, s12, -1
	v_add_u32_e32 v2, 32, v2
	s_cmp_lg_u32 s12, 0
	s_waitcnt lgkmcnt(0)
	global_store_dwordx2 v[0:1], v[4:5], off
	v_add_co_u32_e32 v0, vcc, s0, v0
	v_addc_co_u32_e32 v1, vcc, v1, v3, vcc
	s_cbranch_scc1 .LBB137_141
.LBB137_142:
	s_endpgm
	.section	.rodata,"a",@progbits
	.p2align	6, 0x0
	.amdhsa_kernel _ZL31rocblas_trsm_small_right_deviceI19rocblas_complex_numIfES1_PKS1_PS1_Li4EEv13rocblas_fill_18rocblas_operation_17rocblas_diagonal_iiT0_T1_lilT2_lili
		.amdhsa_group_segment_fixed_size 256
		.amdhsa_private_segment_fixed_size 0
		.amdhsa_kernarg_size 360
		.amdhsa_user_sgpr_count 6
		.amdhsa_user_sgpr_private_segment_buffer 1
		.amdhsa_user_sgpr_dispatch_ptr 0
		.amdhsa_user_sgpr_queue_ptr 0
		.amdhsa_user_sgpr_kernarg_segment_ptr 1
		.amdhsa_user_sgpr_dispatch_id 0
		.amdhsa_user_sgpr_flat_scratch_init 0
		.amdhsa_user_sgpr_private_segment_size 0
		.amdhsa_uses_dynamic_stack 0
		.amdhsa_system_sgpr_private_segment_wavefront_offset 0
		.amdhsa_system_sgpr_workgroup_id_x 1
		.amdhsa_system_sgpr_workgroup_id_y 0
		.amdhsa_system_sgpr_workgroup_id_z 1
		.amdhsa_system_sgpr_workgroup_info 0
		.amdhsa_system_vgpr_workitem_id 0
		.amdhsa_next_free_vgpr 23
		.amdhsa_next_free_sgpr 32
		.amdhsa_reserve_vcc 1
		.amdhsa_reserve_flat_scratch 0
		.amdhsa_float_round_mode_32 0
		.amdhsa_float_round_mode_16_64 0
		.amdhsa_float_denorm_mode_32 3
		.amdhsa_float_denorm_mode_16_64 3
		.amdhsa_dx10_clamp 1
		.amdhsa_ieee_mode 1
		.amdhsa_fp16_overflow 0
		.amdhsa_exception_fp_ieee_invalid_op 0
		.amdhsa_exception_fp_denorm_src 0
		.amdhsa_exception_fp_ieee_div_zero 0
		.amdhsa_exception_fp_ieee_overflow 0
		.amdhsa_exception_fp_ieee_underflow 0
		.amdhsa_exception_fp_ieee_inexact 0
		.amdhsa_exception_int_div_zero 0
	.end_amdhsa_kernel
	.section	.text._ZL31rocblas_trsm_small_right_deviceI19rocblas_complex_numIfES1_PKS1_PS1_Li4EEv13rocblas_fill_18rocblas_operation_17rocblas_diagonal_iiT0_T1_lilT2_lili,"axG",@progbits,_ZL31rocblas_trsm_small_right_deviceI19rocblas_complex_numIfES1_PKS1_PS1_Li4EEv13rocblas_fill_18rocblas_operation_17rocblas_diagonal_iiT0_T1_lilT2_lili,comdat
.Lfunc_end137:
	.size	_ZL31rocblas_trsm_small_right_deviceI19rocblas_complex_numIfES1_PKS1_PS1_Li4EEv13rocblas_fill_18rocblas_operation_17rocblas_diagonal_iiT0_T1_lilT2_lili, .Lfunc_end137-_ZL31rocblas_trsm_small_right_deviceI19rocblas_complex_numIfES1_PKS1_PS1_Li4EEv13rocblas_fill_18rocblas_operation_17rocblas_diagonal_iiT0_T1_lilT2_lili
                                        ; -- End function
	.set _ZL31rocblas_trsm_small_right_deviceI19rocblas_complex_numIfES1_PKS1_PS1_Li4EEv13rocblas_fill_18rocblas_operation_17rocblas_diagonal_iiT0_T1_lilT2_lili.num_vgpr, 23
	.set _ZL31rocblas_trsm_small_right_deviceI19rocblas_complex_numIfES1_PKS1_PS1_Li4EEv13rocblas_fill_18rocblas_operation_17rocblas_diagonal_iiT0_T1_lilT2_lili.num_agpr, 0
	.set _ZL31rocblas_trsm_small_right_deviceI19rocblas_complex_numIfES1_PKS1_PS1_Li4EEv13rocblas_fill_18rocblas_operation_17rocblas_diagonal_iiT0_T1_lilT2_lili.numbered_sgpr, 32
	.set _ZL31rocblas_trsm_small_right_deviceI19rocblas_complex_numIfES1_PKS1_PS1_Li4EEv13rocblas_fill_18rocblas_operation_17rocblas_diagonal_iiT0_T1_lilT2_lili.num_named_barrier, 0
	.set _ZL31rocblas_trsm_small_right_deviceI19rocblas_complex_numIfES1_PKS1_PS1_Li4EEv13rocblas_fill_18rocblas_operation_17rocblas_diagonal_iiT0_T1_lilT2_lili.private_seg_size, 0
	.set _ZL31rocblas_trsm_small_right_deviceI19rocblas_complex_numIfES1_PKS1_PS1_Li4EEv13rocblas_fill_18rocblas_operation_17rocblas_diagonal_iiT0_T1_lilT2_lili.uses_vcc, 1
	.set _ZL31rocblas_trsm_small_right_deviceI19rocblas_complex_numIfES1_PKS1_PS1_Li4EEv13rocblas_fill_18rocblas_operation_17rocblas_diagonal_iiT0_T1_lilT2_lili.uses_flat_scratch, 0
	.set _ZL31rocblas_trsm_small_right_deviceI19rocblas_complex_numIfES1_PKS1_PS1_Li4EEv13rocblas_fill_18rocblas_operation_17rocblas_diagonal_iiT0_T1_lilT2_lili.has_dyn_sized_stack, 0
	.set _ZL31rocblas_trsm_small_right_deviceI19rocblas_complex_numIfES1_PKS1_PS1_Li4EEv13rocblas_fill_18rocblas_operation_17rocblas_diagonal_iiT0_T1_lilT2_lili.has_recursion, 0
	.set _ZL31rocblas_trsm_small_right_deviceI19rocblas_complex_numIfES1_PKS1_PS1_Li4EEv13rocblas_fill_18rocblas_operation_17rocblas_diagonal_iiT0_T1_lilT2_lili.has_indirect_call, 0
	.section	.AMDGPU.csdata,"",@progbits
; Kernel info:
; codeLenInByte = 10872
; TotalNumSgprs: 36
; NumVgprs: 23
; ScratchSize: 0
; MemoryBound: 0
; FloatMode: 240
; IeeeMode: 1
; LDSByteSize: 256 bytes/workgroup (compile time only)
; SGPRBlocks: 4
; VGPRBlocks: 5
; NumSGPRsForWavesPerEU: 36
; NumVGPRsForWavesPerEU: 23
; Occupancy: 10
; WaveLimiterHint : 0
; COMPUTE_PGM_RSRC2:SCRATCH_EN: 0
; COMPUTE_PGM_RSRC2:USER_SGPR: 6
; COMPUTE_PGM_RSRC2:TRAP_HANDLER: 0
; COMPUTE_PGM_RSRC2:TGID_X_EN: 1
; COMPUTE_PGM_RSRC2:TGID_Y_EN: 0
; COMPUTE_PGM_RSRC2:TGID_Z_EN: 1
; COMPUTE_PGM_RSRC2:TIDIG_COMP_CNT: 0
	.section	.text._ZL38rocblas_trsm_small_left_device_sharedBILi8ELi8ELb0E19rocblas_complex_numIfES1_PKS1_PS1_Ev13rocblas_fill_18rocblas_operation_17rocblas_diagonal_iiT3_T4_lilT5_lili,"axG",@progbits,_ZL38rocblas_trsm_small_left_device_sharedBILi8ELi8ELb0E19rocblas_complex_numIfES1_PKS1_PS1_Ev13rocblas_fill_18rocblas_operation_17rocblas_diagonal_iiT3_T4_lilT5_lili,comdat
	.globl	_ZL38rocblas_trsm_small_left_device_sharedBILi8ELi8ELb0E19rocblas_complex_numIfES1_PKS1_PS1_Ev13rocblas_fill_18rocblas_operation_17rocblas_diagonal_iiT3_T4_lilT5_lili ; -- Begin function _ZL38rocblas_trsm_small_left_device_sharedBILi8ELi8ELb0E19rocblas_complex_numIfES1_PKS1_PS1_Ev13rocblas_fill_18rocblas_operation_17rocblas_diagonal_iiT3_T4_lilT5_lili
	.p2align	8
	.type	_ZL38rocblas_trsm_small_left_device_sharedBILi8ELi8ELb0E19rocblas_complex_numIfES1_PKS1_PS1_Ev13rocblas_fill_18rocblas_operation_17rocblas_diagonal_iiT3_T4_lilT5_lili,@function
_ZL38rocblas_trsm_small_left_device_sharedBILi8ELi8ELb0E19rocblas_complex_numIfES1_PKS1_PS1_Ev13rocblas_fill_18rocblas_operation_17rocblas_diagonal_iiT3_T4_lilT5_lili: ; @_ZL38rocblas_trsm_small_left_device_sharedBILi8ELi8ELb0E19rocblas_complex_numIfES1_PKS1_PS1_Ev13rocblas_fill_18rocblas_operation_17rocblas_diagonal_iiT3_T4_lilT5_lili
; %bb.0:
	s_load_dwordx4 s[12:15], s[6:7], 0x4
	s_load_dwordx2 s[18:19], s[6:7], 0x14
	s_load_dwordx4 s[0:3], s[6:7], 0x38
	s_load_dwordx2 s[10:11], s[6:7], 0x48
	s_load_dword s25, s[6:7], 0x68
	s_waitcnt lgkmcnt(0)
	s_min_i32 s24, s14, 8
	v_cmp_gt_i32_e32 vcc, s24, v0
	s_and_saveexec_b64 s[16:17], vcc
	s_cbranch_execz .LBB138_15
; %bb.1:
	s_load_dword s22, s[6:7], 0x30
	s_load_dwordx4 s[28:31], s[6:7], 0x20
	s_mul_i32 s1, s1, s9
	s_mul_hi_u32 s26, s0, s9
	s_mul_i32 s0, s0, s9
	s_waitcnt lgkmcnt(0)
	s_ashr_i32 s23, s22, 31
	s_cmpk_lg_i32 s12, 0x71
	s_cselect_b64 s[20:21], -1, 0
	s_add_i32 s1, s26, s1
	s_lshl_b64 s[0:1], s[0:1], 3
	s_lshl_b64 s[26:27], s[30:31], 3
	s_add_u32 s0, s0, s26
	s_addc_u32 s1, s1, s27
	s_add_u32 s0, s28, s0
	v_lshlrev_b32_e32 v7, 3, v0
	s_addc_u32 s1, s29, s1
	v_mov_b32_e32 v3, s1
	v_add_co_u32_e32 v4, vcc, s0, v7
	v_addc_co_u32_e32 v5, vcc, 0, v3, vcc
	v_add_co_u32_e32 v3, vcc, 4, v4
	s_lshl_b64 s[0:1], s[22:23], 3
	v_addc_co_u32_e32 v4, vcc, 0, v5, vcc
	v_mov_b32_e32 v8, s1
	v_mov_b32_e32 v9, v7
	s_mov_b32 s1, s24
	s_branch .LBB138_3
.LBB138_2:                              ;   in Loop: Header=BB138_3 Depth=1
	global_load_dword v5, v[3:4], off offset:-4
	s_add_i32 s1, s1, -1
	v_add_co_u32_e32 v3, vcc, s0, v3
	v_addc_co_u32_e32 v4, vcc, v4, v8, vcc
	s_cmp_eq_u32 s1, 0
	s_waitcnt vmcnt(0)
	ds_write_b64 v9, v[5:6]
	v_add_u32_e32 v9, 64, v9
	s_cbranch_scc1 .LBB138_7
.LBB138_3:                              ; =>This Inner Loop Header: Depth=1
	s_mov_b64 s[22:23], -1
	s_and_b64 vcc, exec, s[20:21]
                                        ; implicit-def: $vgpr6
	s_cbranch_vccz .LBB138_5
; %bb.4:                                ;   in Loop: Header=BB138_3 Depth=1
	global_load_dword v6, v[3:4], off
	s_mov_b64 s[22:23], 0
.LBB138_5:                              ;   in Loop: Header=BB138_3 Depth=1
	s_andn2_b64 vcc, exec, s[22:23]
	s_cbranch_vccnz .LBB138_2
; %bb.6:                                ;   in Loop: Header=BB138_3 Depth=1
	global_load_dword v5, v[3:4], off
	s_waitcnt vmcnt(0)
	v_xor_b32_e32 v6, 0x80000000, v5
	s_branch .LBB138_2
.LBB138_7:
	v_lshlrev_b32_e32 v3, 6, v0
	s_cmpk_lg_i32 s13, 0x84
	s_mov_b64 s[0:1], -1
	v_add_u32_e32 v7, v7, v3
	s_cbranch_scc0 .LBB138_13
; %bb.8:
	ds_read_b64 v[3:4], v7
                                        ; implicit-def: $vgpr5
	s_waitcnt lgkmcnt(0)
	v_cmp_ngt_f32_e64 s[0:1], |v3|, |v4|
	s_and_saveexec_b64 s[20:21], s[0:1]
	s_xor_b64 s[0:1], exec, s[20:21]
	s_cbranch_execz .LBB138_10
; %bb.9:
	v_div_scale_f32 v5, s[20:21], v4, v4, v3
	v_div_scale_f32 v6, vcc, v3, v4, v3
	v_rcp_f32_e32 v8, v5
	v_fma_f32 v9, -v5, v8, 1.0
	v_fmac_f32_e32 v8, v9, v8
	v_mul_f32_e32 v9, v6, v8
	v_fma_f32 v10, -v5, v9, v6
	v_fmac_f32_e32 v9, v10, v8
	v_fma_f32 v5, -v5, v9, v6
	v_div_fmas_f32 v5, v5, v8, v9
	v_div_fixup_f32 v5, v5, v4, v3
	v_fmac_f32_e32 v4, v3, v5
	v_div_scale_f32 v3, s[20:21], v4, v4, 1.0
	v_div_scale_f32 v6, vcc, 1.0, v4, 1.0
	v_rcp_f32_e32 v8, v3
	v_fma_f32 v9, -v3, v8, 1.0
	v_fmac_f32_e32 v8, v9, v8
	v_mul_f32_e32 v9, v6, v8
	v_fma_f32 v10, -v3, v9, v6
	v_fmac_f32_e32 v9, v10, v8
	v_fma_f32 v3, -v3, v9, v6
	v_div_fmas_f32 v3, v3, v8, v9
	v_add_f32_e32 v6, 0, v5
	v_fma_f32 v8, v5, 0, -1.0
	v_div_fixup_f32 v3, v3, v4, 1.0
	v_mul_f32_e32 v5, v6, v3
	v_mul_f32_e32 v6, v8, v3
                                        ; implicit-def: $vgpr3_vgpr4
.LBB138_10:
	s_andn2_saveexec_b64 s[0:1], s[0:1]
	s_cbranch_execz .LBB138_12
; %bb.11:
	v_div_scale_f32 v5, s[20:21], v3, v3, v4
	v_div_scale_f32 v6, vcc, v4, v3, v4
	v_rcp_f32_e32 v8, v5
	v_fma_f32 v9, -v5, v8, 1.0
	v_fmac_f32_e32 v8, v9, v8
	v_mul_f32_e32 v9, v6, v8
	v_fma_f32 v10, -v5, v9, v6
	v_fmac_f32_e32 v9, v10, v8
	v_fma_f32 v5, -v5, v9, v6
	v_div_fmas_f32 v5, v5, v8, v9
	v_div_fixup_f32 v6, v5, v3, v4
	v_fmac_f32_e32 v3, v4, v6
	v_div_scale_f32 v4, s[20:21], v3, v3, 1.0
	v_div_scale_f32 v5, vcc, 1.0, v3, 1.0
	v_rcp_f32_e32 v8, v4
	v_fma_f32 v9, -v4, v8, 1.0
	v_fmac_f32_e32 v8, v9, v8
	v_mul_f32_e32 v9, v5, v8
	v_fma_f32 v10, -v4, v9, v5
	v_fmac_f32_e32 v9, v10, v8
	v_fma_f32 v4, -v4, v9, v5
	v_div_fmas_f32 v4, v4, v8, v9
	v_fma_f32 v5, v6, 0, 1.0
	v_div_fixup_f32 v3, v4, v3, 1.0
	v_mul_f32_e32 v5, v5, v3
	v_mul_f32_e64 v6, -v6, v3
.LBB138_12:
	s_or_b64 exec, exec, s[0:1]
	s_mov_b64 s[0:1], 0
	ds_write_b64 v7, v[5:6]
.LBB138_13:
	s_and_b64 vcc, exec, s[0:1]
	s_cbranch_vccz .LBB138_15
; %bb.14:
	v_mov_b32_e32 v3, 1.0
	v_mov_b32_e32 v4, 0
	ds_write_b64 v7, v[3:4]
.LBB138_15:
	s_or_b64 exec, exec, s[16:17]
	s_load_dword s22, s[6:7], 0x50
	s_load_dwordx2 s[0:1], s[6:7], 0x58
	s_add_i32 s25, s25, -1
	s_waitcnt lgkmcnt(0)
	s_ashr_i32 s13, s22, 31
	s_mul_i32 s1, s1, s9
	s_mul_hi_u32 s6, s0, s9
	s_add_i32 s17, s6, s1
	s_lshl_b32 s6, s8, 3
	s_mul_i32 s16, s0, s9
	s_sub_i32 s0, s15, s6
	s_cmp_ge_u32 s8, s25
	s_cselect_b32 s0, s0, 8
	s_ashr_i32 s7, s6, 31
	s_cmp_gt_i32 s14, 0
	v_cmp_gt_i32_e64 s[0:1], s0, v0
	s_cselect_b64 s[8:9], -1, 0
	s_and_b64 s[26:27], s[0:1], s[8:9]
	s_and_saveexec_b64 s[20:21], s[26:27]
	s_cbranch_execz .LBB138_18
; %bb.16:
	v_lshlrev_b32_e32 v5, 3, v0
	s_lshl_b64 s[28:29], s[6:7], 3
	s_lshl_b64 s[26:27], s[16:17], 3
	v_mov_b32_e32 v3, s29
	v_add_co_u32_e32 v6, vcc, s28, v5
	s_lshl_b64 s[28:29], s[10:11], 3
	s_add_u32 s7, s2, s28
	s_addc_u32 s15, s3, s29
	s_add_u32 s26, s7, s26
	v_addc_co_u32_e32 v7, vcc, 0, v3, vcc
	s_addc_u32 s27, s15, s27
	v_mov_b32_e32 v3, s26
	v_mov_b32_e32 v4, s27
	v_mad_u64_u32 v[3:4], s[26:27], v6, s22, v[3:4]
	v_mul_lo_u32 v6, v6, s13
	v_mul_lo_u32 v7, v7, s22
	v_add_co_u32_e32 v3, vcc, 4, v3
	v_or_b32_e32 v5, 0x200, v5
	v_add3_u32 v4, v7, v4, v6
	v_addc_co_u32_e32 v4, vcc, 0, v4, vcc
	s_mov_b32 s7, s24
.LBB138_17:                             ; =>This Inner Loop Header: Depth=1
	global_load_dwordx2 v[6:7], v[3:4], off offset:-4
	s_add_i32 s7, s7, -1
	v_add_co_u32_e32 v3, vcc, 8, v3
	v_addc_co_u32_e32 v4, vcc, 0, v4, vcc
	s_cmp_lg_u32 s7, 0
	s_waitcnt vmcnt(0)
	v_mul_f32_e32 v9, s19, v7
	v_mul_f32_e32 v8, s18, v7
	v_fma_f32 v7, s18, v6, -v9
	v_fmac_f32_e32 v8, s19, v6
	ds_write_b64 v5, v[7:8]
	v_add_u32_e32 v5, 64, v5
	s_cbranch_scc1 .LBB138_17
.LBB138_18:
	s_or_b64 exec, exec, s[20:21]
	s_load_dwordx2 s[18:19], s[4:5], 0x4
	v_mov_b32_e32 v3, 0x400
	s_waitcnt lgkmcnt(0)
	; wave barrier
	s_lshr_b32 s4, s18, 16
	s_mul_i32 s4, s4, s19
	v_mul_u32_u24_e32 v1, s19, v1
	v_mul_u32_u24_e32 v4, s4, v0
	v_add3_u32 v1, v4, v1, v2
	v_lshl_add_u32 v35, v1, 6, v3
	v_mov_b32_e32 v1, 0x200
	s_cmpk_eq_i32 s12, 0x6f
	v_lshl_or_b32 v36, v0, 3, v1
	s_mov_b64 s[4:5], -1
	s_cbranch_scc1 .LBB138_40
; %bb.19:
	s_mov_b32 s5, 0
	s_mov_b32 s4, s5
	;; [unrolled: 1-line block ×3, first 2 shown]
	s_branch .LBB138_21
.LBB138_20:                             ;   in Loop: Header=BB138_21 Depth=1
	s_cmp_ge_i32 s7, s24
	s_cselect_b64 s[12:13], -1, 0
	s_add_i32 s4, s4, 1
	s_cmp_eq_u32 s4, 3
	s_cselect_b64 s[18:19], -1, 0
	s_or_b64 s[12:13], s[12:13], s[18:19]
	s_andn2_b64 vcc, exec, s[12:13]
	s_cbranch_vccz .LBB138_39
.LBB138_21:                             ; =>This Loop Header: Depth=1
                                        ;     Child Loop BB138_24 Depth 2
                                        ;       Child Loop BB138_25 Depth 3
                                        ;       Child Loop BB138_28 Depth 3
                                        ;         Child Loop BB138_29 Depth 4
                                        ;       Child Loop BB138_33 Depth 3
                                        ;         Child Loop BB138_35 Depth 4
	s_lshl_b64 s[12:13], s[4:5], 2
	s_getpc_b64 s[18:19]
	s_add_u32 s18, s18, __const._ZL38rocblas_trsm_small_left_device_sharedBILi8ELi8ELb0E19rocblas_complex_numIfES1_PKS1_PS1_Ev13rocblas_fill_18rocblas_operation_17rocblas_diagonal_iiT3_T4_lilT5_lili.step_sizes@rel32@lo+4
	s_addc_u32 s19, s19, __const._ZL38rocblas_trsm_small_left_device_sharedBILi8ELi8ELb0E19rocblas_complex_numIfES1_PKS1_PS1_Ev13rocblas_fill_18rocblas_operation_17rocblas_diagonal_iiT3_T4_lilT5_lili.step_sizes@rel32@hi+12
	s_add_u32 s12, s18, s12
	s_addc_u32 s13, s19, s13
	s_load_dword s15, s[12:13], 0x0
	s_waitcnt lgkmcnt(0)
	s_add_i32 s18, s15, -1
	s_add_i32 s12, s18, s7
	s_cmp_ge_i32 s12, s24
	s_cbranch_scc1 .LBB138_20
; %bb.22:                               ;   in Loop: Header=BB138_21 Depth=1
	s_lshl_b32 s20, s7, 6
	s_max_i32 s19, s15, 1
	v_add_u32_e32 v3, s20, v36
	s_lshl_b32 s21, s15, 6
	s_mul_i32 s23, s7, 0x48
	s_mul_i32 s25, s15, 0x48
	s_branch .LBB138_24
.LBB138_23:                             ;   in Loop: Header=BB138_24 Depth=2
	s_add_i32 s7, s7, s15
	s_add_i32 s12, s18, s7
	;; [unrolled: 1-line block ×4, first 2 shown]
	s_cmp_ge_i32 s12, s24
	v_add_u32_e32 v3, s21, v3
	s_cbranch_scc1 .LBB138_20
.LBB138_24:                             ;   Parent Loop BB138_21 Depth=1
                                        ; =>  This Loop Header: Depth=2
                                        ;       Child Loop BB138_25 Depth 3
                                        ;       Child Loop BB138_28 Depth 3
                                        ;         Child Loop BB138_29 Depth 4
                                        ;       Child Loop BB138_33 Depth 3
                                        ;         Child Loop BB138_35 Depth 4
	v_mov_b32_e32 v1, v35
	v_mov_b32_e32 v2, v3
	s_mov_b32 s12, s19
.LBB138_25:                             ;   Parent Loop BB138_21 Depth=1
                                        ;     Parent Loop BB138_24 Depth=2
                                        ; =>    This Inner Loop Header: Depth=3
	ds_read_b64 v[4:5], v2
	s_add_i32 s12, s12, -1
	v_add_u32_e32 v2, 64, v2
	s_cmp_eq_u32 s12, 0
	s_waitcnt lgkmcnt(0)
	ds_write_b64 v1, v[4:5]
	v_add_u32_e32 v1, 8, v1
	s_cbranch_scc0 .LBB138_25
; %bb.26:                               ;   in Loop: Header=BB138_24 Depth=2
	s_cmp_lt_i32 s7, 1
	s_cbranch_scc1 .LBB138_31
; %bb.27:                               ;   in Loop: Header=BB138_24 Depth=2
	s_mov_b32 s12, 0
	s_mov_b32 s13, s20
.LBB138_28:                             ;   Parent Loop BB138_21 Depth=1
                                        ;     Parent Loop BB138_24 Depth=2
                                        ; =>    This Loop Header: Depth=3
                                        ;         Child Loop BB138_29 Depth 4
	v_lshl_add_u32 v1, s12, 6, v36
	ds_read_b64 v[1:2], v1
	v_mov_b32_e32 v4, v35
	s_mov_b32 s26, s13
	s_mov_b32 s27, s19
.LBB138_29:                             ;   Parent Loop BB138_21 Depth=1
                                        ;     Parent Loop BB138_24 Depth=2
                                        ;       Parent Loop BB138_28 Depth=3
                                        ; =>      This Inner Loop Header: Depth=4
	v_mov_b32_e32 v7, s26
	ds_read_b64 v[7:8], v7
	ds_read_b64 v[5:6], v4
	s_add_i32 s27, s27, -1
	s_add_i32 s26, s26, 64
	s_cmp_eq_u32 s27, 0
	s_waitcnt lgkmcnt(1)
	v_mul_f32_e32 v9, v8, v2
	v_mul_f32_e32 v8, v8, v1
	v_fma_f32 v9, v7, v1, -v9
	v_fmac_f32_e32 v8, v7, v2
	s_waitcnt lgkmcnt(0)
	v_sub_f32_e32 v5, v5, v9
	v_sub_f32_e32 v6, v6, v8
	ds_write_b64 v4, v[5:6]
	v_add_u32_e32 v4, 8, v4
	s_cbranch_scc0 .LBB138_29
; %bb.30:                               ;   in Loop: Header=BB138_28 Depth=3
	s_add_i32 s12, s12, 1
	s_add_i32 s13, s13, 8
	s_cmp_eq_u32 s12, s7
	s_cbranch_scc0 .LBB138_28
.LBB138_31:                             ;   in Loop: Header=BB138_24 Depth=2
	s_lshl_b32 s26, s7, 6
	s_mov_b32 s27, 0
	s_mov_b32 s28, s23
	s_branch .LBB138_33
.LBB138_32:                             ;   in Loop: Header=BB138_33 Depth=3
	s_mul_i32 s12, s30, 0x48
	v_mov_b32_e32 v5, s12
	ds_read_b64 v[5:6], v5
	s_add_i32 s27, s27, 1
	s_add_i32 s28, s28, 64
	v_add_u32_e32 v9, s29, v36
	s_cmp_eq_u32 s27, s19
	s_waitcnt lgkmcnt(0)
	v_mul_f32_e32 v7, v6, v2
	v_mul_f32_e32 v8, v5, v2
	v_fma_f32 v7, v5, v1, -v7
	v_fmac_f32_e32 v8, v6, v1
	ds_write_b64 v4, v[7:8]
	ds_write_b64 v9, v[7:8]
	s_cbranch_scc1 .LBB138_23
.LBB138_33:                             ;   Parent Loop BB138_21 Depth=1
                                        ;     Parent Loop BB138_24 Depth=2
                                        ; =>    This Loop Header: Depth=3
                                        ;         Child Loop BB138_35 Depth 4
	s_cmp_lg_u32 s27, 0
	v_lshl_add_u32 v4, s27, 3, v35
	s_cbranch_scc0 .LBB138_37
; %bb.34:                               ;   in Loop: Header=BB138_33 Depth=3
	ds_read_b64 v[1:2], v4
	s_add_i32 s30, s27, s7
	s_lshl_b32 s29, s30, 6
	s_mov_b32 s12, s28
	v_mov_b32_e32 v5, v35
	s_mov_b32 s13, s27
.LBB138_35:                             ;   Parent Loop BB138_21 Depth=1
                                        ;     Parent Loop BB138_24 Depth=2
                                        ;       Parent Loop BB138_33 Depth=3
                                        ; =>      This Inner Loop Header: Depth=4
	v_mov_b32_e32 v8, s12
	ds_read_b64 v[6:7], v5
	ds_read_b64 v[8:9], v8
	s_add_i32 s13, s13, -1
	s_add_i32 s12, s12, 8
	v_add_u32_e32 v5, 8, v5
	s_cmp_eq_u32 s13, 0
	s_waitcnt lgkmcnt(0)
	v_mul_f32_e32 v10, v9, v7
	v_mul_f32_e32 v7, v8, v7
	v_fma_f32 v8, v8, v6, -v10
	v_fmac_f32_e32 v7, v9, v6
	v_sub_f32_e32 v1, v1, v8
	v_sub_f32_e32 v2, v2, v7
	ds_write_b64 v4, v[1:2]
	s_cbranch_scc0 .LBB138_35
; %bb.36:                               ;   in Loop: Header=BB138_33 Depth=3
	s_branch .LBB138_32
.LBB138_37:                             ;   in Loop: Header=BB138_33 Depth=3
                                        ; implicit-def: $vgpr1
                                        ; implicit-def: $sgpr30
                                        ; implicit-def: $sgpr29
	s_cbranch_execz .LBB138_32
; %bb.38:                               ;   in Loop: Header=BB138_33 Depth=3
	ds_read_b64 v[1:2], v35
	s_mov_b32 s29, s26
	s_mov_b32 s30, s7
	s_branch .LBB138_32
.LBB138_39:
	s_mov_b64 s[4:5], 0
.LBB138_40:
	s_and_b64 vcc, exec, s[4:5]
	s_cbranch_vccz .LBB138_66
; %bb.41:
	s_add_i32 s4, s24, -1
	s_cmp_gt_i32 s14, 7
	s_mov_b32 s5, s4
	s_cbranch_scc0 .LBB138_43
; %bb.42:
	ds_read2_b64 v[1:4], v36 offset0:48 offset1:56
	s_mov_b32 s5, -1
	s_waitcnt lgkmcnt(0)
	v_mov_b32_e32 v5, v3
	v_mov_b32_e32 v6, v4
	;; [unrolled: 1-line block ×4, first 2 shown]
	ds_write_b128 v35, v[5:8]
	ds_read2_b64 v[5:8], v36 offset0:32 offset1:40
	s_waitcnt lgkmcnt(0)
	v_mov_b32_e32 v9, v7
	v_mov_b32_e32 v10, v8
	;; [unrolled: 1-line block ×4, first 2 shown]
	ds_write_b128 v35, v[9:12] offset:16
	ds_read2_b64 v[9:12], v36 offset0:16 offset1:24
	v_mov_b32_e32 v5, 0
	s_waitcnt lgkmcnt(0)
	v_mov_b32_e32 v13, v9
	v_mov_b32_e32 v14, v10
	ds_write_b128 v35, v[11:14] offset:32
	ds_read2_b64 v[9:12], v36 offset1:8
	s_waitcnt lgkmcnt(0)
	v_mov_b32_e32 v13, v9
	v_mov_b32_e32 v14, v10
	ds_write_b128 v35, v[11:14] offset:48
	ds_read_b128 v[9:12], v5 offset:496
	s_waitcnt lgkmcnt(0)
	v_mul_f32_e32 v34, v11, v4
	v_mul_f32_e32 v6, v12, v4
	v_fmac_f32_e32 v34, v12, v3
	v_fma_f32 v33, v11, v3, -v6
	v_mul_f32_e32 v3, v10, v34
	v_mul_f32_e32 v4, v9, v34
	v_fma_f32 v3, v9, v33, -v3
	v_fmac_f32_e32 v4, v10, v33
	v_sub_f32_e32 v6, v1, v3
	v_sub_f32_e32 v9, v2, v4
	ds_read2_b64 v[1:4], v5 offset0:36 offset1:54
	s_waitcnt lgkmcnt(0)
	v_mul_f32_e32 v10, v4, v9
	v_mul_f32_e32 v30, v3, v9
	v_fma_f32 v29, v3, v6, -v10
	v_fmac_f32_e32 v30, v4, v6
	ds_write2_b64 v35, v[33:34], v[29:30] offset1:1
	ds_write2_b64 v36, v[29:30], v[33:34] offset0:48 offset1:56
	ds_read_b128 v[9:12], v5 offset:480
	s_waitcnt lgkmcnt(0)
	v_mul_f32_e32 v3, v12, v34
	v_mul_f32_e32 v4, v11, v34
	v_fma_f32 v3, v11, v33, -v3
	v_fmac_f32_e32 v4, v12, v33
	ds_read_b128 v[11:14], v5 offset:416
	v_sub_f32_e32 v3, v7, v3
	v_sub_f32_e32 v4, v8, v4
	s_waitcnt lgkmcnt(0)
	v_mul_f32_e32 v6, v14, v30
	v_mul_f32_e32 v7, v13, v30
	v_fma_f32 v6, v13, v29, -v6
	v_fmac_f32_e32 v7, v14, v29
	ds_read_b128 v[13:16], v5 offset:352
	v_sub_f32_e32 v4, v4, v7
	v_sub_f32_e32 v3, v3, v6
	v_mul_f32_e32 v7, v11, v30
	v_fmac_f32_e32 v7, v12, v29
	s_waitcnt lgkmcnt(0)
	v_mul_f32_e32 v6, v16, v4
	v_mul_f32_e32 v26, v15, v4
	v_fma_f32 v25, v15, v3, -v6
	v_fmac_f32_e32 v26, v16, v3
	ds_read2_b64 v[15:18], v35 offset0:3 offset1:4
	v_mul_f32_e32 v4, v9, v34
	v_mul_f32_e32 v3, v10, v34
	v_fmac_f32_e32 v4, v10, v33
	v_fma_f32 v3, v9, v33, -v3
	s_waitcnt lgkmcnt(0)
	v_sub_f32_e32 v4, v16, v4
	v_mul_f32_e32 v6, v12, v30
	v_sub_f32_e32 v3, v15, v3
	v_fma_f32 v6, v11, v29, -v6
	v_sub_f32_e32 v4, v4, v7
	v_mul_f32_e32 v7, v13, v26
	v_sub_f32_e32 v3, v3, v6
	v_mul_f32_e32 v6, v14, v26
	v_fmac_f32_e32 v7, v14, v25
	v_fma_f32 v6, v13, v25, -v6
	v_sub_f32_e32 v4, v4, v7
	v_sub_f32_e32 v3, v3, v6
	v_mul_f32_e32 v6, v2, v4
	v_mul_f32_e32 v24, v1, v4
	v_fma_f32 v23, v1, v3, -v6
	v_fmac_f32_e32 v24, v2, v3
	ds_write2_b64 v35, v[25:26], v[23:24] offset0:2 offset1:3
	ds_write2_b64 v36, v[23:24], v[25:26] offset0:32 offset1:40
	ds_read_b128 v[1:4], v5 offset:464
	s_waitcnt lgkmcnt(0)
	v_mul_f32_e32 v6, v4, v34
	v_fma_f32 v6, v3, v33, -v6
	v_mul_f32_e32 v3, v3, v34
	v_fmac_f32_e32 v3, v4, v33
	v_sub_f32_e32 v4, v17, v6
	ds_read_b128 v[6:9], v5 offset:400
	v_sub_f32_e32 v3, v18, v3
	s_waitcnt lgkmcnt(0)
	v_mul_f32_e32 v10, v9, v30
	v_fma_f32 v10, v8, v29, -v10
	v_mul_f32_e32 v8, v8, v30
	v_fmac_f32_e32 v8, v9, v29
	v_sub_f32_e32 v4, v4, v10
	v_sub_f32_e32 v3, v3, v8
	ds_read_b128 v[8:11], v5 offset:336
	s_waitcnt lgkmcnt(0)
	v_mul_f32_e32 v12, v11, v26
	v_fma_f32 v12, v10, v25, -v12
	v_mul_f32_e32 v10, v10, v26
	v_fmac_f32_e32 v10, v11, v25
	v_sub_f32_e32 v4, v4, v12
	v_sub_f32_e32 v3, v3, v10
	ds_read_b128 v[10:13], v5 offset:272
	;; [unrolled: 8-line block ×3, first 2 shown]
	s_waitcnt lgkmcnt(0)
	v_mul_f32_e32 v16, v15, v3
	v_mul_f32_e32 v32, v14, v3
	v_fma_f32 v31, v14, v4, -v16
	v_fmac_f32_e32 v32, v15, v4
	ds_read2_b64 v[14:17], v35 offset0:5 offset1:6
	v_mul_f32_e32 v3, v2, v34
	v_fma_f32 v3, v1, v33, -v3
	v_mul_f32_e32 v1, v1, v34
	v_fmac_f32_e32 v1, v2, v33
	s_waitcnt lgkmcnt(0)
	v_sub_f32_e32 v2, v14, v3
	v_mul_f32_e32 v3, v7, v30
	v_mul_f32_e32 v4, v6, v30
	v_sub_f32_e32 v1, v15, v1
	v_fma_f32 v3, v6, v29, -v3
	v_fmac_f32_e32 v4, v7, v29
	v_sub_f32_e32 v2, v2, v3
	v_sub_f32_e32 v1, v1, v4
	v_mul_f32_e32 v3, v9, v26
	v_mul_f32_e32 v4, v8, v26
	v_fma_f32 v3, v8, v25, -v3
	v_fmac_f32_e32 v4, v9, v25
	v_sub_f32_e32 v2, v2, v3
	v_sub_f32_e32 v1, v1, v4
	v_mul_f32_e32 v3, v11, v24
	v_mul_f32_e32 v4, v10, v24
	;; [unrolled: 6-line block ×3, first 2 shown]
	v_fma_f32 v3, v12, v31, -v3
	v_fmac_f32_e32 v4, v13, v31
	v_sub_f32_e32 v6, v2, v3
	v_sub_f32_e32 v7, v1, v4
	ds_read2_b64 v[1:4], v5 offset1:18
	s_waitcnt lgkmcnt(0)
	v_mul_f32_e32 v8, v4, v7
	v_mul_f32_e32 v28, v3, v7
	v_fma_f32 v27, v3, v6, -v8
	v_fmac_f32_e32 v28, v4, v6
	ds_write2_b64 v35, v[31:32], v[27:28] offset0:4 offset1:5
	ds_write2_b64 v36, v[27:28], v[31:32] offset0:16 offset1:24
	ds_read_b128 v[37:40], v5 offset:448
	ds_read_b128 v[19:22], v5 offset:320
	;; [unrolled: 1-line block ×3, first 2 shown]
	s_waitcnt lgkmcnt(2)
	v_mul_f32_e32 v3, v40, v34
	v_mul_f32_e32 v4, v39, v34
	v_fma_f32 v3, v39, v33, -v3
	v_fmac_f32_e32 v4, v40, v33
	ds_read_b128 v[39:42], v5 offset:384
	v_sub_f32_e32 v3, v16, v3
	v_sub_f32_e32 v4, v17, v4
	ds_read_b128 v[15:18], v5 offset:256
	s_waitcnt lgkmcnt(1)
	v_mul_f32_e32 v7, v41, v30
	v_fmac_f32_e32 v7, v42, v29
	v_sub_f32_e32 v4, v4, v7
	v_mul_f32_e32 v7, v21, v26
	v_fmac_f32_e32 v7, v22, v25
	v_sub_f32_e32 v4, v4, v7
	s_waitcnt lgkmcnt(0)
	v_mul_f32_e32 v7, v17, v24
	v_mul_f32_e32 v6, v42, v30
	v_fmac_f32_e32 v7, v18, v23
	v_fma_f32 v6, v41, v29, -v6
	v_sub_f32_e32 v4, v4, v7
	v_mul_f32_e32 v7, v13, v32
	v_sub_f32_e32 v3, v3, v6
	v_mul_f32_e32 v6, v22, v26
	v_fmac_f32_e32 v7, v14, v31
	v_fma_f32 v6, v21, v25, -v6
	v_sub_f32_e32 v4, v4, v7
	ds_read_b128 v[7:10], v5 offset:128
	v_sub_f32_e32 v3, v3, v6
	v_mul_f32_e32 v6, v18, v24
	v_fma_f32 v6, v17, v23, -v6
	v_sub_f32_e32 v3, v3, v6
	v_mul_f32_e32 v6, v14, v32
	v_fma_f32 v6, v13, v31, -v6
	v_sub_f32_e32 v3, v3, v6
	s_waitcnt lgkmcnt(0)
	v_mul_f32_e32 v6, v10, v28
	v_fma_f32 v6, v9, v27, -v6
	v_mul_f32_e32 v9, v9, v28
	v_fmac_f32_e32 v9, v10, v27
	v_sub_f32_e32 v13, v3, v6
	v_sub_f32_e32 v10, v4, v9
	ds_read_b128 v[3:6], v5 offset:64
	v_mul_f32_e32 v14, v37, v34
	v_fmac_f32_e32 v14, v38, v33
	s_waitcnt lgkmcnt(0)
	v_mul_f32_e32 v9, v6, v10
	v_mul_f32_e32 v10, v5, v10
	v_fma_f32 v9, v5, v13, -v9
	v_fmac_f32_e32 v10, v6, v13
	ds_read_b64 v[5:6], v35 offset:56
	v_mul_f32_e32 v13, v38, v34
	v_fma_f32 v13, v37, v33, -v13
	s_waitcnt lgkmcnt(0)
	v_sub_f32_e32 v5, v5, v13
	v_mul_f32_e32 v13, v40, v30
	v_fma_f32 v13, v39, v29, -v13
	v_sub_f32_e32 v6, v6, v14
	v_mul_f32_e32 v14, v39, v30
	v_sub_f32_e32 v5, v5, v13
	v_mul_f32_e32 v13, v20, v26
	v_fmac_f32_e32 v14, v40, v29
	v_fma_f32 v13, v19, v25, -v13
	v_sub_f32_e32 v6, v6, v14
	v_mul_f32_e32 v14, v19, v26
	v_sub_f32_e32 v5, v5, v13
	v_mul_f32_e32 v13, v16, v24
	v_fmac_f32_e32 v14, v20, v25
	;; [unrolled: 6-line block ×3, first 2 shown]
	v_fma_f32 v13, v11, v31, -v13
	v_mul_f32_e32 v11, v11, v32
	v_sub_f32_e32 v6, v6, v14
	v_fmac_f32_e32 v11, v12, v31
	v_sub_f32_e32 v6, v6, v11
	v_mul_f32_e32 v11, v8, v28
	v_fma_f32 v11, v7, v27, -v11
	v_mul_f32_e32 v7, v7, v28
	v_fmac_f32_e32 v7, v8, v27
	v_sub_f32_e32 v6, v6, v7
	v_mul_f32_e32 v7, v4, v10
	v_fma_f32 v7, v3, v9, -v7
	v_mul_f32_e32 v3, v3, v10
	v_sub_f32_e32 v5, v5, v13
	v_fmac_f32_e32 v3, v4, v9
	v_sub_f32_e32 v5, v5, v11
	v_sub_f32_e32 v4, v6, v3
	;; [unrolled: 1-line block ×3, first 2 shown]
	v_mul_f32_e32 v3, v2, v4
	v_mul_f32_e32 v4, v1, v4
	v_fma_f32 v3, v1, v5, -v3
	v_fmac_f32_e32 v4, v2, v5
	ds_write2_b64 v35, v[9:10], v[3:4] offset0:6 offset1:7
	ds_write2_b64 v36, v[3:4], v[9:10] offset1:8
.LBB138_43:
	s_cmp_gt_i32 s5, -1
	s_cbranch_scc0 .LBB138_66
; %bb.44:
	s_cmp_lt_u32 s5, 3
	s_cbranch_scc1 .LBB138_50
; %bb.45:
	s_lshl_b32 s7, s5, 6
	v_add_u32_e32 v9, s7, v36
	v_subrev_u32_e32 v1, 64, v9
	v_add_u32_e32 v2, 0xffffff80, v9
	v_add_u32_e32 v3, 0xffffff40, v9
	ds_read_b64 v[5:6], v9
	ds_read_b64 v[7:8], v1
	ds_read_b64 v[1:2], v2
	ds_read_b64 v[3:4], v3
	s_cmp_le_i32 s4, s5
	s_waitcnt lgkmcnt(2)
	ds_write_b128 v35, v[5:8]
	s_waitcnt lgkmcnt(1)
	ds_write_b128 v35, v[1:4] offset:16
	s_cbranch_scc1 .LBB138_49
; %bb.46:
	s_lshl_b32 s12, s24, 6
	s_lshl_b32 s13, s5, 3
	v_lshl_or_b32 v10, v0, 3, s12
	s_add_i32 s12, s12, s13
	v_add_u32_e32 v10, 0x1c0, v10
	s_addk_i32 s12, 0xffa8
	s_mov_b32 s13, s4
.LBB138_47:                             ; =>This Inner Loop Header: Depth=1
	v_mov_b32_e32 v15, s12
	ds_read_b64 v[19:20], v10
	ds_read2_b64 v[11:14], v15 offset0:2 offset1:3
	ds_read2_b64 v[15:18], v15 offset1:1
	s_add_i32 s13, s13, -1
	s_sub_i32 s12, s12, 64
	v_subrev_u32_e32 v10, 64, v10
	s_waitcnt lgkmcnt(1)
	v_mul_f32_e32 v21, v14, v20
	v_mul_f32_e32 v14, v14, v19
	;; [unrolled: 1-line block ×4, first 2 shown]
	s_waitcnt lgkmcnt(0)
	v_mul_f32_e32 v23, v18, v20
	v_mul_f32_e32 v18, v18, v19
	;; [unrolled: 1-line block ×4, first 2 shown]
	v_fma_f32 v21, v13, v19, -v21
	v_fmac_f32_e32 v14, v13, v20
	v_fma_f32 v13, v11, v19, -v22
	v_fmac_f32_e32 v12, v11, v20
	;; [unrolled: 2-line block ×4, first 2 shown]
	s_cmp_gt_i32 s13, s5
	v_sub_f32_e32 v5, v5, v21
	v_sub_f32_e32 v6, v6, v14
	;; [unrolled: 1-line block ×8, first 2 shown]
	s_cbranch_scc1 .LBB138_47
; %bb.48:
	ds_write_b128 v35, v[5:8]
	ds_write_b128 v35, v[1:4] offset:16
.LBB138_49:
	s_add_i32 s12, s5, -1
	s_lshl_b32 s13, s12, 3
	s_add_i32 s14, s13, s7
	v_mov_b32_e32 v3, s14
	ds_read2_b64 v[10:13], v3 offset1:1
	s_lshl_b32 s12, s12, 6
	s_add_i32 s13, s13, s12
	v_mov_b32_e32 v3, s13
	ds_read_b64 v[3:4], v3
	s_waitcnt lgkmcnt(1)
	v_mul_f32_e32 v15, v12, v6
	v_mul_f32_e32 v14, v13, v6
	v_fmac_f32_e32 v15, v13, v5
	v_fma_f32 v14, v12, v5, -v14
	v_mul_f32_e32 v6, v10, v15
	v_mul_f32_e32 v5, v11, v15
	v_fmac_f32_e32 v6, v11, v14
	s_add_i32 s13, s5, -3
	v_fma_f32 v5, v10, v14, -v5
	v_sub_f32_e32 v6, v8, v6
	s_lshl_b32 s14, s13, 3
	v_sub_f32_e32 v5, v7, v5
	s_waitcnt lgkmcnt(0)
	v_mul_f32_e32 v7, v4, v6
	s_add_i32 s15, s14, s7
	v_fma_f32 v11, v3, v5, -v7
	v_mul_f32_e32 v12, v3, v6
	v_mov_b32_e32 v3, s15
	v_fmac_f32_e32 v12, v4, v5
	ds_read2_b64 v[3:6], v3 offset1:1
	v_add_u32_e32 v7, s12, v36
	s_add_i32 s12, s14, s12
	ds_write_b64 v7, v[11:12]
	v_mov_b32_e32 v7, s12
	ds_write_b64 v9, v[14:15]
	ds_read2_b64 v[7:10], v7 offset1:1
	s_waitcnt lgkmcnt(3)
	v_mul_f32_e32 v13, v6, v15
	v_fma_f32 v13, v5, v14, -v13
	v_mul_f32_e32 v5, v5, v15
	v_fmac_f32_e32 v5, v6, v14
	v_sub_f32_e32 v2, v2, v5
	s_waitcnt lgkmcnt(0)
	v_mul_f32_e32 v5, v10, v12
	v_mul_f32_e32 v6, v9, v12
	s_addk_i32 s7, 0xff80
	v_sub_f32_e32 v1, v1, v13
	v_fma_f32 v5, v9, v11, -v5
	v_fmac_f32_e32 v6, v10, v11
	s_add_i32 s12, s14, s7
	ds_write2_b64 v35, v[14:15], v[11:12] offset1:1
	v_sub_f32_e32 v16, v1, v5
	v_sub_f32_e32 v10, v2, v6
	v_mov_b32_e32 v1, s12
	v_mul_f32_e32 v2, v4, v15
	v_mul_f32_e32 v15, v3, v15
	v_fma_f32 v17, v3, v14, -v2
	v_fmac_f32_e32 v15, v4, v14
	ds_read2_b64 v[1:4], v1 offset1:1
	s_lshl_b32 s12, s13, 6
	ds_read_b64 v[13:14], v35 offset:24
	s_add_i32 s13, s14, s12
	v_mov_b32_e32 v5, s13
	ds_read_b64 v[5:6], v5
	s_waitcnt lgkmcnt(2)
	v_mul_f32_e32 v9, v4, v10
	v_mul_f32_e32 v10, v3, v10
	v_fma_f32 v9, v3, v16, -v9
	v_fmac_f32_e32 v10, v4, v16
	v_add_u32_e32 v3, s7, v36
	ds_write_b64 v3, v[9:10]
	s_waitcnt lgkmcnt(2)
	v_sub_f32_e32 v3, v13, v17
	v_mul_f32_e32 v13, v8, v12
	v_fma_f32 v13, v7, v11, -v13
	v_mul_f32_e32 v7, v7, v12
	v_sub_f32_e32 v4, v14, v15
	v_fmac_f32_e32 v7, v8, v11
	v_sub_f32_e32 v4, v4, v7
	v_mul_f32_e32 v7, v2, v10
	v_fma_f32 v7, v1, v9, -v7
	v_mul_f32_e32 v1, v1, v10
	v_fmac_f32_e32 v1, v2, v9
	v_sub_f32_e32 v3, v3, v13
	v_sub_f32_e32 v2, v4, v1
	;; [unrolled: 1-line block ×3, first 2 shown]
	s_waitcnt lgkmcnt(1)
	v_mul_f32_e32 v1, v6, v2
	v_mul_f32_e32 v2, v5, v2
	v_fma_f32 v1, v5, v3, -v1
	v_fmac_f32_e32 v2, v6, v3
	v_add_u32_e32 v3, s12, v36
	s_add_i32 s5, s5, -4
	ds_write2_b64 v35, v[9:10], v[1:2] offset0:2 offset1:3
	ds_write_b64 v3, v[1:2]
.LBB138_50:
	s_cmp_lt_i32 s5, 0
	s_cbranch_scc1 .LBB138_66
; %bb.51:
	s_bitcmp1_b32 s5, 0
	s_cselect_b64 s[12:13], -1, 0
	s_and_b64 vcc, exec, s[12:13]
	s_mov_b32 s7, s5
	s_cbranch_vccnz .LBB138_57
; %bb.52:
	s_lshl_b32 s7, s5, 6
	v_add_u32_e32 v3, s7, v36
	ds_read_b64 v[1:2], v3
	s_cmp_le_i32 s4, s5
	s_waitcnt lgkmcnt(0)
	ds_write_b64 v35, v[1:2]
	s_cbranch_scc1 .LBB138_56
; %bb.53:
	s_lshl_b32 s12, s24, 6
	s_lshl_b32 s7, s5, 3
	s_add_i32 s7, s12, s7
	v_lshl_or_b32 v4, v0, 3, s12
	s_sub_i32 s7, s7, 64
	v_add_u32_e32 v4, 0x1c0, v4
	s_mov_b32 s12, s4
.LBB138_54:                             ; =>This Inner Loop Header: Depth=1
	v_mov_b32_e32 v7, s7
	ds_read_b64 v[5:6], v4
	ds_read_b64 v[7:8], v7
	s_add_i32 s12, s12, -1
	s_sub_i32 s7, s7, 64
	v_subrev_u32_e32 v4, 64, v4
	s_cmp_gt_i32 s12, s5
	s_waitcnt lgkmcnt(0)
	v_mul_f32_e32 v9, v8, v6
	v_mul_f32_e32 v8, v8, v5
	v_fma_f32 v5, v7, v5, -v9
	v_fmac_f32_e32 v8, v7, v6
	v_sub_f32_e32 v1, v1, v5
	v_sub_f32_e32 v2, v2, v8
	s_cbranch_scc1 .LBB138_54
; %bb.55:
	ds_write_b64 v35, v[1:2]
.LBB138_56:
	s_mul_i32 s7, s5, 0x48
	v_mov_b32_e32 v4, s7
	ds_read_b64 v[4:5], v4
	s_add_i32 s7, s5, -1
	s_waitcnt lgkmcnt(0)
	v_mul_f32_e32 v6, v5, v2
	v_mul_f32_e32 v7, v4, v2
	v_fma_f32 v6, v4, v1, -v6
	v_fmac_f32_e32 v7, v5, v1
	ds_write_b64 v35, v[6:7]
	ds_write_b64 v3, v[6:7]
.LBB138_57:
	s_cmp_eq_u32 s5, 0
	s_cbranch_scc1 .LBB138_66
; %bb.58:
	s_lshl_b32 s12, s24, 6
	s_lshl_b32 s5, s7, 3
	s_add_i32 s13, s12, s5
	v_lshl_or_b32 v1, v0, 3, s12
	s_sub_i32 s5, s13, 64
	v_add_u32_e32 v5, 0x1c0, v1
	s_add_i32 s12, s13, 0xffffffb8
	s_branch .LBB138_60
.LBB138_59:                             ;   in Loop: Header=BB138_60 Depth=1
	s_addk_i32 s13, 0xffb8
	v_mov_b32_e32 v3, s13
	ds_read_b64 v[3:4], v3
	s_add_i32 s13, s7, -2
	s_add_i32 s5, s5, -16
	;; [unrolled: 1-line block ×3, first 2 shown]
	s_cmp_lt_i32 s7, 2
	s_waitcnt lgkmcnt(0)
	v_mul_f32_e32 v7, v4, v2
	v_mul_f32_e32 v8, v3, v2
	v_fma_f32 v7, v3, v1, -v7
	v_fmac_f32_e32 v8, v4, v1
	s_mov_b32 s7, s13
	ds_write_b64 v35, v[7:8]
	ds_write_b64 v6, v[7:8]
	s_cbranch_scc1 .LBB138_66
.LBB138_60:                             ; =>This Loop Header: Depth=1
                                        ;     Child Loop BB138_61 Depth 2
                                        ;     Child Loop BB138_64 Depth 2
	s_lshl_b32 s14, s7, 6
	v_add_u32_e32 v7, s14, v36
	ds_read_b64 v[3:4], v7
	v_mov_b32_e32 v1, v5
	s_mov_b32 s13, s5
	s_cmp_le_i32 s4, s7
	s_mov_b32 s15, s4
	s_waitcnt lgkmcnt(0)
	ds_write_b64 v35, v[3:4]
	s_cbranch_scc1 .LBB138_63
.LBB138_61:                             ;   Parent Loop BB138_60 Depth=1
                                        ; =>  This Inner Loop Header: Depth=2
	v_mov_b32_e32 v2, s13
	ds_read_b64 v[8:9], v1
	ds_read_b64 v[10:11], v2
	s_add_i32 s15, s15, -1
	s_sub_i32 s13, s13, 64
	v_subrev_u32_e32 v1, 64, v1
	s_cmp_gt_i32 s15, s7
	s_waitcnt lgkmcnt(0)
	v_mul_f32_e32 v2, v11, v9
	v_mul_f32_e32 v6, v11, v8
	v_fma_f32 v2, v10, v8, -v2
	v_fmac_f32_e32 v6, v10, v9
	v_sub_f32_e32 v3, v3, v2
	v_sub_f32_e32 v4, v4, v6
	s_cbranch_scc1 .LBB138_61
; %bb.62:                               ;   in Loop: Header=BB138_60 Depth=1
	ds_write_b64 v35, v[3:4]
.LBB138_63:                             ;   in Loop: Header=BB138_60 Depth=1
	s_mul_i32 s13, s7, 0x48
	v_mov_b32_e32 v1, s13
	ds_read_b64 v[8:9], v1
	s_sub_i32 s14, s14, 64
	v_add_u32_e32 v6, s14, v36
	ds_read_b64 v[1:2], v6
	s_cmp_le_i32 s24, s7
	s_waitcnt lgkmcnt(1)
	v_mul_f32_e32 v10, v9, v4
	v_mul_f32_e32 v11, v8, v4
	v_fma_f32 v10, v8, v3, -v10
	v_fmac_f32_e32 v11, v9, v3
	s_mov_b32 s14, s12
	v_mov_b32_e32 v3, v5
	s_mov_b32 s15, s24
	ds_write_b64 v7, v[10:11]
	s_waitcnt lgkmcnt(1)
	ds_write_b64 v35, v[1:2]
	s_cbranch_scc1 .LBB138_59
.LBB138_64:                             ;   Parent Loop BB138_60 Depth=1
                                        ; =>  This Inner Loop Header: Depth=2
	v_mov_b32_e32 v4, s14
	ds_read_b64 v[7:8], v3
	ds_read_b64 v[9:10], v4
	s_add_i32 s15, s15, -1
	s_sub_i32 s14, s14, 64
	v_subrev_u32_e32 v3, 64, v3
	s_cmp_gt_i32 s15, s7
	s_waitcnt lgkmcnt(0)
	v_mul_f32_e32 v4, v10, v8
	v_mul_f32_e32 v10, v10, v7
	v_fma_f32 v4, v9, v7, -v4
	v_fmac_f32_e32 v10, v9, v8
	v_sub_f32_e32 v1, v1, v4
	v_sub_f32_e32 v2, v2, v10
	s_cbranch_scc1 .LBB138_64
; %bb.65:                               ;   in Loop: Header=BB138_60 Depth=1
	ds_write_b64 v35, v[1:2]
	s_branch .LBB138_59
.LBB138_66:
	s_waitcnt lgkmcnt(0)
	; wave barrier
	s_and_saveexec_b64 s[4:5], s[0:1]
	s_cbranch_execz .LBB138_70
; %bb.67:
	s_andn2_b64 vcc, exec, s[8:9]
	s_cbranch_vccnz .LBB138_70
; %bb.68:
	s_lshl_b64 s[0:1], s[16:17], 3
	s_add_u32 s2, s2, s0
	s_addc_u32 s3, s3, s1
	s_lshl_b64 s[0:1], s[10:11], 3
	s_add_u32 s4, s2, s0
	s_addc_u32 s5, s3, s1
	v_mad_i64_i32 v[1:2], s[2:3], s22, v0, 0
	s_mul_hi_i32 s1, s22, s6
	s_mul_i32 s0, s22, s6
	s_lshl_b64 s[0:1], s[0:1], 3
	s_add_u32 s0, s4, s0
	v_lshlrev_b64 v[1:2], 3, v[1:2]
	s_addc_u32 s1, s5, s1
	v_mov_b32_e32 v3, s1
	v_add_co_u32_e32 v1, vcc, s0, v1
	v_addc_co_u32_e32 v2, vcc, v3, v2, vcc
	v_mov_b32_e32 v3, 0x200
	v_lshl_or_b32 v0, v0, 3, v3
.LBB138_69:                             ; =>This Inner Loop Header: Depth=1
	ds_read_b64 v[3:4], v0
	s_add_i32 s24, s24, -1
	v_add_u32_e32 v0, 64, v0
	s_cmp_lg_u32 s24, 0
	s_waitcnt lgkmcnt(0)
	global_store_dwordx2 v[1:2], v[3:4], off
	v_add_co_u32_e32 v1, vcc, 8, v1
	v_addc_co_u32_e32 v2, vcc, 0, v2, vcc
	s_cbranch_scc1 .LBB138_69
.LBB138_70:
	s_endpgm
	.section	.rodata,"a",@progbits
	.p2align	6, 0x0
	.amdhsa_kernel _ZL38rocblas_trsm_small_left_device_sharedBILi8ELi8ELb0E19rocblas_complex_numIfES1_PKS1_PS1_Ev13rocblas_fill_18rocblas_operation_17rocblas_diagonal_iiT3_T4_lilT5_lili
		.amdhsa_group_segment_fixed_size 1536
		.amdhsa_private_segment_fixed_size 0
		.amdhsa_kernarg_size 360
		.amdhsa_user_sgpr_count 8
		.amdhsa_user_sgpr_private_segment_buffer 1
		.amdhsa_user_sgpr_dispatch_ptr 1
		.amdhsa_user_sgpr_queue_ptr 0
		.amdhsa_user_sgpr_kernarg_segment_ptr 1
		.amdhsa_user_sgpr_dispatch_id 0
		.amdhsa_user_sgpr_flat_scratch_init 0
		.amdhsa_user_sgpr_private_segment_size 0
		.amdhsa_uses_dynamic_stack 0
		.amdhsa_system_sgpr_private_segment_wavefront_offset 0
		.amdhsa_system_sgpr_workgroup_id_x 1
		.amdhsa_system_sgpr_workgroup_id_y 0
		.amdhsa_system_sgpr_workgroup_id_z 1
		.amdhsa_system_sgpr_workgroup_info 0
		.amdhsa_system_vgpr_workitem_id 2
		.amdhsa_next_free_vgpr 43
		.amdhsa_next_free_sgpr 32
		.amdhsa_reserve_vcc 1
		.amdhsa_reserve_flat_scratch 0
		.amdhsa_float_round_mode_32 0
		.amdhsa_float_round_mode_16_64 0
		.amdhsa_float_denorm_mode_32 3
		.amdhsa_float_denorm_mode_16_64 3
		.amdhsa_dx10_clamp 1
		.amdhsa_ieee_mode 1
		.amdhsa_fp16_overflow 0
		.amdhsa_exception_fp_ieee_invalid_op 0
		.amdhsa_exception_fp_denorm_src 0
		.amdhsa_exception_fp_ieee_div_zero 0
		.amdhsa_exception_fp_ieee_overflow 0
		.amdhsa_exception_fp_ieee_underflow 0
		.amdhsa_exception_fp_ieee_inexact 0
		.amdhsa_exception_int_div_zero 0
	.end_amdhsa_kernel
	.section	.text._ZL38rocblas_trsm_small_left_device_sharedBILi8ELi8ELb0E19rocblas_complex_numIfES1_PKS1_PS1_Ev13rocblas_fill_18rocblas_operation_17rocblas_diagonal_iiT3_T4_lilT5_lili,"axG",@progbits,_ZL38rocblas_trsm_small_left_device_sharedBILi8ELi8ELb0E19rocblas_complex_numIfES1_PKS1_PS1_Ev13rocblas_fill_18rocblas_operation_17rocblas_diagonal_iiT3_T4_lilT5_lili,comdat
.Lfunc_end138:
	.size	_ZL38rocblas_trsm_small_left_device_sharedBILi8ELi8ELb0E19rocblas_complex_numIfES1_PKS1_PS1_Ev13rocblas_fill_18rocblas_operation_17rocblas_diagonal_iiT3_T4_lilT5_lili, .Lfunc_end138-_ZL38rocblas_trsm_small_left_device_sharedBILi8ELi8ELb0E19rocblas_complex_numIfES1_PKS1_PS1_Ev13rocblas_fill_18rocblas_operation_17rocblas_diagonal_iiT3_T4_lilT5_lili
                                        ; -- End function
	.set _ZL38rocblas_trsm_small_left_device_sharedBILi8ELi8ELb0E19rocblas_complex_numIfES1_PKS1_PS1_Ev13rocblas_fill_18rocblas_operation_17rocblas_diagonal_iiT3_T4_lilT5_lili.num_vgpr, 43
	.set _ZL38rocblas_trsm_small_left_device_sharedBILi8ELi8ELb0E19rocblas_complex_numIfES1_PKS1_PS1_Ev13rocblas_fill_18rocblas_operation_17rocblas_diagonal_iiT3_T4_lilT5_lili.num_agpr, 0
	.set _ZL38rocblas_trsm_small_left_device_sharedBILi8ELi8ELb0E19rocblas_complex_numIfES1_PKS1_PS1_Ev13rocblas_fill_18rocblas_operation_17rocblas_diagonal_iiT3_T4_lilT5_lili.numbered_sgpr, 32
	.set _ZL38rocblas_trsm_small_left_device_sharedBILi8ELi8ELb0E19rocblas_complex_numIfES1_PKS1_PS1_Ev13rocblas_fill_18rocblas_operation_17rocblas_diagonal_iiT3_T4_lilT5_lili.num_named_barrier, 0
	.set _ZL38rocblas_trsm_small_left_device_sharedBILi8ELi8ELb0E19rocblas_complex_numIfES1_PKS1_PS1_Ev13rocblas_fill_18rocblas_operation_17rocblas_diagonal_iiT3_T4_lilT5_lili.private_seg_size, 0
	.set _ZL38rocblas_trsm_small_left_device_sharedBILi8ELi8ELb0E19rocblas_complex_numIfES1_PKS1_PS1_Ev13rocblas_fill_18rocblas_operation_17rocblas_diagonal_iiT3_T4_lilT5_lili.uses_vcc, 1
	.set _ZL38rocblas_trsm_small_left_device_sharedBILi8ELi8ELb0E19rocblas_complex_numIfES1_PKS1_PS1_Ev13rocblas_fill_18rocblas_operation_17rocblas_diagonal_iiT3_T4_lilT5_lili.uses_flat_scratch, 0
	.set _ZL38rocblas_trsm_small_left_device_sharedBILi8ELi8ELb0E19rocblas_complex_numIfES1_PKS1_PS1_Ev13rocblas_fill_18rocblas_operation_17rocblas_diagonal_iiT3_T4_lilT5_lili.has_dyn_sized_stack, 0
	.set _ZL38rocblas_trsm_small_left_device_sharedBILi8ELi8ELb0E19rocblas_complex_numIfES1_PKS1_PS1_Ev13rocblas_fill_18rocblas_operation_17rocblas_diagonal_iiT3_T4_lilT5_lili.has_recursion, 0
	.set _ZL38rocblas_trsm_small_left_device_sharedBILi8ELi8ELb0E19rocblas_complex_numIfES1_PKS1_PS1_Ev13rocblas_fill_18rocblas_operation_17rocblas_diagonal_iiT3_T4_lilT5_lili.has_indirect_call, 0
	.section	.AMDGPU.csdata,"",@progbits
; Kernel info:
; codeLenInByte = 4736
; TotalNumSgprs: 36
; NumVgprs: 43
; ScratchSize: 0
; MemoryBound: 0
; FloatMode: 240
; IeeeMode: 1
; LDSByteSize: 1536 bytes/workgroup (compile time only)
; SGPRBlocks: 4
; VGPRBlocks: 10
; NumSGPRsForWavesPerEU: 36
; NumVGPRsForWavesPerEU: 43
; Occupancy: 5
; WaveLimiterHint : 0
; COMPUTE_PGM_RSRC2:SCRATCH_EN: 0
; COMPUTE_PGM_RSRC2:USER_SGPR: 8
; COMPUTE_PGM_RSRC2:TRAP_HANDLER: 0
; COMPUTE_PGM_RSRC2:TGID_X_EN: 1
; COMPUTE_PGM_RSRC2:TGID_Y_EN: 0
; COMPUTE_PGM_RSRC2:TGID_Z_EN: 1
; COMPUTE_PGM_RSRC2:TIDIG_COMP_CNT: 2
	.section	.text._ZL30rocblas_trsm_small_left_deviceILi8ELi8ELb0E19rocblas_complex_numIfES1_PKS1_PS1_Ev13rocblas_fill_18rocblas_operation_17rocblas_diagonal_iiT3_T4_lilT5_lili,"axG",@progbits,_ZL30rocblas_trsm_small_left_deviceILi8ELi8ELb0E19rocblas_complex_numIfES1_PKS1_PS1_Ev13rocblas_fill_18rocblas_operation_17rocblas_diagonal_iiT3_T4_lilT5_lili,comdat
	.globl	_ZL30rocblas_trsm_small_left_deviceILi8ELi8ELb0E19rocblas_complex_numIfES1_PKS1_PS1_Ev13rocblas_fill_18rocblas_operation_17rocblas_diagonal_iiT3_T4_lilT5_lili ; -- Begin function _ZL30rocblas_trsm_small_left_deviceILi8ELi8ELb0E19rocblas_complex_numIfES1_PKS1_PS1_Ev13rocblas_fill_18rocblas_operation_17rocblas_diagonal_iiT3_T4_lilT5_lili
	.p2align	8
	.type	_ZL30rocblas_trsm_small_left_deviceILi8ELi8ELb0E19rocblas_complex_numIfES1_PKS1_PS1_Ev13rocblas_fill_18rocblas_operation_17rocblas_diagonal_iiT3_T4_lilT5_lili,@function
_ZL30rocblas_trsm_small_left_deviceILi8ELi8ELb0E19rocblas_complex_numIfES1_PKS1_PS1_Ev13rocblas_fill_18rocblas_operation_17rocblas_diagonal_iiT3_T4_lilT5_lili: ; @_ZL30rocblas_trsm_small_left_deviceILi8ELi8ELb0E19rocblas_complex_numIfES1_PKS1_PS1_Ev13rocblas_fill_18rocblas_operation_17rocblas_diagonal_iiT3_T4_lilT5_lili
; %bb.0:
	s_load_dwordx4 s[12:15], s[6:7], 0x4
	s_load_dwordx2 s[10:11], s[6:7], 0x14
	s_load_dwordx4 s[0:3], s[6:7], 0x38
	s_load_dwordx2 s[16:17], s[6:7], 0x48
	s_load_dword s25, s[6:7], 0x68
	s_waitcnt lgkmcnt(0)
	s_min_i32 s24, s14, 8
	v_cmp_gt_i32_e32 vcc, s24, v0
	s_and_saveexec_b64 s[18:19], vcc
	s_cbranch_execz .LBB139_15
; %bb.1:
	s_load_dword s22, s[6:7], 0x30
	s_load_dwordx4 s[28:31], s[6:7], 0x20
	s_mul_i32 s1, s1, s9
	s_mul_hi_u32 s14, s0, s9
	s_mul_i32 s0, s0, s9
	s_waitcnt lgkmcnt(0)
	s_ashr_i32 s23, s22, 31
	s_cmpk_lg_i32 s12, 0x71
	s_cselect_b64 s[20:21], -1, 0
	s_add_i32 s1, s14, s1
	s_lshl_b64 s[0:1], s[0:1], 3
	s_lshl_b64 s[26:27], s[30:31], 3
	s_add_u32 s0, s0, s26
	s_addc_u32 s1, s1, s27
	s_add_u32 s0, s28, s0
	v_lshlrev_b32_e32 v7, 3, v0
	s_addc_u32 s1, s29, s1
	v_mov_b32_e32 v3, s1
	v_add_co_u32_e32 v4, vcc, s0, v7
	v_addc_co_u32_e32 v5, vcc, 0, v3, vcc
	v_add_co_u32_e32 v3, vcc, 4, v4
	s_lshl_b64 s[0:1], s[22:23], 3
	v_addc_co_u32_e32 v4, vcc, 0, v5, vcc
	v_mov_b32_e32 v8, s1
	v_mov_b32_e32 v9, v7
	s_mov_b32 s1, s24
	s_branch .LBB139_3
.LBB139_2:                              ;   in Loop: Header=BB139_3 Depth=1
	global_load_dword v5, v[3:4], off offset:-4
	s_add_i32 s1, s1, -1
	v_add_co_u32_e32 v3, vcc, s0, v3
	v_addc_co_u32_e32 v4, vcc, v4, v8, vcc
	s_cmp_eq_u32 s1, 0
	s_waitcnt vmcnt(0)
	ds_write_b64 v9, v[5:6]
	v_add_u32_e32 v9, 64, v9
	s_cbranch_scc1 .LBB139_7
.LBB139_3:                              ; =>This Inner Loop Header: Depth=1
	s_mov_b64 s[22:23], -1
	s_and_b64 vcc, exec, s[20:21]
                                        ; implicit-def: $vgpr6
	s_cbranch_vccz .LBB139_5
; %bb.4:                                ;   in Loop: Header=BB139_3 Depth=1
	global_load_dword v6, v[3:4], off
	s_mov_b64 s[22:23], 0
.LBB139_5:                              ;   in Loop: Header=BB139_3 Depth=1
	s_andn2_b64 vcc, exec, s[22:23]
	s_cbranch_vccnz .LBB139_2
; %bb.6:                                ;   in Loop: Header=BB139_3 Depth=1
	global_load_dword v5, v[3:4], off
	s_waitcnt vmcnt(0)
	v_xor_b32_e32 v6, 0x80000000, v5
	s_branch .LBB139_2
.LBB139_7:
	s_cmpk_lg_i32 s13, 0x84
	v_lshlrev_b32_e32 v8, 6, v0
	s_mov_b64 s[0:1], -1
	s_cbranch_scc0 .LBB139_13
; %bb.8:
	v_add_u32_e32 v9, v7, v8
	ds_read_b64 v[3:4], v9
                                        ; implicit-def: $vgpr5
	s_waitcnt lgkmcnt(0)
	v_cmp_ngt_f32_e64 s[0:1], |v3|, |v4|
	s_and_saveexec_b64 s[20:21], s[0:1]
	s_xor_b64 s[0:1], exec, s[20:21]
	s_cbranch_execz .LBB139_10
; %bb.9:
	v_div_scale_f32 v5, s[20:21], v4, v4, v3
	v_div_scale_f32 v6, vcc, v3, v4, v3
	v_rcp_f32_e32 v10, v5
	v_fma_f32 v11, -v5, v10, 1.0
	v_fmac_f32_e32 v10, v11, v10
	v_mul_f32_e32 v11, v6, v10
	v_fma_f32 v12, -v5, v11, v6
	v_fmac_f32_e32 v11, v12, v10
	v_fma_f32 v5, -v5, v11, v6
	v_div_fmas_f32 v5, v5, v10, v11
	v_div_fixup_f32 v5, v5, v4, v3
	v_fmac_f32_e32 v4, v3, v5
	v_div_scale_f32 v3, s[20:21], v4, v4, 1.0
	v_div_scale_f32 v6, vcc, 1.0, v4, 1.0
	v_rcp_f32_e32 v10, v3
	v_fma_f32 v11, -v3, v10, 1.0
	v_fmac_f32_e32 v10, v11, v10
	v_mul_f32_e32 v11, v6, v10
	v_fma_f32 v12, -v3, v11, v6
	v_fmac_f32_e32 v11, v12, v10
	v_fma_f32 v3, -v3, v11, v6
	v_div_fmas_f32 v3, v3, v10, v11
	v_add_f32_e32 v6, 0, v5
	v_fma_f32 v10, v5, 0, -1.0
	v_div_fixup_f32 v3, v3, v4, 1.0
	v_mul_f32_e32 v5, v6, v3
	v_mul_f32_e32 v6, v10, v3
                                        ; implicit-def: $vgpr3_vgpr4
.LBB139_10:
	s_andn2_saveexec_b64 s[0:1], s[0:1]
	s_cbranch_execz .LBB139_12
; %bb.11:
	v_div_scale_f32 v5, s[20:21], v3, v3, v4
	v_div_scale_f32 v6, vcc, v4, v3, v4
	v_rcp_f32_e32 v10, v5
	v_fma_f32 v11, -v5, v10, 1.0
	v_fmac_f32_e32 v10, v11, v10
	v_mul_f32_e32 v11, v6, v10
	v_fma_f32 v12, -v5, v11, v6
	v_fmac_f32_e32 v11, v12, v10
	v_fma_f32 v5, -v5, v11, v6
	v_div_fmas_f32 v5, v5, v10, v11
	v_div_fixup_f32 v6, v5, v3, v4
	v_fmac_f32_e32 v3, v4, v6
	v_div_scale_f32 v4, s[20:21], v3, v3, 1.0
	v_div_scale_f32 v5, vcc, 1.0, v3, 1.0
	v_rcp_f32_e32 v10, v4
	v_fma_f32 v11, -v4, v10, 1.0
	v_fmac_f32_e32 v10, v11, v10
	v_mul_f32_e32 v11, v5, v10
	v_fma_f32 v12, -v4, v11, v5
	v_fmac_f32_e32 v11, v12, v10
	v_fma_f32 v4, -v4, v11, v5
	v_div_fmas_f32 v4, v4, v10, v11
	v_fma_f32 v5, v6, 0, 1.0
	v_div_fixup_f32 v3, v4, v3, 1.0
	v_mul_f32_e32 v5, v5, v3
	v_mul_f32_e64 v6, -v6, v3
.LBB139_12:
	s_or_b64 exec, exec, s[0:1]
	s_mov_b64 s[0:1], 0
	ds_write_b64 v9, v[5:6]
.LBB139_13:
	s_and_b64 vcc, exec, s[0:1]
	s_cbranch_vccz .LBB139_15
; %bb.14:
	v_add_u32_e32 v5, v7, v8
	v_mov_b32_e32 v3, 1.0
	v_mov_b32_e32 v4, 0
	ds_write_b64 v5, v[3:4]
.LBB139_15:
	s_or_b64 exec, exec, s[18:19]
	s_lshl_b32 s13, s8, 3
	s_add_i32 s25, s25, -1
	s_sub_i32 s0, s15, s13
	s_cmp_ge_u32 s8, s25
	s_cselect_b32 s0, s0, 8
	v_cmp_gt_i32_e32 vcc, s0, v0
	s_waitcnt lgkmcnt(0)
	; wave barrier
	s_and_saveexec_b64 s[0:1], vcc
	s_cbranch_execz .LBB139_58
; %bb.16:
	s_load_dwordx2 s[0:1], s[4:5], 0x4
	s_load_dword s8, s[6:7], 0x50
	s_load_dwordx2 s[14:15], s[6:7], 0x58
	v_mov_b32_e32 v3, 0x200
	s_waitcnt lgkmcnt(0)
	s_lshr_b32 s0, s0, 16
	s_mul_i32 s0, s0, s1
	v_mul_u32_u24_e32 v1, s1, v1
	v_mul_u32_u24_e32 v4, s0, v0
	v_add3_u32 v1, v4, v1, v2
	s_mul_i32 s0, s15, s9
	s_mul_hi_u32 s1, s14, s9
	v_add_u32_e32 v0, s13, v0
	v_lshl_add_u32 v6, v1, 6, v3
	s_add_i32 s1, s1, s0
	s_mul_i32 s0, s14, s9
	v_mad_i64_i32 v[0:1], s[4:5], s8, v0, 0
	s_lshl_b64 s[0:1], s[0:1], 3
	s_add_u32 s6, s2, s0
	s_addc_u32 s7, s3, s1
	s_lshl_b64 s[4:5], s[16:17], 3
	s_add_u32 s6, s6, s4
	v_lshlrev_b64 v[0:1], 3, v[0:1]
	s_addc_u32 s7, s7, s5
	v_mov_b32_e32 v2, s7
	v_add_co_u32_e32 v7, vcc, s6, v0
	v_addc_co_u32_e32 v8, vcc, v2, v1, vcc
	s_cmpk_eq_i32 s12, 0x6f
	s_mov_b64 s[6:7], -1
	s_cbranch_scc1 .LBB139_38
; %bb.17:
	s_add_u32 s6, s2, s4
	s_addc_u32 s7, s3, s5
	s_add_u32 s6, s6, s0
	s_addc_u32 s7, s7, s1
	v_mov_b32_e32 v2, s7
	v_add_co_u32_e32 v3, vcc, s6, v0
	v_addc_co_u32_e32 v2, vcc, v2, v1, vcc
	v_add_co_u32_e32 v9, vcc, 4, v3
	s_mov_b32 s7, 0
	v_addc_co_u32_e32 v10, vcc, 0, v2, vcc
	s_mov_b32 s8, s7
	s_mov_b32 s12, s7
	s_branch .LBB139_19
.LBB139_18:                             ;   in Loop: Header=BB139_19 Depth=1
	s_cmp_ge_i32 s12, s24
	s_cselect_b64 s[14:15], -1, 0
	s_add_i32 s8, s8, 1
	s_cmp_eq_u32 s8, 3
	s_cselect_b64 s[16:17], -1, 0
	s_or_b64 s[14:15], s[14:15], s[16:17]
	s_andn2_b64 vcc, exec, s[14:15]
	s_cbranch_vccz .LBB139_37
.LBB139_19:                             ; =>This Loop Header: Depth=1
                                        ;     Child Loop BB139_22 Depth 2
                                        ;       Child Loop BB139_23 Depth 3
                                        ;       Child Loop BB139_26 Depth 3
                                        ;         Child Loop BB139_27 Depth 4
                                        ;       Child Loop BB139_31 Depth 3
                                        ;         Child Loop BB139_33 Depth 4
	s_mov_b32 s9, s7
	s_lshl_b64 s[14:15], s[8:9], 2
	s_getpc_b64 s[16:17]
	s_add_u32 s16, s16, __const._ZL30rocblas_trsm_small_left_deviceILi8ELi8ELb0E19rocblas_complex_numIfES1_PKS1_PS1_Ev13rocblas_fill_18rocblas_operation_17rocblas_diagonal_iiT3_T4_lilT5_lili.step_sizes@rel32@lo+4
	s_addc_u32 s17, s17, __const._ZL30rocblas_trsm_small_left_deviceILi8ELi8ELb0E19rocblas_complex_numIfES1_PKS1_PS1_Ev13rocblas_fill_18rocblas_operation_17rocblas_diagonal_iiT3_T4_lilT5_lili.step_sizes@rel32@hi+12
	s_add_u32 s14, s16, s14
	s_addc_u32 s15, s17, s15
	s_load_dword s14, s[14:15], 0x0
	s_waitcnt lgkmcnt(0)
	s_add_i32 s9, s14, -1
	s_add_i32 s6, s9, s12
	s_cmp_ge_i32 s6, s24
	s_cbranch_scc1 .LBB139_18
; %bb.20:                               ;   in Loop: Header=BB139_19 Depth=1
	s_ashr_i32 s13, s12, 31
	s_lshl_b64 s[16:17], s[12:13], 3
	v_mov_b32_e32 v3, s17
	v_add_co_u32_e32 v2, vcc, s16, v9
	s_ashr_i32 s15, s14, 31
	s_max_i32 s22, s14, 1
	v_addc_co_u32_e32 v3, vcc, v10, v3, vcc
	s_lshl_b64 s[16:17], s[14:15], 3
	s_lshl_b32 s13, s12, 6
	s_lshl_b32 s15, s14, 6
	s_mul_i32 s23, s12, 0x48
	s_mul_i32 s25, s14, 0x48
	s_branch .LBB139_22
.LBB139_21:                             ;   in Loop: Header=BB139_22 Depth=2
	s_add_i32 s12, s12, s14
	s_add_i32 s6, s9, s12
	v_mov_b32_e32 v4, s17
	s_add_i32 s13, s13, s15
	s_add_i32 s23, s23, s25
	v_add_co_u32_e32 v2, vcc, s16, v2
	s_cmp_ge_i32 s6, s24
	v_addc_co_u32_e32 v3, vcc, v3, v4, vcc
	s_cbranch_scc1 .LBB139_18
.LBB139_22:                             ;   Parent Loop BB139_19 Depth=1
                                        ; =>  This Loop Header: Depth=2
                                        ;       Child Loop BB139_23 Depth 3
                                        ;       Child Loop BB139_26 Depth 3
                                        ;         Child Loop BB139_27 Depth 4
                                        ;       Child Loop BB139_31 Depth 3
                                        ;         Child Loop BB139_33 Depth 4
	v_mov_b32_e32 v5, v3
	v_mov_b32_e32 v11, v6
	;; [unrolled: 1-line block ×3, first 2 shown]
	s_mov_b32 s6, s22
.LBB139_23:                             ;   Parent Loop BB139_19 Depth=1
                                        ;     Parent Loop BB139_22 Depth=2
                                        ; =>    This Inner Loop Header: Depth=3
	global_load_dwordx2 v[12:13], v[4:5], off offset:-4
	s_add_i32 s6, s6, -1
	v_add_co_u32_e32 v4, vcc, 8, v4
	v_addc_co_u32_e32 v5, vcc, 0, v5, vcc
	s_cmp_eq_u32 s6, 0
	s_waitcnt vmcnt(0)
	v_mul_f32_e32 v15, s11, v13
	v_mul_f32_e32 v14, s10, v13
	v_fma_f32 v13, v12, s10, -v15
	v_fmac_f32_e32 v14, s11, v12
	ds_write_b64 v11, v[13:14]
	v_add_u32_e32 v11, 8, v11
	s_cbranch_scc0 .LBB139_23
; %bb.24:                               ;   in Loop: Header=BB139_22 Depth=2
	s_cmp_lt_i32 s12, 1
	s_cbranch_scc1 .LBB139_29
; %bb.25:                               ;   in Loop: Header=BB139_22 Depth=2
	s_mov_b32 s6, 0
	s_mov_b32 s18, s13
.LBB139_26:                             ;   Parent Loop BB139_19 Depth=1
                                        ;     Parent Loop BB139_22 Depth=2
                                        ; =>    This Loop Header: Depth=3
                                        ;         Child Loop BB139_27 Depth 4
	s_lshl_b64 s[20:21], s[6:7], 3
	v_mov_b32_e32 v5, s21
	v_add_co_u32_e32 v4, vcc, s20, v7
	v_addc_co_u32_e32 v5, vcc, v8, v5, vcc
	global_load_dwordx2 v[4:5], v[4:5], off
	v_mov_b32_e32 v11, v6
	s_mov_b32 s19, s18
	s_mov_b32 s20, s22
.LBB139_27:                             ;   Parent Loop BB139_19 Depth=1
                                        ;     Parent Loop BB139_22 Depth=2
                                        ;       Parent Loop BB139_26 Depth=3
                                        ; =>      This Inner Loop Header: Depth=4
	v_mov_b32_e32 v14, s19
	ds_read_b64 v[14:15], v14
	ds_read_b64 v[12:13], v11
	s_add_i32 s20, s20, -1
	s_add_i32 s19, s19, 64
	s_cmp_eq_u32 s20, 0
	s_waitcnt vmcnt(0) lgkmcnt(1)
	v_mul_f32_e32 v16, v15, v5
	v_mul_f32_e32 v15, v15, v4
	v_fma_f32 v16, v14, v4, -v16
	v_fmac_f32_e32 v15, v14, v5
	s_waitcnt lgkmcnt(0)
	v_sub_f32_e32 v12, v12, v16
	v_sub_f32_e32 v13, v13, v15
	ds_write_b64 v11, v[12:13]
	v_add_u32_e32 v11, 8, v11
	s_cbranch_scc0 .LBB139_27
; %bb.28:                               ;   in Loop: Header=BB139_26 Depth=3
	s_add_i32 s6, s6, 1
	s_add_i32 s18, s18, 8
	s_cmp_eq_u32 s6, s12
	s_cbranch_scc0 .LBB139_26
.LBB139_29:                             ;   in Loop: Header=BB139_22 Depth=2
	s_mov_b32 s6, 0
	s_mov_b32 s26, s23
	s_branch .LBB139_31
.LBB139_30:                             ;   in Loop: Header=BB139_31 Depth=3
	s_mul_i32 s19, s18, 0x48
	v_mov_b32_e32 v12, s19
	ds_read_b64 v[12:13], v12
	s_ashr_i32 s19, s18, 31
	s_lshl_b64 s[18:19], s[18:19], 3
	s_add_i32 s6, s6, 1
	s_add_i32 s26, s26, 64
	s_waitcnt lgkmcnt(0)
	v_mul_f32_e32 v14, v13, v5
	v_mul_f32_e32 v15, v12, v5
	v_fma_f32 v14, v12, v4, -v14
	v_fmac_f32_e32 v15, v13, v4
	v_mov_b32_e32 v5, s19
	v_add_co_u32_e32 v4, vcc, s18, v7
	v_addc_co_u32_e32 v5, vcc, v8, v5, vcc
	s_cmp_eq_u32 s6, s22
	ds_write_b64 v11, v[14:15]
	global_store_dwordx2 v[4:5], v[14:15], off
	s_cbranch_scc1 .LBB139_21
.LBB139_31:                             ;   Parent Loop BB139_19 Depth=1
                                        ;     Parent Loop BB139_22 Depth=2
                                        ; =>    This Loop Header: Depth=3
                                        ;         Child Loop BB139_33 Depth 4
	s_cmp_lg_u32 s6, 0
	v_lshl_add_u32 v11, s6, 3, v6
	s_cbranch_scc0 .LBB139_35
; %bb.32:                               ;   in Loop: Header=BB139_31 Depth=3
	ds_read_b64 v[4:5], v11
	s_add_i32 s18, s6, s12
	s_mov_b32 s19, s26
	v_mov_b32_e32 v12, v6
	s_mov_b32 s20, s6
.LBB139_33:                             ;   Parent Loop BB139_19 Depth=1
                                        ;     Parent Loop BB139_22 Depth=2
                                        ;       Parent Loop BB139_31 Depth=3
                                        ; =>      This Inner Loop Header: Depth=4
	v_mov_b32_e32 v15, s19
	ds_read_b64 v[13:14], v12
	ds_read_b64 v[15:16], v15
	s_add_i32 s20, s20, -1
	s_add_i32 s19, s19, 8
	v_add_u32_e32 v12, 8, v12
	s_cmp_eq_u32 s20, 0
	s_waitcnt lgkmcnt(0)
	v_mul_f32_e32 v17, v16, v14
	v_mul_f32_e32 v14, v15, v14
	v_fma_f32 v15, v15, v13, -v17
	v_fmac_f32_e32 v14, v16, v13
	v_sub_f32_e32 v4, v4, v15
	v_sub_f32_e32 v5, v5, v14
	ds_write_b64 v11, v[4:5]
	s_cbranch_scc0 .LBB139_33
; %bb.34:                               ;   in Loop: Header=BB139_31 Depth=3
	s_branch .LBB139_30
.LBB139_35:                             ;   in Loop: Header=BB139_31 Depth=3
                                        ; implicit-def: $vgpr4
                                        ; implicit-def: $sgpr18
	s_cbranch_execz .LBB139_30
; %bb.36:                               ;   in Loop: Header=BB139_31 Depth=3
	ds_read_b64 v[4:5], v6
	s_mov_b32 s18, s12
	s_branch .LBB139_30
.LBB139_37:
	s_mov_b64 s[6:7], 0
.LBB139_38:
	s_and_b64 vcc, exec, s[6:7]
	s_cbranch_vccz .LBB139_58
; %bb.39:
	s_add_i32 s12, s24, -1
	s_add_u32 s2, s2, s4
	s_addc_u32 s3, s3, s5
	s_add_u32 s0, s2, s0
	s_addc_u32 s1, s3, s1
	v_mov_b32_e32 v2, s1
	v_add_co_u32_e32 v0, vcc, s0, v0
	v_addc_co_u32_e32 v1, vcc, v2, v1, vcc
	v_add_co_u32_e32 v2, vcc, 4, v0
	s_lshl_b32 s0, s24, 6
	s_mov_b32 s1, 0
	v_addc_co_u32_e32 v3, vcc, 0, v1, vcc
	s_sub_i32 s13, s0, 64
	s_mov_b32 s2, s12
	s_mov_b32 s0, s1
	s_branch .LBB139_41
.LBB139_40:                             ;   in Loop: Header=BB139_41 Depth=1
	s_cmp_lt_i32 s2, 0
	s_cselect_b64 s[4:5], -1, 0
	s_add_i32 s0, s0, 1
	s_cmp_eq_u32 s0, 3
	s_cselect_b64 s[6:7], -1, 0
	s_or_b64 s[4:5], s[4:5], s[6:7]
	s_and_b64 vcc, exec, s[4:5]
	s_cbranch_vccnz .LBB139_58
.LBB139_41:                             ; =>This Loop Header: Depth=1
                                        ;     Child Loop BB139_44 Depth 2
                                        ;       Child Loop BB139_45 Depth 3
                                        ;       Child Loop BB139_47 Depth 3
                                        ;         Child Loop BB139_48 Depth 4
                                        ;       Child Loop BB139_52 Depth 3
                                        ;         Child Loop BB139_54 Depth 4
	s_lshl_b64 s[4:5], s[0:1], 2
	s_getpc_b64 s[6:7]
	s_add_u32 s6, s6, __const._ZL30rocblas_trsm_small_left_deviceILi8ELi8ELb0E19rocblas_complex_numIfES1_PKS1_PS1_Ev13rocblas_fill_18rocblas_operation_17rocblas_diagonal_iiT3_T4_lilT5_lili.step_sizes@rel32@lo+4
	s_addc_u32 s7, s7, __const._ZL30rocblas_trsm_small_left_deviceILi8ELi8ELb0E19rocblas_complex_numIfES1_PKS1_PS1_Ev13rocblas_fill_18rocblas_operation_17rocblas_diagonal_iiT3_T4_lilT5_lili.step_sizes@rel32@hi+12
	s_add_u32 s4, s6, s4
	s_addc_u32 s5, s7, s5
	s_load_dword s14, s[4:5], 0x0
	s_waitcnt lgkmcnt(0)
	s_add_i32 s15, s14, -1
	s_cmp_lt_i32 s2, s15
	s_cbranch_scc1 .LBB139_40
; %bb.42:                               ;   in Loop: Header=BB139_41 Depth=1
	s_lshl_b32 s3, s2, 3
	s_add_i32 s17, s13, s3
	s_lshl_b32 s3, s14, 3
	s_max_i32 s16, s14, 1
	s_sub_i32 s18, 0, s3
	s_mul_i32 s19, s2, 0x48
	s_mul_i32 s20, s14, 0xffffffb8
	s_branch .LBB139_44
.LBB139_43:                             ;   in Loop: Header=BB139_44 Depth=2
	s_sub_i32 s2, s2, s14
	s_add_i32 s17, s17, s18
	s_add_i32 s19, s19, s20
	s_cmp_lt_i32 s2, s15
	s_cbranch_scc1 .LBB139_40
.LBB139_44:                             ;   Parent Loop BB139_41 Depth=1
                                        ; =>  This Loop Header: Depth=2
                                        ;       Child Loop BB139_45 Depth 3
                                        ;       Child Loop BB139_47 Depth 3
                                        ;         Child Loop BB139_48 Depth 4
                                        ;       Child Loop BB139_52 Depth 3
                                        ;         Child Loop BB139_54 Depth 4
	s_ashr_i32 s3, s2, 31
	s_lshl_b64 s[4:5], s[2:3], 3
	v_mov_b32_e32 v1, s5
	v_add_co_u32_e32 v0, vcc, s4, v2
	v_addc_co_u32_e32 v1, vcc, v3, v1, vcc
	v_mov_b32_e32 v4, v6
	s_mov_b32 s4, s16
.LBB139_45:                             ;   Parent Loop BB139_41 Depth=1
                                        ;     Parent Loop BB139_44 Depth=2
                                        ; =>    This Inner Loop Header: Depth=3
	global_load_dwordx2 v[9:10], v[0:1], off offset:-4
	s_add_i32 s4, s4, -1
	v_add_co_u32_e32 v0, vcc, -8, v0
	v_addc_co_u32_e32 v1, vcc, -1, v1, vcc
	s_cmp_eq_u32 s4, 0
	s_waitcnt vmcnt(0)
	v_mul_f32_e32 v5, s11, v10
	v_mul_f32_e32 v11, s10, v10
	v_fma_f32 v10, v9, s10, -v5
	v_fmac_f32_e32 v11, s11, v9
	ds_write_b64 v4, v[10:11]
	v_add_u32_e32 v4, 8, v4
	s_cbranch_scc0 .LBB139_45
; %bb.46:                               ;   in Loop: Header=BB139_44 Depth=2
	s_cmp_le_i32 s12, s2
	s_mov_b32 s6, s17
	s_mov_b32 s4, s12
	s_cbranch_scc1 .LBB139_50
.LBB139_47:                             ;   Parent Loop BB139_41 Depth=1
                                        ;     Parent Loop BB139_44 Depth=2
                                        ; =>    This Loop Header: Depth=3
                                        ;         Child Loop BB139_48 Depth 4
	s_ashr_i32 s5, s4, 31
	s_lshl_b64 s[8:9], s[4:5], 3
	v_mov_b32_e32 v1, s9
	v_add_co_u32_e32 v0, vcc, s8, v7
	v_addc_co_u32_e32 v1, vcc, v8, v1, vcc
	global_load_dwordx2 v[0:1], v[0:1], off
	v_mov_b32_e32 v4, v6
	s_mov_b32 s5, s6
	s_mov_b32 s7, s16
.LBB139_48:                             ;   Parent Loop BB139_41 Depth=1
                                        ;     Parent Loop BB139_44 Depth=2
                                        ;       Parent Loop BB139_47 Depth=3
                                        ; =>      This Inner Loop Header: Depth=4
	v_mov_b32_e32 v5, s5
	ds_read_b64 v[11:12], v5
	ds_read_b64 v[9:10], v4
	s_add_i32 s7, s7, -1
	s_add_i32 s5, s5, -8
	s_cmp_eq_u32 s7, 0
	s_waitcnt vmcnt(0) lgkmcnt(1)
	v_mul_f32_e32 v5, v12, v1
	v_mul_f32_e32 v12, v12, v0
	v_fma_f32 v5, v11, v0, -v5
	v_fmac_f32_e32 v12, v11, v1
	s_waitcnt lgkmcnt(0)
	v_sub_f32_e32 v9, v9, v5
	v_sub_f32_e32 v10, v10, v12
	ds_write_b64 v4, v[9:10]
	v_add_u32_e32 v4, 8, v4
	s_cbranch_scc0 .LBB139_48
; %bb.49:                               ;   in Loop: Header=BB139_47 Depth=3
	s_add_i32 s4, s4, -1
	s_sub_i32 s6, s6, 64
	s_cmp_le_i32 s4, s2
	s_cbranch_scc0 .LBB139_47
.LBB139_50:                             ;   in Loop: Header=BB139_44 Depth=2
	s_mov_b32 s21, 0
	s_mov_b32 s22, s19
	s_branch .LBB139_52
.LBB139_51:                             ;   in Loop: Header=BB139_52 Depth=3
	s_mulk_i32 s6, 0x48
	v_mov_b32_e32 v5, s6
	ds_read_b64 v[9:10], v5
	s_lshl_b64 s[4:5], s[4:5], 3
	v_mov_b32_e32 v5, s5
	s_add_i32 s21, s21, 1
	s_add_i32 s22, s22, -8
	s_waitcnt lgkmcnt(0)
	v_mul_f32_e32 v11, v10, v1
	v_mul_f32_e32 v12, v9, v1
	v_fma_f32 v11, v9, v0, -v11
	v_fmac_f32_e32 v12, v10, v0
	v_add_co_u32_e32 v0, vcc, s4, v7
	v_addc_co_u32_e32 v1, vcc, v8, v5, vcc
	s_cmp_eq_u32 s21, s16
	ds_write_b64 v4, v[11:12]
	global_store_dwordx2 v[0:1], v[11:12], off
	s_cbranch_scc1 .LBB139_43
.LBB139_52:                             ;   Parent Loop BB139_41 Depth=1
                                        ;     Parent Loop BB139_44 Depth=2
                                        ; =>    This Loop Header: Depth=3
                                        ;         Child Loop BB139_54 Depth 4
	s_cmp_lg_u32 s21, 0
	v_lshl_add_u32 v4, s21, 3, v6
	s_cbranch_scc0 .LBB139_56
; %bb.53:                               ;   in Loop: Header=BB139_52 Depth=3
	ds_read_b64 v[0:1], v4
	v_mov_b32_e32 v5, v6
	s_mov_b32 s4, s22
	s_mov_b32 s5, s21
.LBB139_54:                             ;   Parent Loop BB139_41 Depth=1
                                        ;     Parent Loop BB139_44 Depth=2
                                        ;       Parent Loop BB139_52 Depth=3
                                        ; =>      This Inner Loop Header: Depth=4
	v_mov_b32_e32 v11, s4
	ds_read_b64 v[9:10], v5
	ds_read_b64 v[11:12], v11
	s_add_i32 s5, s5, -1
	s_sub_i32 s4, s4, 64
	v_add_u32_e32 v5, 8, v5
	s_cmp_eq_u32 s5, 0
	s_waitcnt lgkmcnt(0)
	v_mul_f32_e32 v13, v12, v10
	v_mul_f32_e32 v10, v11, v10
	v_fma_f32 v11, v11, v9, -v13
	v_fmac_f32_e32 v10, v12, v9
	v_sub_f32_e32 v0, v0, v11
	v_sub_f32_e32 v1, v1, v10
	ds_write_b64 v4, v[0:1]
	s_cbranch_scc0 .LBB139_54
; %bb.55:                               ;   in Loop: Header=BB139_52 Depth=3
	s_sub_i32 s6, s2, s21
	s_ashr_i32 s7, s6, 31
	s_mov_b64 s[4:5], s[6:7]
	s_branch .LBB139_51
.LBB139_56:                             ;   in Loop: Header=BB139_52 Depth=3
                                        ; implicit-def: $vgpr0
                                        ; implicit-def: $sgpr6
                                        ; implicit-def: $sgpr4_sgpr5
	s_cbranch_execz .LBB139_51
; %bb.57:                               ;   in Loop: Header=BB139_52 Depth=3
	ds_read_b64 v[0:1], v6
	s_mov_b64 s[4:5], s[2:3]
	s_mov_b32 s6, s2
	s_branch .LBB139_51
.LBB139_58:
	s_endpgm
	.section	.rodata,"a",@progbits
	.p2align	6, 0x0
	.amdhsa_kernel _ZL30rocblas_trsm_small_left_deviceILi8ELi8ELb0E19rocblas_complex_numIfES1_PKS1_PS1_Ev13rocblas_fill_18rocblas_operation_17rocblas_diagonal_iiT3_T4_lilT5_lili
		.amdhsa_group_segment_fixed_size 1024
		.amdhsa_private_segment_fixed_size 0
		.amdhsa_kernarg_size 360
		.amdhsa_user_sgpr_count 8
		.amdhsa_user_sgpr_private_segment_buffer 1
		.amdhsa_user_sgpr_dispatch_ptr 1
		.amdhsa_user_sgpr_queue_ptr 0
		.amdhsa_user_sgpr_kernarg_segment_ptr 1
		.amdhsa_user_sgpr_dispatch_id 0
		.amdhsa_user_sgpr_flat_scratch_init 0
		.amdhsa_user_sgpr_private_segment_size 0
		.amdhsa_uses_dynamic_stack 0
		.amdhsa_system_sgpr_private_segment_wavefront_offset 0
		.amdhsa_system_sgpr_workgroup_id_x 1
		.amdhsa_system_sgpr_workgroup_id_y 0
		.amdhsa_system_sgpr_workgroup_id_z 1
		.amdhsa_system_sgpr_workgroup_info 0
		.amdhsa_system_vgpr_workitem_id 2
		.amdhsa_next_free_vgpr 18
		.amdhsa_next_free_sgpr 32
		.amdhsa_reserve_vcc 1
		.amdhsa_reserve_flat_scratch 0
		.amdhsa_float_round_mode_32 0
		.amdhsa_float_round_mode_16_64 0
		.amdhsa_float_denorm_mode_32 3
		.amdhsa_float_denorm_mode_16_64 3
		.amdhsa_dx10_clamp 1
		.amdhsa_ieee_mode 1
		.amdhsa_fp16_overflow 0
		.amdhsa_exception_fp_ieee_invalid_op 0
		.amdhsa_exception_fp_denorm_src 0
		.amdhsa_exception_fp_ieee_div_zero 0
		.amdhsa_exception_fp_ieee_overflow 0
		.amdhsa_exception_fp_ieee_underflow 0
		.amdhsa_exception_fp_ieee_inexact 0
		.amdhsa_exception_int_div_zero 0
	.end_amdhsa_kernel
	.section	.text._ZL30rocblas_trsm_small_left_deviceILi8ELi8ELb0E19rocblas_complex_numIfES1_PKS1_PS1_Ev13rocblas_fill_18rocblas_operation_17rocblas_diagonal_iiT3_T4_lilT5_lili,"axG",@progbits,_ZL30rocblas_trsm_small_left_deviceILi8ELi8ELb0E19rocblas_complex_numIfES1_PKS1_PS1_Ev13rocblas_fill_18rocblas_operation_17rocblas_diagonal_iiT3_T4_lilT5_lili,comdat
.Lfunc_end139:
	.size	_ZL30rocblas_trsm_small_left_deviceILi8ELi8ELb0E19rocblas_complex_numIfES1_PKS1_PS1_Ev13rocblas_fill_18rocblas_operation_17rocblas_diagonal_iiT3_T4_lilT5_lili, .Lfunc_end139-_ZL30rocblas_trsm_small_left_deviceILi8ELi8ELb0E19rocblas_complex_numIfES1_PKS1_PS1_Ev13rocblas_fill_18rocblas_operation_17rocblas_diagonal_iiT3_T4_lilT5_lili
                                        ; -- End function
	.set _ZL30rocblas_trsm_small_left_deviceILi8ELi8ELb0E19rocblas_complex_numIfES1_PKS1_PS1_Ev13rocblas_fill_18rocblas_operation_17rocblas_diagonal_iiT3_T4_lilT5_lili.num_vgpr, 18
	.set _ZL30rocblas_trsm_small_left_deviceILi8ELi8ELb0E19rocblas_complex_numIfES1_PKS1_PS1_Ev13rocblas_fill_18rocblas_operation_17rocblas_diagonal_iiT3_T4_lilT5_lili.num_agpr, 0
	.set _ZL30rocblas_trsm_small_left_deviceILi8ELi8ELb0E19rocblas_complex_numIfES1_PKS1_PS1_Ev13rocblas_fill_18rocblas_operation_17rocblas_diagonal_iiT3_T4_lilT5_lili.numbered_sgpr, 32
	.set _ZL30rocblas_trsm_small_left_deviceILi8ELi8ELb0E19rocblas_complex_numIfES1_PKS1_PS1_Ev13rocblas_fill_18rocblas_operation_17rocblas_diagonal_iiT3_T4_lilT5_lili.num_named_barrier, 0
	.set _ZL30rocblas_trsm_small_left_deviceILi8ELi8ELb0E19rocblas_complex_numIfES1_PKS1_PS1_Ev13rocblas_fill_18rocblas_operation_17rocblas_diagonal_iiT3_T4_lilT5_lili.private_seg_size, 0
	.set _ZL30rocblas_trsm_small_left_deviceILi8ELi8ELb0E19rocblas_complex_numIfES1_PKS1_PS1_Ev13rocblas_fill_18rocblas_operation_17rocblas_diagonal_iiT3_T4_lilT5_lili.uses_vcc, 1
	.set _ZL30rocblas_trsm_small_left_deviceILi8ELi8ELb0E19rocblas_complex_numIfES1_PKS1_PS1_Ev13rocblas_fill_18rocblas_operation_17rocblas_diagonal_iiT3_T4_lilT5_lili.uses_flat_scratch, 0
	.set _ZL30rocblas_trsm_small_left_deviceILi8ELi8ELb0E19rocblas_complex_numIfES1_PKS1_PS1_Ev13rocblas_fill_18rocblas_operation_17rocblas_diagonal_iiT3_T4_lilT5_lili.has_dyn_sized_stack, 0
	.set _ZL30rocblas_trsm_small_left_deviceILi8ELi8ELb0E19rocblas_complex_numIfES1_PKS1_PS1_Ev13rocblas_fill_18rocblas_operation_17rocblas_diagonal_iiT3_T4_lilT5_lili.has_recursion, 0
	.set _ZL30rocblas_trsm_small_left_deviceILi8ELi8ELb0E19rocblas_complex_numIfES1_PKS1_PS1_Ev13rocblas_fill_18rocblas_operation_17rocblas_diagonal_iiT3_T4_lilT5_lili.has_indirect_call, 0
	.section	.AMDGPU.csdata,"",@progbits
; Kernel info:
; codeLenInByte = 2368
; TotalNumSgprs: 36
; NumVgprs: 18
; ScratchSize: 0
; MemoryBound: 0
; FloatMode: 240
; IeeeMode: 1
; LDSByteSize: 1024 bytes/workgroup (compile time only)
; SGPRBlocks: 4
; VGPRBlocks: 4
; NumSGPRsForWavesPerEU: 36
; NumVGPRsForWavesPerEU: 18
; Occupancy: 10
; WaveLimiterHint : 0
; COMPUTE_PGM_RSRC2:SCRATCH_EN: 0
; COMPUTE_PGM_RSRC2:USER_SGPR: 8
; COMPUTE_PGM_RSRC2:TRAP_HANDLER: 0
; COMPUTE_PGM_RSRC2:TGID_X_EN: 1
; COMPUTE_PGM_RSRC2:TGID_Y_EN: 0
; COMPUTE_PGM_RSRC2:TGID_Z_EN: 1
; COMPUTE_PGM_RSRC2:TIDIG_COMP_CNT: 2
	.section	.text._ZL38rocblas_trsm_small_left_device_sharedBILi8ELi8ELb1E19rocblas_complex_numIfES1_PKS1_PS1_Ev13rocblas_fill_18rocblas_operation_17rocblas_diagonal_iiT3_T4_lilT5_lili,"axG",@progbits,_ZL38rocblas_trsm_small_left_device_sharedBILi8ELi8ELb1E19rocblas_complex_numIfES1_PKS1_PS1_Ev13rocblas_fill_18rocblas_operation_17rocblas_diagonal_iiT3_T4_lilT5_lili,comdat
	.globl	_ZL38rocblas_trsm_small_left_device_sharedBILi8ELi8ELb1E19rocblas_complex_numIfES1_PKS1_PS1_Ev13rocblas_fill_18rocblas_operation_17rocblas_diagonal_iiT3_T4_lilT5_lili ; -- Begin function _ZL38rocblas_trsm_small_left_device_sharedBILi8ELi8ELb1E19rocblas_complex_numIfES1_PKS1_PS1_Ev13rocblas_fill_18rocblas_operation_17rocblas_diagonal_iiT3_T4_lilT5_lili
	.p2align	8
	.type	_ZL38rocblas_trsm_small_left_device_sharedBILi8ELi8ELb1E19rocblas_complex_numIfES1_PKS1_PS1_Ev13rocblas_fill_18rocblas_operation_17rocblas_diagonal_iiT3_T4_lilT5_lili,@function
_ZL38rocblas_trsm_small_left_device_sharedBILi8ELi8ELb1E19rocblas_complex_numIfES1_PKS1_PS1_Ev13rocblas_fill_18rocblas_operation_17rocblas_diagonal_iiT3_T4_lilT5_lili: ; @_ZL38rocblas_trsm_small_left_device_sharedBILi8ELi8ELb1E19rocblas_complex_numIfES1_PKS1_PS1_Ev13rocblas_fill_18rocblas_operation_17rocblas_diagonal_iiT3_T4_lilT5_lili
; %bb.0:
	s_load_dwordx4 s[12:15], s[6:7], 0x4
	s_load_dwordx2 s[18:19], s[6:7], 0x14
	s_load_dwordx4 s[0:3], s[6:7], 0x38
	s_load_dwordx2 s[10:11], s[6:7], 0x48
	s_load_dword s25, s[6:7], 0x68
	s_waitcnt lgkmcnt(0)
	s_min_i32 s24, s14, 8
	v_cmp_gt_i32_e32 vcc, s24, v0
	s_and_saveexec_b64 s[16:17], vcc
	s_cbranch_execz .LBB140_15
; %bb.1:
	s_load_dword s22, s[6:7], 0x30
	s_load_dwordx4 s[28:31], s[6:7], 0x20
	s_mul_i32 s1, s1, s9
	s_mul_hi_u32 s26, s0, s9
	s_mul_i32 s0, s0, s9
	s_waitcnt lgkmcnt(0)
	s_ashr_i32 s23, s22, 31
	s_cmpk_lg_i32 s12, 0x71
	s_cselect_b64 s[20:21], -1, 0
	s_add_i32 s1, s26, s1
	s_lshl_b64 s[0:1], s[0:1], 3
	s_lshl_b64 s[26:27], s[30:31], 3
	s_add_u32 s0, s0, s26
	s_addc_u32 s1, s1, s27
	s_add_u32 s0, s28, s0
	v_lshlrev_b32_e32 v7, 3, v0
	s_addc_u32 s1, s29, s1
	v_mov_b32_e32 v3, s1
	v_add_co_u32_e32 v4, vcc, s0, v7
	v_addc_co_u32_e32 v5, vcc, 0, v3, vcc
	v_add_co_u32_e32 v3, vcc, 4, v4
	s_lshl_b64 s[0:1], s[22:23], 3
	v_addc_co_u32_e32 v4, vcc, 0, v5, vcc
	v_mov_b32_e32 v8, s1
	v_mov_b32_e32 v9, v7
	s_mov_b32 s1, s24
	s_branch .LBB140_3
.LBB140_2:                              ;   in Loop: Header=BB140_3 Depth=1
	global_load_dword v5, v[3:4], off offset:-4
	s_add_i32 s1, s1, -1
	v_add_co_u32_e32 v3, vcc, s0, v3
	v_addc_co_u32_e32 v4, vcc, v4, v8, vcc
	s_cmp_eq_u32 s1, 0
	s_waitcnt vmcnt(0)
	ds_write_b64 v9, v[5:6]
	v_add_u32_e32 v9, 64, v9
	s_cbranch_scc1 .LBB140_7
.LBB140_3:                              ; =>This Inner Loop Header: Depth=1
	s_mov_b64 s[22:23], -1
	s_and_b64 vcc, exec, s[20:21]
                                        ; implicit-def: $vgpr6
	s_cbranch_vccz .LBB140_5
; %bb.4:                                ;   in Loop: Header=BB140_3 Depth=1
	global_load_dword v6, v[3:4], off
	s_mov_b64 s[22:23], 0
.LBB140_5:                              ;   in Loop: Header=BB140_3 Depth=1
	s_andn2_b64 vcc, exec, s[22:23]
	s_cbranch_vccnz .LBB140_2
; %bb.6:                                ;   in Loop: Header=BB140_3 Depth=1
	global_load_dword v5, v[3:4], off
	s_waitcnt vmcnt(0)
	v_xor_b32_e32 v6, 0x80000000, v5
	s_branch .LBB140_2
.LBB140_7:
	v_lshlrev_b32_e32 v3, 6, v0
	s_cmpk_lg_i32 s13, 0x84
	s_mov_b64 s[0:1], -1
	v_add_u32_e32 v7, v7, v3
	s_cbranch_scc0 .LBB140_13
; %bb.8:
	ds_read_b64 v[3:4], v7
                                        ; implicit-def: $vgpr5
	s_waitcnt lgkmcnt(0)
	v_cmp_ngt_f32_e64 s[0:1], |v3|, |v4|
	s_and_saveexec_b64 s[20:21], s[0:1]
	s_xor_b64 s[0:1], exec, s[20:21]
	s_cbranch_execz .LBB140_10
; %bb.9:
	v_div_scale_f32 v5, s[20:21], v4, v4, v3
	v_div_scale_f32 v6, vcc, v3, v4, v3
	v_rcp_f32_e32 v8, v5
	v_fma_f32 v9, -v5, v8, 1.0
	v_fmac_f32_e32 v8, v9, v8
	v_mul_f32_e32 v9, v6, v8
	v_fma_f32 v10, -v5, v9, v6
	v_fmac_f32_e32 v9, v10, v8
	v_fma_f32 v5, -v5, v9, v6
	v_div_fmas_f32 v5, v5, v8, v9
	v_div_fixup_f32 v5, v5, v4, v3
	v_fmac_f32_e32 v4, v3, v5
	v_div_scale_f32 v3, s[20:21], v4, v4, 1.0
	v_div_scale_f32 v6, vcc, 1.0, v4, 1.0
	v_rcp_f32_e32 v8, v3
	v_fma_f32 v9, -v3, v8, 1.0
	v_fmac_f32_e32 v8, v9, v8
	v_mul_f32_e32 v9, v6, v8
	v_fma_f32 v10, -v3, v9, v6
	v_fmac_f32_e32 v9, v10, v8
	v_fma_f32 v3, -v3, v9, v6
	v_div_fmas_f32 v3, v3, v8, v9
	v_add_f32_e32 v6, 0, v5
	v_fma_f32 v8, v5, 0, -1.0
	v_div_fixup_f32 v3, v3, v4, 1.0
	v_mul_f32_e32 v5, v6, v3
	v_mul_f32_e32 v6, v8, v3
                                        ; implicit-def: $vgpr3_vgpr4
.LBB140_10:
	s_andn2_saveexec_b64 s[0:1], s[0:1]
	s_cbranch_execz .LBB140_12
; %bb.11:
	v_div_scale_f32 v5, s[20:21], v3, v3, v4
	v_div_scale_f32 v6, vcc, v4, v3, v4
	v_rcp_f32_e32 v8, v5
	v_fma_f32 v9, -v5, v8, 1.0
	v_fmac_f32_e32 v8, v9, v8
	v_mul_f32_e32 v9, v6, v8
	v_fma_f32 v10, -v5, v9, v6
	v_fmac_f32_e32 v9, v10, v8
	v_fma_f32 v5, -v5, v9, v6
	v_div_fmas_f32 v5, v5, v8, v9
	v_div_fixup_f32 v6, v5, v3, v4
	v_fmac_f32_e32 v3, v4, v6
	v_div_scale_f32 v4, s[20:21], v3, v3, 1.0
	v_div_scale_f32 v5, vcc, 1.0, v3, 1.0
	v_rcp_f32_e32 v8, v4
	v_fma_f32 v9, -v4, v8, 1.0
	v_fmac_f32_e32 v8, v9, v8
	v_mul_f32_e32 v9, v5, v8
	v_fma_f32 v10, -v4, v9, v5
	v_fmac_f32_e32 v9, v10, v8
	v_fma_f32 v4, -v4, v9, v5
	v_div_fmas_f32 v4, v4, v8, v9
	v_fma_f32 v5, v6, 0, 1.0
	v_div_fixup_f32 v3, v4, v3, 1.0
	v_mul_f32_e32 v5, v5, v3
	v_mul_f32_e64 v6, -v6, v3
.LBB140_12:
	s_or_b64 exec, exec, s[0:1]
	s_mov_b64 s[0:1], 0
	ds_write_b64 v7, v[5:6]
.LBB140_13:
	s_and_b64 vcc, exec, s[0:1]
	s_cbranch_vccz .LBB140_15
; %bb.14:
	v_mov_b32_e32 v3, 1.0
	v_mov_b32_e32 v4, 0
	ds_write_b64 v7, v[3:4]
.LBB140_15:
	s_or_b64 exec, exec, s[16:17]
	s_load_dword s22, s[6:7], 0x50
	s_load_dwordx2 s[0:1], s[6:7], 0x58
	s_add_i32 s25, s25, -1
	s_waitcnt lgkmcnt(0)
	s_ashr_i32 s13, s22, 31
	s_mul_i32 s1, s1, s9
	s_mul_hi_u32 s6, s0, s9
	s_add_i32 s17, s6, s1
	s_lshl_b32 s6, s8, 3
	s_mul_i32 s16, s0, s9
	s_sub_i32 s0, s15, s6
	s_cmp_ge_u32 s8, s25
	s_cselect_b32 s0, s0, 8
	s_ashr_i32 s7, s6, 31
	s_cmp_gt_i32 s14, 0
	v_cmp_gt_i32_e64 s[0:1], s0, v0
	s_cselect_b64 s[8:9], -1, 0
	s_and_b64 s[26:27], s[0:1], s[8:9]
	s_and_saveexec_b64 s[20:21], s[26:27]
	s_cbranch_execz .LBB140_18
; %bb.16:
	v_lshlrev_b32_e32 v5, 3, v0
	s_lshl_b64 s[28:29], s[6:7], 3
	s_lshl_b64 s[26:27], s[16:17], 3
	v_mov_b32_e32 v3, s29
	v_add_co_u32_e32 v6, vcc, s28, v5
	s_lshl_b64 s[28:29], s[10:11], 3
	s_add_u32 s7, s2, s28
	s_addc_u32 s15, s3, s29
	s_add_u32 s26, s7, s26
	v_addc_co_u32_e32 v7, vcc, 0, v3, vcc
	s_addc_u32 s27, s15, s27
	v_mov_b32_e32 v3, s26
	v_mov_b32_e32 v4, s27
	v_mad_u64_u32 v[3:4], s[26:27], v6, s22, v[3:4]
	v_mul_lo_u32 v6, v6, s13
	v_mul_lo_u32 v7, v7, s22
	v_add_co_u32_e32 v3, vcc, 4, v3
	v_or_b32_e32 v5, 0x200, v5
	v_add3_u32 v4, v7, v4, v6
	v_addc_co_u32_e32 v4, vcc, 0, v4, vcc
	s_mov_b32 s7, s24
.LBB140_17:                             ; =>This Inner Loop Header: Depth=1
	global_load_dwordx2 v[6:7], v[3:4], off offset:-4
	s_add_i32 s7, s7, -1
	v_add_co_u32_e32 v3, vcc, 8, v3
	v_addc_co_u32_e32 v4, vcc, 0, v4, vcc
	s_cmp_lg_u32 s7, 0
	s_waitcnt vmcnt(0)
	v_mul_f32_e32 v9, s19, v7
	v_mul_f32_e32 v8, s18, v7
	v_fma_f32 v7, s18, v6, -v9
	v_fmac_f32_e32 v8, s19, v6
	ds_write_b64 v5, v[7:8]
	v_add_u32_e32 v5, 64, v5
	s_cbranch_scc1 .LBB140_17
.LBB140_18:
	s_or_b64 exec, exec, s[20:21]
	s_load_dwordx2 s[18:19], s[4:5], 0x4
	v_mov_b32_e32 v3, 0x400
	s_waitcnt lgkmcnt(0)
	; wave barrier
	s_lshr_b32 s4, s18, 16
	s_mul_i32 s4, s4, s19
	v_mul_u32_u24_e32 v1, s19, v1
	v_mul_u32_u24_e32 v4, s4, v0
	v_add3_u32 v1, v4, v1, v2
	v_lshl_add_u32 v9, v1, 6, v3
	v_mov_b32_e32 v1, 0x200
	s_cmpk_eq_i32 s12, 0x6f
	v_lshl_or_b32 v10, v0, 3, v1
	s_mov_b64 s[4:5], -1
	s_cbranch_scc1 .LBB140_45
; %bb.19:
	s_add_i32 s4, s24, -1
	s_cmp_gt_i32 s14, 7
	s_mov_b32 s5, s4
	s_cbranch_scc0 .LBB140_21
; %bb.20:
	ds_read2_b64 v[1:4], v10 offset0:48 offset1:56
	v_mov_b32_e32 v7, 0
	ds_read2_b64 v[11:14], v7 offset0:47 offset1:63
	ds_read_b128 v[15:18], v7 offset:432
	ds_read2_b64 v[19:22], v7 offset0:45 offset1:46
	s_mov_b32 s5, -1
	s_waitcnt lgkmcnt(2)
	v_mul_f32_e32 v6, v13, v4
	v_mul_f32_e32 v5, v14, v4
	v_fmac_f32_e32 v6, v14, v3
	v_fma_f32 v5, v13, v3, -v5
	s_waitcnt lgkmcnt(1)
	v_mul_f32_e32 v13, v17, v6
	v_mul_f32_e32 v8, v18, v6
	v_fmac_f32_e32 v13, v18, v5
	v_fma_f32 v8, v17, v5, -v8
	v_sub_f32_e32 v13, v2, v13
	v_sub_f32_e32 v8, v1, v8
	v_mul_f32_e32 v14, v16, v13
	v_mul_f32_e32 v26, v15, v13
	v_fma_f32 v25, v15, v8, -v14
	v_fmac_f32_e32 v26, v16, v8
	ds_read2_b64 v[13:16], v10 offset0:32 offset1:40
	v_mul_f32_e32 v8, v12, v6
	v_fma_f32 v8, v11, v5, -v8
	v_mul_f32_e32 v11, v11, v6
	v_fmac_f32_e32 v11, v12, v5
	s_waitcnt lgkmcnt(1)
	v_mul_f32_e32 v12, v22, v26
	s_waitcnt lgkmcnt(0)
	v_sub_f32_e32 v8, v15, v8
	v_fma_f32 v12, v21, v25, -v12
	v_sub_f32_e32 v8, v8, v12
	v_mul_f32_e32 v12, v21, v26
	v_sub_f32_e32 v11, v16, v11
	v_fmac_f32_e32 v12, v22, v25
	v_sub_f32_e32 v11, v11, v12
	v_mul_f32_e32 v12, v20, v11
	v_mul_f32_e32 v28, v19, v11
	v_fma_f32 v27, v19, v8, -v12
	v_fmac_f32_e32 v28, v20, v8
	ds_read2_b64 v[17:20], v10 offset0:16 offset1:24
	v_mov_b32_e32 v11, v15
	v_mov_b32_e32 v12, v16
	ds_write_b128 v9, v[11:14] offset:16
	s_waitcnt lgkmcnt(1)
	v_mov_b32_e32 v11, v19
	v_mov_b32_e32 v12, v20
	ds_read_b128 v[19:22], v7 offset:304
	v_mov_b32_e32 v13, v17
	v_mov_b32_e32 v14, v18
	ds_write_b128 v9, v[11:14] offset:32
	ds_read_b128 v[11:14], v7 offset:288
	s_waitcnt lgkmcnt(2)
	v_mul_f32_e32 v8, v22, v6
	ds_read2_b64 v[15:18], v10 offset1:8
	v_fma_f32 v8, v21, v5, -v8
	v_mul_f32_e32 v29, v21, v6
	v_mul_f32_e32 v21, v20, v26
	v_fmac_f32_e32 v29, v22, v5
	v_fma_f32 v30, v19, v25, -v21
	ds_read2_b64 v[21:24], v9 offset0:3 offset1:4
	v_mul_f32_e32 v31, v19, v26
	v_fmac_f32_e32 v31, v20, v25
	s_waitcnt lgkmcnt(1)
	v_mov_b32_e32 v19, v15
	v_mov_b32_e32 v20, v16
	ds_write_b128 v9, v[17:20] offset:48
	v_mul_f32_e32 v20, v14, v28
	ds_read2_b64 v[15:18], v9 offset0:5 offset1:6
	s_waitcnt lgkmcnt(2)
	v_sub_f32_e32 v8, v21, v8
	v_sub_f32_e32 v19, v22, v29
	v_fma_f32 v20, v13, v27, -v20
	v_mul_f32_e32 v13, v13, v28
	v_sub_f32_e32 v8, v8, v30
	v_sub_f32_e32 v19, v19, v31
	v_fmac_f32_e32 v13, v14, v27
	v_sub_f32_e32 v8, v8, v20
	v_sub_f32_e32 v13, v19, v13
	ds_read2_b64 v[19:22], v7 offset0:15 offset1:31
	v_mul_f32_e32 v14, v12, v13
	v_mul_f32_e32 v30, v11, v13
	v_fma_f32 v29, v11, v8, -v14
	v_fmac_f32_e32 v30, v12, v8
	s_waitcnt lgkmcnt(0)
	v_mul_f32_e32 v8, v22, v6
	v_mul_f32_e32 v11, v21, v6
	v_fma_f32 v8, v21, v5, -v8
	v_fmac_f32_e32 v11, v22, v5
	v_sub_f32_e32 v8, v23, v8
	v_sub_f32_e32 v31, v24, v11
	ds_read2_b64 v[11:14], v7 offset0:29 offset1:30
	ds_read2_b64 v[21:24], v7 offset0:27 offset1:28
	s_waitcnt lgkmcnt(1)
	v_mul_f32_e32 v32, v14, v26
	v_fma_f32 v32, v13, v25, -v32
	v_mul_f32_e32 v13, v13, v26
	v_fmac_f32_e32 v13, v14, v25
	v_mul_f32_e32 v14, v12, v28
	v_fma_f32 v14, v11, v27, -v14
	v_mul_f32_e32 v11, v11, v28
	v_fmac_f32_e32 v11, v12, v27
	v_sub_f32_e32 v12, v31, v13
	v_sub_f32_e32 v8, v8, v32
	;; [unrolled: 1-line block ×3, first 2 shown]
	s_waitcnt lgkmcnt(0)
	v_mul_f32_e32 v12, v24, v30
	v_sub_f32_e32 v8, v8, v14
	v_fma_f32 v12, v23, v29, -v12
	v_sub_f32_e32 v8, v8, v12
	v_mul_f32_e32 v12, v23, v30
	v_fmac_f32_e32 v12, v24, v29
	v_sub_f32_e32 v11, v11, v12
	v_mul_f32_e32 v12, v22, v11
	v_mul_f32_e32 v32, v21, v11
	v_fma_f32 v31, v21, v8, -v12
	v_fmac_f32_e32 v32, v22, v8
	ds_read_b128 v[11:14], v7 offset:176
	ds_read_b128 v[21:24], v7 offset:160
	s_waitcnt lgkmcnt(1)
	v_mul_f32_e32 v8, v14, v6
	v_fma_f32 v8, v13, v5, -v8
	v_mul_f32_e32 v13, v13, v6
	v_fmac_f32_e32 v13, v14, v5
	v_mul_f32_e32 v14, v12, v26
	v_fma_f32 v14, v11, v25, -v14
	v_mul_f32_e32 v11, v11, v26
	v_fmac_f32_e32 v11, v12, v25
	s_waitcnt lgkmcnt(0)
	v_mul_f32_e32 v12, v24, v28
	v_fma_f32 v12, v23, v27, -v12
	v_mul_f32_e32 v23, v23, v28
	v_sub_f32_e32 v8, v15, v8
	v_sub_f32_e32 v13, v16, v13
	v_fmac_f32_e32 v23, v24, v27
	v_sub_f32_e32 v8, v8, v14
	v_sub_f32_e32 v11, v13, v11
	;; [unrolled: 1-line block ×4, first 2 shown]
	ds_read_b128 v[11:14], v7 offset:144
	v_mul_f32_e32 v24, v22, v30
	v_fma_f32 v24, v21, v29, -v24
	v_mul_f32_e32 v21, v21, v30
	v_fmac_f32_e32 v21, v22, v29
	v_sub_f32_e32 v8, v8, v24
	v_sub_f32_e32 v15, v15, v21
	ds_read2_b64 v[21:24], v7 offset0:13 offset1:14
	s_waitcnt lgkmcnt(1)
	v_mul_f32_e32 v16, v14, v32
	v_fma_f32 v16, v13, v31, -v16
	v_mul_f32_e32 v13, v13, v32
	v_fmac_f32_e32 v13, v14, v31
	v_sub_f32_e32 v13, v15, v13
	v_sub_f32_e32 v8, v8, v16
	v_mul_f32_e32 v14, v12, v13
	v_fma_f32 v33, v11, v8, -v14
	v_mul_f32_e32 v34, v11, v13
	v_mul_f32_e32 v11, v19, v6
	v_fmac_f32_e32 v34, v12, v8
	v_mul_f32_e32 v8, v20, v6
	v_fmac_f32_e32 v11, v20, v5
	v_fma_f32 v8, v19, v5, -v8
	v_sub_f32_e32 v19, v18, v11
	s_waitcnt lgkmcnt(0)
	v_mul_f32_e32 v11, v24, v26
	v_fma_f32 v20, v23, v25, -v11
	v_mul_f32_e32 v23, v23, v26
	v_mul_f32_e32 v11, v22, v28
	v_sub_f32_e32 v8, v17, v8
	v_fmac_f32_e32 v23, v24, v25
	v_fma_f32 v24, v21, v27, -v11
	ds_read2_b64 v[11:14], v7 offset0:11 offset1:12
	ds_read2_b64 v[15:18], v7 offset0:9 offset1:10
	v_mul_f32_e32 v21, v21, v28
	v_fmac_f32_e32 v21, v22, v27
	v_sub_f32_e32 v8, v8, v20
	s_waitcnt lgkmcnt(1)
	v_mul_f32_e32 v22, v14, v30
	v_fma_f32 v22, v13, v29, -v22
	v_mul_f32_e32 v13, v13, v30
	v_fmac_f32_e32 v13, v14, v29
	v_mul_f32_e32 v14, v12, v32
	v_fma_f32 v14, v11, v31, -v14
	v_mul_f32_e32 v11, v11, v32
	v_fmac_f32_e32 v11, v12, v31
	v_sub_f32_e32 v12, v19, v23
	v_sub_f32_e32 v12, v12, v21
	;; [unrolled: 1-line block ×6, first 2 shown]
	s_waitcnt lgkmcnt(0)
	v_mul_f32_e32 v12, v18, v34
	v_sub_f32_e32 v8, v8, v14
	v_fma_f32 v12, v17, v33, -v12
	v_sub_f32_e32 v8, v8, v12
	v_mul_f32_e32 v12, v17, v34
	v_fmac_f32_e32 v12, v18, v33
	v_sub_f32_e32 v11, v11, v12
	v_mul_f32_e32 v12, v16, v11
	v_mul_f32_e32 v20, v15, v11
	v_fma_f32 v19, v15, v8, -v12
	v_fmac_f32_e32 v20, v16, v8
	ds_read_b128 v[15:18], v7 offset:48
	v_mov_b32_e32 v11, v3
	v_mov_b32_e32 v12, v4
	;; [unrolled: 1-line block ×4, first 2 shown]
	ds_write_b128 v9, v[11:14]
	ds_read_b128 v[1:4], v7 offset:32
	s_waitcnt lgkmcnt(2)
	v_mul_f32_e32 v11, v16, v26
	v_fma_f32 v14, v15, v25, -v11
	ds_read_b64 v[11:12], v9 offset:56
	v_mul_f32_e32 v8, v18, v6
	v_fma_f32 v8, v17, v5, -v8
	v_mul_f32_e32 v13, v17, v6
	v_fmac_f32_e32 v13, v18, v5
	v_mul_f32_e32 v15, v15, v26
	ds_write2_b64 v9, v[5:6], v[25:26] offset1:1
	ds_write2_b64 v10, v[25:26], v[5:6] offset0:48 offset1:56
	s_waitcnt lgkmcnt(2)
	v_sub_f32_e32 v5, v11, v8
	v_mul_f32_e32 v8, v4, v28
	v_fmac_f32_e32 v15, v16, v25
	v_sub_f32_e32 v6, v12, v13
	v_fma_f32 v8, v3, v27, -v8
	v_mul_f32_e32 v3, v3, v28
	v_fmac_f32_e32 v3, v4, v27
	v_sub_f32_e32 v4, v5, v14
	v_sub_f32_e32 v5, v6, v15
	ds_write2_b64 v9, v[27:28], v[29:30] offset0:2 offset1:3
	ds_write2_b64 v10, v[29:30], v[27:28] offset0:32 offset1:40
	v_sub_f32_e32 v12, v5, v3
	v_mul_f32_e32 v3, v2, v30
	v_mul_f32_e32 v14, v1, v30
	v_sub_f32_e32 v11, v4, v8
	v_fma_f32 v13, v1, v29, -v3
	v_fmac_f32_e32 v14, v2, v29
	ds_read_b128 v[1:4], v7
	ds_read_b128 v[5:8], v7 offset:16
	v_sub_f32_e32 v11, v11, v13
	v_sub_f32_e32 v12, v12, v14
	ds_write2_b64 v9, v[31:32], v[33:34] offset0:4 offset1:5
	ds_write2_b64 v10, v[33:34], v[31:32] offset0:16 offset1:24
	s_waitcnt lgkmcnt(2)
	v_mul_f32_e32 v13, v8, v32
	v_fma_f32 v13, v7, v31, -v13
	v_mul_f32_e32 v7, v7, v32
	v_fmac_f32_e32 v7, v8, v31
	v_sub_f32_e32 v8, v11, v13
	v_mul_f32_e32 v11, v6, v34
	v_fma_f32 v11, v5, v33, -v11
	v_mul_f32_e32 v5, v5, v34
	v_sub_f32_e32 v7, v12, v7
	v_fmac_f32_e32 v5, v6, v33
	v_sub_f32_e32 v5, v7, v5
	v_mul_f32_e32 v7, v4, v20
	v_fma_f32 v7, v3, v19, -v7
	v_mul_f32_e32 v3, v3, v20
	v_fmac_f32_e32 v3, v4, v19
	v_sub_f32_e32 v6, v8, v11
	v_sub_f32_e32 v4, v5, v3
	;; [unrolled: 1-line block ×3, first 2 shown]
	v_mul_f32_e32 v3, v2, v4
	v_mul_f32_e32 v4, v1, v4
	v_fma_f32 v3, v1, v6, -v3
	v_fmac_f32_e32 v4, v2, v6
	ds_write2_b64 v9, v[19:20], v[3:4] offset0:6 offset1:7
	ds_write2_b64 v10, v[3:4], v[19:20] offset1:8
.LBB140_21:
	s_cmp_gt_i32 s5, -1
	s_cbranch_scc0 .LBB140_44
; %bb.22:
	s_cmp_lt_u32 s5, 3
	s_cbranch_scc1 .LBB140_28
; %bb.23:
	s_lshl_b32 s7, s5, 6
	v_add_u32_e32 v11, s7, v10
	v_subrev_u32_e32 v1, 64, v11
	v_add_u32_e32 v2, 0xffffff80, v11
	v_add_u32_e32 v3, 0xffffff40, v11
	ds_read_b64 v[5:6], v11
	ds_read_b64 v[7:8], v1
	ds_read_b64 v[1:2], v2
	ds_read_b64 v[3:4], v3
	s_cmp_le_i32 s4, s5
	s_waitcnt lgkmcnt(2)
	ds_write_b128 v9, v[5:8]
	s_waitcnt lgkmcnt(1)
	ds_write_b128 v9, v[1:4] offset:16
	s_cbranch_scc1 .LBB140_27
; %bb.24:
	v_lshlrev_b32_e32 v12, 3, v0
	s_lshl_b32 s12, s24, 3
	v_lshl_or_b32 v12, s24, 6, v12
	s_add_i32 s7, s7, s12
	v_add_u32_e32 v12, 0x1c0, v12
	s_addk_i32 s7, 0xff38
	s_mov_b32 s12, s4
.LBB140_25:                             ; =>This Inner Loop Header: Depth=1
	v_mov_b32_e32 v17, s7
	ds_read_b64 v[21:22], v12
	ds_read2_b64 v[13:16], v17 offset0:16 offset1:24
	ds_read2_b64 v[17:20], v17 offset1:8
	s_add_i32 s12, s12, -1
	s_add_i32 s7, s7, -8
	v_subrev_u32_e32 v12, 64, v12
	s_waitcnt lgkmcnt(1)
	v_mul_f32_e32 v23, v16, v22
	v_mul_f32_e32 v16, v16, v21
	;; [unrolled: 1-line block ×4, first 2 shown]
	s_waitcnt lgkmcnt(0)
	v_mul_f32_e32 v25, v20, v22
	v_mul_f32_e32 v20, v20, v21
	;; [unrolled: 1-line block ×4, first 2 shown]
	v_fma_f32 v23, v15, v21, -v23
	v_fmac_f32_e32 v16, v15, v22
	v_fma_f32 v15, v13, v21, -v24
	v_fmac_f32_e32 v14, v13, v22
	;; [unrolled: 2-line block ×4, first 2 shown]
	s_cmp_gt_i32 s12, s5
	v_sub_f32_e32 v5, v5, v23
	v_sub_f32_e32 v6, v6, v16
	;; [unrolled: 1-line block ×8, first 2 shown]
	s_cbranch_scc1 .LBB140_25
; %bb.26:
	ds_write_b128 v9, v[5:8]
	ds_write_b128 v9, v[1:4] offset:16
.LBB140_27:
	s_mul_i32 s7, s5, 0x48
	v_mov_b32_e32 v3, s7
	s_add_i32 s7, s5, -1
	s_lshl_b32 s12, s7, 6
	s_lshl_b32 s7, s7, 3
	ds_read_b64 v[3:4], v3
	s_add_i32 s7, s12, s7
	v_mov_b32_e32 v12, s7
	ds_read2_b64 v[12:15], v12 offset1:1
	s_add_i32 s7, s5, -2
	s_waitcnt lgkmcnt(1)
	v_mul_f32_e32 v17, v3, v6
	v_mul_f32_e32 v16, v4, v6
	v_fmac_f32_e32 v17, v4, v5
	v_fma_f32 v16, v3, v5, -v16
	s_waitcnt lgkmcnt(0)
	v_mul_f32_e32 v4, v14, v17
	v_mul_f32_e32 v3, v15, v17
	v_fmac_f32_e32 v4, v15, v16
	v_fma_f32 v3, v14, v16, -v3
	v_sub_f32_e32 v4, v8, v4
	v_sub_f32_e32 v3, v7, v3
	v_mul_f32_e32 v5, v13, v4
	ds_write_b64 v11, v[16:17]
	v_fma_f32 v11, v12, v3, -v5
	v_mul_f32_e32 v12, v12, v4
	v_fmac_f32_e32 v12, v13, v3
	v_add_u32_e32 v3, s12, v10
	s_lshl_b32 s12, s7, 6
	s_lshl_b32 s13, s5, 3
	s_add_i32 s14, s12, s13
	ds_write_b64 v3, v[11:12]
	v_mov_b32_e32 v3, s14
	ds_read_b64 v[7:8], v3
	s_lshl_b32 s7, s7, 3
	s_add_i32 s7, s12, s7
	v_mov_b32_e32 v3, s7
	ds_read2_b64 v[3:6], v3 offset1:1
	s_waitcnt lgkmcnt(1)
	v_mul_f32_e32 v13, v8, v17
	v_fma_f32 v13, v7, v16, -v13
	v_mul_f32_e32 v7, v7, v17
	v_fmac_f32_e32 v7, v8, v16
	v_sub_f32_e32 v2, v2, v7
	s_waitcnt lgkmcnt(0)
	v_mul_f32_e32 v7, v6, v12
	v_fma_f32 v7, v5, v11, -v7
	v_mul_f32_e32 v5, v5, v12
	v_fmac_f32_e32 v5, v6, v11
	v_sub_f32_e32 v1, v1, v13
	v_sub_f32_e32 v2, v2, v5
	;; [unrolled: 1-line block ×3, first 2 shown]
	v_mul_f32_e32 v5, v4, v2
	v_mul_f32_e32 v14, v3, v2
	s_add_i32 s7, s5, -3
	v_fma_f32 v13, v3, v1, -v5
	v_fmac_f32_e32 v14, v4, v1
	v_add_u32_e32 v1, s12, v10
	s_lshl_b32 s12, s7, 6
	s_add_i32 s13, s12, s13
	s_add_i32 s13, s13, -8
	ds_write_b64 v1, v[13:14]
	v_mov_b32_e32 v1, s13
	ds_read2_b64 v[1:4], v1 offset1:1
	ds_read_b64 v[18:19], v9 offset:24
	s_lshl_b32 s7, s7, 3
	s_add_i32 s7, s12, s7
	v_mov_b32_e32 v5, s7
	ds_read2_b64 v[5:8], v5 offset1:1
	s_waitcnt lgkmcnt(2)
	v_mul_f32_e32 v15, v4, v17
	v_fma_f32 v15, v3, v16, -v15
	v_mul_f32_e32 v3, v3, v17
	v_fmac_f32_e32 v3, v4, v16
	s_waitcnt lgkmcnt(1)
	v_sub_f32_e32 v4, v18, v15
	v_mul_f32_e32 v15, v2, v12
	v_fma_f32 v15, v1, v11, -v15
	v_mul_f32_e32 v1, v1, v12
	v_sub_f32_e32 v3, v19, v3
	v_fmac_f32_e32 v1, v2, v11
	v_sub_f32_e32 v2, v4, v15
	v_sub_f32_e32 v1, v3, v1
	s_waitcnt lgkmcnt(0)
	v_mul_f32_e32 v3, v8, v14
	v_mul_f32_e32 v4, v7, v14
	v_fma_f32 v3, v7, v13, -v3
	v_fmac_f32_e32 v4, v8, v13
	v_sub_f32_e32 v3, v2, v3
	v_sub_f32_e32 v2, v1, v4
	v_mul_f32_e32 v1, v6, v2
	v_mul_f32_e32 v2, v5, v2
	v_fma_f32 v1, v5, v3, -v1
	v_fmac_f32_e32 v2, v6, v3
	v_add_u32_e32 v3, s12, v10
	s_add_i32 s5, s5, -4
	ds_write2_b64 v9, v[16:17], v[11:12] offset1:1
	ds_write2_b64 v9, v[13:14], v[1:2] offset0:2 offset1:3
	ds_write_b64 v3, v[1:2]
.LBB140_28:
	s_cmp_lt_i32 s5, 0
	s_cbranch_scc1 .LBB140_44
; %bb.29:
	s_bitcmp1_b32 s5, 0
	s_cselect_b64 s[12:13], -1, 0
	s_and_b64 vcc, exec, s[12:13]
	s_mov_b32 s7, s5
	s_cbranch_vccnz .LBB140_35
; %bb.30:
	s_lshl_b32 s7, s5, 6
	v_add_u32_e32 v3, s7, v10
	ds_read_b64 v[1:2], v3
	s_cmp_le_i32 s4, s5
	s_waitcnt lgkmcnt(0)
	ds_write_b64 v9, v[1:2]
	s_cbranch_scc1 .LBB140_34
; %bb.31:
	s_lshl_b32 s12, s24, 3
	v_lshlrev_b32_e32 v4, 3, v0
	s_add_i32 s7, s7, s12
	v_lshl_or_b32 v4, s24, 6, v4
	s_add_i32 s7, s7, -8
	v_add_u32_e32 v4, 0x1c0, v4
	s_mov_b32 s12, s4
.LBB140_32:                             ; =>This Inner Loop Header: Depth=1
	v_mov_b32_e32 v7, s7
	ds_read_b64 v[5:6], v4
	ds_read_b64 v[7:8], v7
	s_add_i32 s12, s12, -1
	s_add_i32 s7, s7, -8
	v_subrev_u32_e32 v4, 64, v4
	s_cmp_gt_i32 s12, s5
	s_waitcnt lgkmcnt(0)
	v_mul_f32_e32 v11, v8, v6
	v_mul_f32_e32 v8, v8, v5
	v_fma_f32 v5, v7, v5, -v11
	v_fmac_f32_e32 v8, v7, v6
	v_sub_f32_e32 v1, v1, v5
	v_sub_f32_e32 v2, v2, v8
	s_cbranch_scc1 .LBB140_32
; %bb.33:
	ds_write_b64 v9, v[1:2]
.LBB140_34:
	s_mul_i32 s7, s5, 0x48
	v_mov_b32_e32 v4, s7
	ds_read_b64 v[4:5], v4
	s_add_i32 s7, s5, -1
	s_waitcnt lgkmcnt(0)
	v_mul_f32_e32 v6, v5, v2
	v_mul_f32_e32 v7, v4, v2
	v_fma_f32 v6, v4, v1, -v6
	v_fmac_f32_e32 v7, v5, v1
	ds_write_b64 v9, v[6:7]
	ds_write_b64 v3, v[6:7]
.LBB140_35:
	s_cmp_eq_u32 s5, 0
	s_cbranch_scc1 .LBB140_44
; %bb.36:
	s_lshl_b32 s5, s7, 6
	s_lshl_b32 s12, s24, 3
	v_lshlrev_b32_e32 v1, 3, v0
	s_add_i32 s12, s5, s12
	v_lshl_or_b32 v1, s24, 6, v1
	s_add_i32 s5, s12, -8
	v_add_u32_e32 v5, 0x1c0, v1
	s_addk_i32 s12, 0xffb8
	s_branch .LBB140_38
.LBB140_37:                             ;   in Loop: Header=BB140_38 Depth=1
	s_addk_i32 s13, 0xffb8
	v_mov_b32_e32 v3, s13
	ds_read_b64 v[3:4], v3
	s_add_i32 s13, s7, -2
	s_addk_i32 s5, 0xff80
	s_addk_i32 s12, 0xff80
	s_cmp_lt_i32 s7, 2
	s_waitcnt lgkmcnt(0)
	v_mul_f32_e32 v7, v4, v2
	v_mul_f32_e32 v8, v3, v2
	v_fma_f32 v7, v3, v1, -v7
	v_fmac_f32_e32 v8, v4, v1
	s_mov_b32 s7, s13
	ds_write_b64 v9, v[7:8]
	ds_write_b64 v6, v[7:8]
	s_cbranch_scc1 .LBB140_44
.LBB140_38:                             ; =>This Loop Header: Depth=1
                                        ;     Child Loop BB140_39 Depth 2
                                        ;     Child Loop BB140_42 Depth 2
	s_lshl_b32 s14, s7, 6
	v_add_u32_e32 v7, s14, v10
	ds_read_b64 v[3:4], v7
	v_mov_b32_e32 v1, v5
	s_mov_b32 s13, s5
	s_cmp_le_i32 s4, s7
	s_mov_b32 s15, s4
	s_waitcnt lgkmcnt(0)
	ds_write_b64 v9, v[3:4]
	s_cbranch_scc1 .LBB140_41
.LBB140_39:                             ;   Parent Loop BB140_38 Depth=1
                                        ; =>  This Inner Loop Header: Depth=2
	v_mov_b32_e32 v2, s13
	ds_read_b64 v[11:12], v1
	ds_read_b64 v[13:14], v2
	s_add_i32 s15, s15, -1
	s_add_i32 s13, s13, -8
	v_subrev_u32_e32 v1, 64, v1
	s_cmp_gt_i32 s15, s7
	s_waitcnt lgkmcnt(0)
	v_mul_f32_e32 v2, v14, v12
	v_mul_f32_e32 v6, v14, v11
	v_fma_f32 v2, v13, v11, -v2
	v_fmac_f32_e32 v6, v13, v12
	v_sub_f32_e32 v3, v3, v2
	v_sub_f32_e32 v4, v4, v6
	s_cbranch_scc1 .LBB140_39
; %bb.40:                               ;   in Loop: Header=BB140_38 Depth=1
	ds_write_b64 v9, v[3:4]
.LBB140_41:                             ;   in Loop: Header=BB140_38 Depth=1
	s_mul_i32 s13, s7, 0x48
	v_mov_b32_e32 v1, s13
	ds_read_b64 v[11:12], v1
	s_sub_i32 s14, s14, 64
	v_add_u32_e32 v6, s14, v10
	ds_read_b64 v[1:2], v6
	s_cmp_le_i32 s24, s7
	s_waitcnt lgkmcnt(1)
	v_mul_f32_e32 v8, v12, v4
	v_mul_f32_e32 v14, v11, v4
	v_fma_f32 v13, v11, v3, -v8
	v_fmac_f32_e32 v14, v12, v3
	v_mov_b32_e32 v3, v5
	s_mov_b32 s14, s12
	s_mov_b32 s15, s24
	ds_write_b64 v7, v[13:14]
	s_waitcnt lgkmcnt(1)
	ds_write_b64 v9, v[1:2]
	s_cbranch_scc1 .LBB140_37
.LBB140_42:                             ;   Parent Loop BB140_38 Depth=1
                                        ; =>  This Inner Loop Header: Depth=2
	v_mov_b32_e32 v4, s14
	ds_read_b64 v[7:8], v3
	ds_read_b64 v[11:12], v4
	s_add_i32 s15, s15, -1
	s_add_i32 s14, s14, -8
	v_subrev_u32_e32 v3, 64, v3
	s_cmp_gt_i32 s15, s7
	s_waitcnt lgkmcnt(0)
	v_mul_f32_e32 v4, v12, v8
	v_mul_f32_e32 v12, v12, v7
	v_fma_f32 v4, v11, v7, -v4
	v_fmac_f32_e32 v12, v11, v8
	v_sub_f32_e32 v1, v1, v4
	v_sub_f32_e32 v2, v2, v12
	s_cbranch_scc1 .LBB140_42
; %bb.43:                               ;   in Loop: Header=BB140_38 Depth=1
	ds_write_b64 v9, v[1:2]
	s_branch .LBB140_37
.LBB140_44:
	s_mov_b64 s[4:5], 0
.LBB140_45:
	s_and_b64 vcc, exec, s[4:5]
	s_cbranch_vccz .LBB140_66
; %bb.46:
	v_mov_b32_e32 v1, 0x200
	s_mov_b32 s5, 0
	v_lshl_or_b32 v3, v0, 3, v1
	s_mov_b32 s4, s5
	s_mov_b32 s7, s5
	s_branch .LBB140_48
.LBB140_47:                             ;   in Loop: Header=BB140_48 Depth=1
	s_cmp_ge_i32 s7, s24
	s_cselect_b64 s[12:13], -1, 0
	s_add_i32 s4, s4, 1
	s_cmp_eq_u32 s4, 3
	s_cselect_b64 s[14:15], -1, 0
	s_or_b64 s[12:13], s[12:13], s[14:15]
	s_and_b64 vcc, exec, s[12:13]
	s_cbranch_vccnz .LBB140_66
.LBB140_48:                             ; =>This Loop Header: Depth=1
                                        ;     Child Loop BB140_51 Depth 2
                                        ;       Child Loop BB140_52 Depth 3
                                        ;       Child Loop BB140_55 Depth 3
                                        ;         Child Loop BB140_56 Depth 4
                                        ;       Child Loop BB140_60 Depth 3
                                        ;         Child Loop BB140_62 Depth 4
	s_lshl_b64 s[12:13], s[4:5], 2
	s_getpc_b64 s[14:15]
	s_add_u32 s14, s14, __const._ZL38rocblas_trsm_small_left_device_sharedBILi8ELi8ELb1E19rocblas_complex_numIfES1_PKS1_PS1_Ev13rocblas_fill_18rocblas_operation_17rocblas_diagonal_iiT3_T4_lilT5_lili.step_sizes@rel32@lo+4
	s_addc_u32 s15, s15, __const._ZL38rocblas_trsm_small_left_device_sharedBILi8ELi8ELb1E19rocblas_complex_numIfES1_PKS1_PS1_Ev13rocblas_fill_18rocblas_operation_17rocblas_diagonal_iiT3_T4_lilT5_lili.step_sizes@rel32@hi+12
	s_add_u32 s12, s14, s12
	s_addc_u32 s13, s15, s13
	s_load_dword s14, s[12:13], 0x0
	s_waitcnt lgkmcnt(0)
	s_add_i32 s15, s14, -1
	s_add_i32 s12, s15, s7
	s_cmp_ge_i32 s12, s24
	s_cbranch_scc1 .LBB140_47
; %bb.49:                               ;   in Loop: Header=BB140_48 Depth=1
	s_max_i32 s18, s14, 1
	v_lshl_add_u32 v4, s7, 6, v3
	s_lshl_b32 s19, s14, 6
	s_lshl_b32 s20, s7, 3
	;; [unrolled: 1-line block ×3, first 2 shown]
	s_mul_i32 s23, s7, 0x48
	s_mul_i32 s25, s14, 0x48
	s_branch .LBB140_51
.LBB140_50:                             ;   in Loop: Header=BB140_51 Depth=2
	s_add_i32 s7, s7, s14
	s_add_i32 s12, s15, s7
	;; [unrolled: 1-line block ×4, first 2 shown]
	s_cmp_ge_i32 s12, s24
	v_add_u32_e32 v4, s19, v4
	s_cbranch_scc1 .LBB140_47
.LBB140_51:                             ;   Parent Loop BB140_48 Depth=1
                                        ; =>  This Loop Header: Depth=2
                                        ;       Child Loop BB140_52 Depth 3
                                        ;       Child Loop BB140_55 Depth 3
                                        ;         Child Loop BB140_56 Depth 4
                                        ;       Child Loop BB140_60 Depth 3
                                        ;         Child Loop BB140_62 Depth 4
	v_mov_b32_e32 v1, v9
	v_mov_b32_e32 v2, v4
	s_mov_b32 s12, s18
.LBB140_52:                             ;   Parent Loop BB140_48 Depth=1
                                        ;     Parent Loop BB140_51 Depth=2
                                        ; =>    This Inner Loop Header: Depth=3
	ds_read_b64 v[5:6], v2
	s_add_i32 s12, s12, -1
	v_add_u32_e32 v2, 64, v2
	s_cmp_eq_u32 s12, 0
	s_waitcnt lgkmcnt(0)
	ds_write_b64 v1, v[5:6]
	v_add_u32_e32 v1, 8, v1
	s_cbranch_scc0 .LBB140_52
; %bb.53:                               ;   in Loop: Header=BB140_51 Depth=2
	s_cmp_lt_i32 s7, 1
	s_cbranch_scc1 .LBB140_58
; %bb.54:                               ;   in Loop: Header=BB140_51 Depth=2
	s_mov_b32 s12, 0
	s_mov_b32 s13, s20
.LBB140_55:                             ;   Parent Loop BB140_48 Depth=1
                                        ;     Parent Loop BB140_51 Depth=2
                                        ; =>    This Loop Header: Depth=3
                                        ;         Child Loop BB140_56 Depth 4
	v_lshl_add_u32 v1, s12, 6, v10
	ds_read_b64 v[1:2], v1
	v_mov_b32_e32 v5, v9
	s_mov_b32 s26, s13
	s_mov_b32 s27, s18
.LBB140_56:                             ;   Parent Loop BB140_48 Depth=1
                                        ;     Parent Loop BB140_51 Depth=2
                                        ;       Parent Loop BB140_55 Depth=3
                                        ; =>      This Inner Loop Header: Depth=4
	v_mov_b32_e32 v8, s26
	ds_read_b64 v[11:12], v8
	ds_read_b64 v[6:7], v5
	s_add_i32 s27, s27, -1
	s_add_i32 s26, s26, 8
	s_cmp_eq_u32 s27, 0
	s_waitcnt lgkmcnt(1)
	v_mul_f32_e32 v8, v12, v2
	v_mul_f32_e32 v12, v12, v1
	v_fma_f32 v8, v11, v1, -v8
	v_fmac_f32_e32 v12, v11, v2
	s_waitcnt lgkmcnt(0)
	v_sub_f32_e32 v6, v6, v8
	v_sub_f32_e32 v7, v7, v12
	ds_write_b64 v5, v[6:7]
	v_add_u32_e32 v5, 8, v5
	s_cbranch_scc0 .LBB140_56
; %bb.57:                               ;   in Loop: Header=BB140_55 Depth=3
	s_add_i32 s12, s12, 1
	s_add_i32 s13, s13, 64
	s_cmp_eq_u32 s12, s7
	s_cbranch_scc0 .LBB140_55
.LBB140_58:                             ;   in Loop: Header=BB140_51 Depth=2
	s_mov_b32 s26, 0
	s_mov_b32 s27, s23
	s_branch .LBB140_60
.LBB140_59:                             ;   in Loop: Header=BB140_60 Depth=3
	s_add_i32 s12, s26, s7
	s_mul_i32 s13, s12, 0x48
	v_mov_b32_e32 v6, s13
	ds_read_b64 v[6:7], v6
	s_add_i32 s26, s26, 1
	s_add_i32 s27, s27, 8
	v_lshl_add_u32 v8, s12, 6, v10
	s_cmp_eq_u32 s26, s18
	s_waitcnt lgkmcnt(0)
	v_mul_f32_e32 v11, v7, v2
	v_mul_f32_e32 v12, v6, v2
	v_fma_f32 v11, v6, v1, -v11
	v_fmac_f32_e32 v12, v7, v1
	ds_write_b64 v5, v[11:12]
	ds_write_b64 v8, v[11:12]
	s_cbranch_scc1 .LBB140_50
.LBB140_60:                             ;   Parent Loop BB140_48 Depth=1
                                        ;     Parent Loop BB140_51 Depth=2
                                        ; =>    This Loop Header: Depth=3
                                        ;         Child Loop BB140_62 Depth 4
	s_cmp_lg_u32 s26, 0
	v_lshl_add_u32 v5, s26, 3, v9
	s_cbranch_scc0 .LBB140_64
; %bb.61:                               ;   in Loop: Header=BB140_60 Depth=3
	ds_read_b64 v[1:2], v5
	v_mov_b32_e32 v6, v9
	s_mov_b32 s12, s27
	s_mov_b32 s13, s26
.LBB140_62:                             ;   Parent Loop BB140_48 Depth=1
                                        ;     Parent Loop BB140_51 Depth=2
                                        ;       Parent Loop BB140_60 Depth=3
                                        ; =>      This Inner Loop Header: Depth=4
	v_mov_b32_e32 v11, s12
	ds_read_b64 v[7:8], v6
	ds_read_b64 v[11:12], v11
	s_add_i32 s13, s13, -1
	s_add_i32 s12, s12, 64
	v_add_u32_e32 v6, 8, v6
	s_cmp_eq_u32 s13, 0
	s_waitcnt lgkmcnt(0)
	v_mul_f32_e32 v13, v12, v8
	v_mul_f32_e32 v8, v11, v8
	v_fma_f32 v11, v11, v7, -v13
	v_fmac_f32_e32 v8, v12, v7
	v_sub_f32_e32 v1, v1, v11
	v_sub_f32_e32 v2, v2, v8
	ds_write_b64 v5, v[1:2]
	s_cbranch_scc0 .LBB140_62
; %bb.63:                               ;   in Loop: Header=BB140_60 Depth=3
	s_branch .LBB140_59
.LBB140_64:                             ;   in Loop: Header=BB140_60 Depth=3
                                        ; implicit-def: $vgpr1
	s_cbranch_execz .LBB140_59
; %bb.65:                               ;   in Loop: Header=BB140_60 Depth=3
	ds_read_b64 v[1:2], v9
	s_branch .LBB140_59
.LBB140_66:
	s_waitcnt lgkmcnt(0)
	; wave barrier
	s_and_saveexec_b64 s[4:5], s[0:1]
	s_cbranch_execz .LBB140_70
; %bb.67:
	s_andn2_b64 vcc, exec, s[8:9]
	s_cbranch_vccnz .LBB140_70
; %bb.68:
	s_lshl_b64 s[0:1], s[16:17], 3
	s_add_u32 s2, s2, s0
	s_addc_u32 s3, s3, s1
	s_lshl_b64 s[0:1], s[10:11], 3
	s_add_u32 s4, s2, s0
	s_addc_u32 s5, s3, s1
	v_mad_i64_i32 v[1:2], s[2:3], s22, v0, 0
	s_mul_hi_i32 s1, s22, s6
	s_mul_i32 s0, s22, s6
	s_lshl_b64 s[0:1], s[0:1], 3
	s_add_u32 s0, s4, s0
	v_lshlrev_b64 v[1:2], 3, v[1:2]
	s_addc_u32 s1, s5, s1
	v_mov_b32_e32 v3, s1
	v_add_co_u32_e32 v1, vcc, s0, v1
	v_addc_co_u32_e32 v2, vcc, v3, v2, vcc
	v_mov_b32_e32 v3, 0x200
	v_lshl_or_b32 v0, v0, 3, v3
.LBB140_69:                             ; =>This Inner Loop Header: Depth=1
	ds_read_b64 v[3:4], v0
	s_add_i32 s24, s24, -1
	v_add_u32_e32 v0, 64, v0
	s_cmp_lg_u32 s24, 0
	s_waitcnt lgkmcnt(0)
	global_store_dwordx2 v[1:2], v[3:4], off
	v_add_co_u32_e32 v1, vcc, 8, v1
	v_addc_co_u32_e32 v2, vcc, 0, v2, vcc
	s_cbranch_scc1 .LBB140_69
.LBB140_70:
	s_endpgm
	.section	.rodata,"a",@progbits
	.p2align	6, 0x0
	.amdhsa_kernel _ZL38rocblas_trsm_small_left_device_sharedBILi8ELi8ELb1E19rocblas_complex_numIfES1_PKS1_PS1_Ev13rocblas_fill_18rocblas_operation_17rocblas_diagonal_iiT3_T4_lilT5_lili
		.amdhsa_group_segment_fixed_size 1536
		.amdhsa_private_segment_fixed_size 0
		.amdhsa_kernarg_size 360
		.amdhsa_user_sgpr_count 8
		.amdhsa_user_sgpr_private_segment_buffer 1
		.amdhsa_user_sgpr_dispatch_ptr 1
		.amdhsa_user_sgpr_queue_ptr 0
		.amdhsa_user_sgpr_kernarg_segment_ptr 1
		.amdhsa_user_sgpr_dispatch_id 0
		.amdhsa_user_sgpr_flat_scratch_init 0
		.amdhsa_user_sgpr_private_segment_size 0
		.amdhsa_uses_dynamic_stack 0
		.amdhsa_system_sgpr_private_segment_wavefront_offset 0
		.amdhsa_system_sgpr_workgroup_id_x 1
		.amdhsa_system_sgpr_workgroup_id_y 0
		.amdhsa_system_sgpr_workgroup_id_z 1
		.amdhsa_system_sgpr_workgroup_info 0
		.amdhsa_system_vgpr_workitem_id 2
		.amdhsa_next_free_vgpr 35
		.amdhsa_next_free_sgpr 32
		.amdhsa_reserve_vcc 1
		.amdhsa_reserve_flat_scratch 0
		.amdhsa_float_round_mode_32 0
		.amdhsa_float_round_mode_16_64 0
		.amdhsa_float_denorm_mode_32 3
		.amdhsa_float_denorm_mode_16_64 3
		.amdhsa_dx10_clamp 1
		.amdhsa_ieee_mode 1
		.amdhsa_fp16_overflow 0
		.amdhsa_exception_fp_ieee_invalid_op 0
		.amdhsa_exception_fp_denorm_src 0
		.amdhsa_exception_fp_ieee_div_zero 0
		.amdhsa_exception_fp_ieee_overflow 0
		.amdhsa_exception_fp_ieee_underflow 0
		.amdhsa_exception_fp_ieee_inexact 0
		.amdhsa_exception_int_div_zero 0
	.end_amdhsa_kernel
	.section	.text._ZL38rocblas_trsm_small_left_device_sharedBILi8ELi8ELb1E19rocblas_complex_numIfES1_PKS1_PS1_Ev13rocblas_fill_18rocblas_operation_17rocblas_diagonal_iiT3_T4_lilT5_lili,"axG",@progbits,_ZL38rocblas_trsm_small_left_device_sharedBILi8ELi8ELb1E19rocblas_complex_numIfES1_PKS1_PS1_Ev13rocblas_fill_18rocblas_operation_17rocblas_diagonal_iiT3_T4_lilT5_lili,comdat
.Lfunc_end140:
	.size	_ZL38rocblas_trsm_small_left_device_sharedBILi8ELi8ELb1E19rocblas_complex_numIfES1_PKS1_PS1_Ev13rocblas_fill_18rocblas_operation_17rocblas_diagonal_iiT3_T4_lilT5_lili, .Lfunc_end140-_ZL38rocblas_trsm_small_left_device_sharedBILi8ELi8ELb1E19rocblas_complex_numIfES1_PKS1_PS1_Ev13rocblas_fill_18rocblas_operation_17rocblas_diagonal_iiT3_T4_lilT5_lili
                                        ; -- End function
	.set _ZL38rocblas_trsm_small_left_device_sharedBILi8ELi8ELb1E19rocblas_complex_numIfES1_PKS1_PS1_Ev13rocblas_fill_18rocblas_operation_17rocblas_diagonal_iiT3_T4_lilT5_lili.num_vgpr, 35
	.set _ZL38rocblas_trsm_small_left_device_sharedBILi8ELi8ELb1E19rocblas_complex_numIfES1_PKS1_PS1_Ev13rocblas_fill_18rocblas_operation_17rocblas_diagonal_iiT3_T4_lilT5_lili.num_agpr, 0
	.set _ZL38rocblas_trsm_small_left_device_sharedBILi8ELi8ELb1E19rocblas_complex_numIfES1_PKS1_PS1_Ev13rocblas_fill_18rocblas_operation_17rocblas_diagonal_iiT3_T4_lilT5_lili.numbered_sgpr, 32
	.set _ZL38rocblas_trsm_small_left_device_sharedBILi8ELi8ELb1E19rocblas_complex_numIfES1_PKS1_PS1_Ev13rocblas_fill_18rocblas_operation_17rocblas_diagonal_iiT3_T4_lilT5_lili.num_named_barrier, 0
	.set _ZL38rocblas_trsm_small_left_device_sharedBILi8ELi8ELb1E19rocblas_complex_numIfES1_PKS1_PS1_Ev13rocblas_fill_18rocblas_operation_17rocblas_diagonal_iiT3_T4_lilT5_lili.private_seg_size, 0
	.set _ZL38rocblas_trsm_small_left_device_sharedBILi8ELi8ELb1E19rocblas_complex_numIfES1_PKS1_PS1_Ev13rocblas_fill_18rocblas_operation_17rocblas_diagonal_iiT3_T4_lilT5_lili.uses_vcc, 1
	.set _ZL38rocblas_trsm_small_left_device_sharedBILi8ELi8ELb1E19rocblas_complex_numIfES1_PKS1_PS1_Ev13rocblas_fill_18rocblas_operation_17rocblas_diagonal_iiT3_T4_lilT5_lili.uses_flat_scratch, 0
	.set _ZL38rocblas_trsm_small_left_device_sharedBILi8ELi8ELb1E19rocblas_complex_numIfES1_PKS1_PS1_Ev13rocblas_fill_18rocblas_operation_17rocblas_diagonal_iiT3_T4_lilT5_lili.has_dyn_sized_stack, 0
	.set _ZL38rocblas_trsm_small_left_device_sharedBILi8ELi8ELb1E19rocblas_complex_numIfES1_PKS1_PS1_Ev13rocblas_fill_18rocblas_operation_17rocblas_diagonal_iiT3_T4_lilT5_lili.has_recursion, 0
	.set _ZL38rocblas_trsm_small_left_device_sharedBILi8ELi8ELb1E19rocblas_complex_numIfES1_PKS1_PS1_Ev13rocblas_fill_18rocblas_operation_17rocblas_diagonal_iiT3_T4_lilT5_lili.has_indirect_call, 0
	.section	.AMDGPU.csdata,"",@progbits
; Kernel info:
; codeLenInByte = 4756
; TotalNumSgprs: 36
; NumVgprs: 35
; ScratchSize: 0
; MemoryBound: 0
; FloatMode: 240
; IeeeMode: 1
; LDSByteSize: 1536 bytes/workgroup (compile time only)
; SGPRBlocks: 4
; VGPRBlocks: 8
; NumSGPRsForWavesPerEU: 36
; NumVGPRsForWavesPerEU: 35
; Occupancy: 7
; WaveLimiterHint : 0
; COMPUTE_PGM_RSRC2:SCRATCH_EN: 0
; COMPUTE_PGM_RSRC2:USER_SGPR: 8
; COMPUTE_PGM_RSRC2:TRAP_HANDLER: 0
; COMPUTE_PGM_RSRC2:TGID_X_EN: 1
; COMPUTE_PGM_RSRC2:TGID_Y_EN: 0
; COMPUTE_PGM_RSRC2:TGID_Z_EN: 1
; COMPUTE_PGM_RSRC2:TIDIG_COMP_CNT: 2
	.section	.text._ZL30rocblas_trsm_small_left_deviceILi8ELi8ELb1E19rocblas_complex_numIfES1_PKS1_PS1_Ev13rocblas_fill_18rocblas_operation_17rocblas_diagonal_iiT3_T4_lilT5_lili,"axG",@progbits,_ZL30rocblas_trsm_small_left_deviceILi8ELi8ELb1E19rocblas_complex_numIfES1_PKS1_PS1_Ev13rocblas_fill_18rocblas_operation_17rocblas_diagonal_iiT3_T4_lilT5_lili,comdat
	.globl	_ZL30rocblas_trsm_small_left_deviceILi8ELi8ELb1E19rocblas_complex_numIfES1_PKS1_PS1_Ev13rocblas_fill_18rocblas_operation_17rocblas_diagonal_iiT3_T4_lilT5_lili ; -- Begin function _ZL30rocblas_trsm_small_left_deviceILi8ELi8ELb1E19rocblas_complex_numIfES1_PKS1_PS1_Ev13rocblas_fill_18rocblas_operation_17rocblas_diagonal_iiT3_T4_lilT5_lili
	.p2align	8
	.type	_ZL30rocblas_trsm_small_left_deviceILi8ELi8ELb1E19rocblas_complex_numIfES1_PKS1_PS1_Ev13rocblas_fill_18rocblas_operation_17rocblas_diagonal_iiT3_T4_lilT5_lili,@function
_ZL30rocblas_trsm_small_left_deviceILi8ELi8ELb1E19rocblas_complex_numIfES1_PKS1_PS1_Ev13rocblas_fill_18rocblas_operation_17rocblas_diagonal_iiT3_T4_lilT5_lili: ; @_ZL30rocblas_trsm_small_left_deviceILi8ELi8ELb1E19rocblas_complex_numIfES1_PKS1_PS1_Ev13rocblas_fill_18rocblas_operation_17rocblas_diagonal_iiT3_T4_lilT5_lili
; %bb.0:
	s_load_dwordx4 s[12:15], s[6:7], 0x4
	s_load_dwordx2 s[10:11], s[6:7], 0x14
	s_load_dwordx4 s[0:3], s[6:7], 0x38
	s_load_dwordx2 s[16:17], s[6:7], 0x48
	s_load_dword s25, s[6:7], 0x68
	s_waitcnt lgkmcnt(0)
	s_min_i32 s24, s14, 8
	v_cmp_gt_i32_e32 vcc, s24, v0
	s_and_saveexec_b64 s[18:19], vcc
	s_cbranch_execz .LBB141_15
; %bb.1:
	s_load_dword s22, s[6:7], 0x30
	s_load_dwordx4 s[28:31], s[6:7], 0x20
	s_mul_i32 s1, s1, s9
	s_mul_hi_u32 s14, s0, s9
	s_mul_i32 s0, s0, s9
	s_waitcnt lgkmcnt(0)
	s_ashr_i32 s23, s22, 31
	s_cmpk_lg_i32 s12, 0x71
	s_cselect_b64 s[20:21], -1, 0
	s_add_i32 s1, s14, s1
	s_lshl_b64 s[0:1], s[0:1], 3
	s_lshl_b64 s[26:27], s[30:31], 3
	s_add_u32 s0, s0, s26
	s_addc_u32 s1, s1, s27
	s_add_u32 s0, s28, s0
	v_lshlrev_b32_e32 v7, 3, v0
	s_addc_u32 s1, s29, s1
	v_mov_b32_e32 v3, s1
	v_add_co_u32_e32 v4, vcc, s0, v7
	v_addc_co_u32_e32 v5, vcc, 0, v3, vcc
	v_add_co_u32_e32 v3, vcc, 4, v4
	s_lshl_b64 s[0:1], s[22:23], 3
	v_addc_co_u32_e32 v4, vcc, 0, v5, vcc
	v_mov_b32_e32 v8, s1
	v_mov_b32_e32 v9, v7
	s_mov_b32 s1, s24
	s_branch .LBB141_3
.LBB141_2:                              ;   in Loop: Header=BB141_3 Depth=1
	global_load_dword v5, v[3:4], off offset:-4
	s_add_i32 s1, s1, -1
	v_add_co_u32_e32 v3, vcc, s0, v3
	v_addc_co_u32_e32 v4, vcc, v4, v8, vcc
	s_cmp_eq_u32 s1, 0
	s_waitcnt vmcnt(0)
	ds_write_b64 v9, v[5:6]
	v_add_u32_e32 v9, 64, v9
	s_cbranch_scc1 .LBB141_7
.LBB141_3:                              ; =>This Inner Loop Header: Depth=1
	s_mov_b64 s[22:23], -1
	s_and_b64 vcc, exec, s[20:21]
                                        ; implicit-def: $vgpr6
	s_cbranch_vccz .LBB141_5
; %bb.4:                                ;   in Loop: Header=BB141_3 Depth=1
	global_load_dword v6, v[3:4], off
	s_mov_b64 s[22:23], 0
.LBB141_5:                              ;   in Loop: Header=BB141_3 Depth=1
	s_andn2_b64 vcc, exec, s[22:23]
	s_cbranch_vccnz .LBB141_2
; %bb.6:                                ;   in Loop: Header=BB141_3 Depth=1
	global_load_dword v5, v[3:4], off
	s_waitcnt vmcnt(0)
	v_xor_b32_e32 v6, 0x80000000, v5
	s_branch .LBB141_2
.LBB141_7:
	s_cmpk_lg_i32 s13, 0x84
	v_lshlrev_b32_e32 v8, 6, v0
	s_mov_b64 s[0:1], -1
	s_cbranch_scc0 .LBB141_13
; %bb.8:
	v_add_u32_e32 v9, v7, v8
	ds_read_b64 v[3:4], v9
                                        ; implicit-def: $vgpr5
	s_waitcnt lgkmcnt(0)
	v_cmp_ngt_f32_e64 s[0:1], |v3|, |v4|
	s_and_saveexec_b64 s[20:21], s[0:1]
	s_xor_b64 s[0:1], exec, s[20:21]
	s_cbranch_execz .LBB141_10
; %bb.9:
	v_div_scale_f32 v5, s[20:21], v4, v4, v3
	v_div_scale_f32 v6, vcc, v3, v4, v3
	v_rcp_f32_e32 v10, v5
	v_fma_f32 v11, -v5, v10, 1.0
	v_fmac_f32_e32 v10, v11, v10
	v_mul_f32_e32 v11, v6, v10
	v_fma_f32 v12, -v5, v11, v6
	v_fmac_f32_e32 v11, v12, v10
	v_fma_f32 v5, -v5, v11, v6
	v_div_fmas_f32 v5, v5, v10, v11
	v_div_fixup_f32 v5, v5, v4, v3
	v_fmac_f32_e32 v4, v3, v5
	v_div_scale_f32 v3, s[20:21], v4, v4, 1.0
	v_div_scale_f32 v6, vcc, 1.0, v4, 1.0
	v_rcp_f32_e32 v10, v3
	v_fma_f32 v11, -v3, v10, 1.0
	v_fmac_f32_e32 v10, v11, v10
	v_mul_f32_e32 v11, v6, v10
	v_fma_f32 v12, -v3, v11, v6
	v_fmac_f32_e32 v11, v12, v10
	v_fma_f32 v3, -v3, v11, v6
	v_div_fmas_f32 v3, v3, v10, v11
	v_add_f32_e32 v6, 0, v5
	v_fma_f32 v10, v5, 0, -1.0
	v_div_fixup_f32 v3, v3, v4, 1.0
	v_mul_f32_e32 v5, v6, v3
	v_mul_f32_e32 v6, v10, v3
                                        ; implicit-def: $vgpr3_vgpr4
.LBB141_10:
	s_andn2_saveexec_b64 s[0:1], s[0:1]
	s_cbranch_execz .LBB141_12
; %bb.11:
	v_div_scale_f32 v5, s[20:21], v3, v3, v4
	v_div_scale_f32 v6, vcc, v4, v3, v4
	v_rcp_f32_e32 v10, v5
	v_fma_f32 v11, -v5, v10, 1.0
	v_fmac_f32_e32 v10, v11, v10
	v_mul_f32_e32 v11, v6, v10
	v_fma_f32 v12, -v5, v11, v6
	v_fmac_f32_e32 v11, v12, v10
	v_fma_f32 v5, -v5, v11, v6
	v_div_fmas_f32 v5, v5, v10, v11
	v_div_fixup_f32 v6, v5, v3, v4
	v_fmac_f32_e32 v3, v4, v6
	v_div_scale_f32 v4, s[20:21], v3, v3, 1.0
	v_div_scale_f32 v5, vcc, 1.0, v3, 1.0
	v_rcp_f32_e32 v10, v4
	v_fma_f32 v11, -v4, v10, 1.0
	v_fmac_f32_e32 v10, v11, v10
	v_mul_f32_e32 v11, v5, v10
	v_fma_f32 v12, -v4, v11, v5
	v_fmac_f32_e32 v11, v12, v10
	v_fma_f32 v4, -v4, v11, v5
	v_div_fmas_f32 v4, v4, v10, v11
	v_fma_f32 v5, v6, 0, 1.0
	v_div_fixup_f32 v3, v4, v3, 1.0
	v_mul_f32_e32 v5, v5, v3
	v_mul_f32_e64 v6, -v6, v3
.LBB141_12:
	s_or_b64 exec, exec, s[0:1]
	s_mov_b64 s[0:1], 0
	ds_write_b64 v9, v[5:6]
.LBB141_13:
	s_and_b64 vcc, exec, s[0:1]
	s_cbranch_vccz .LBB141_15
; %bb.14:
	v_add_u32_e32 v5, v7, v8
	v_mov_b32_e32 v3, 1.0
	v_mov_b32_e32 v4, 0
	ds_write_b64 v5, v[3:4]
.LBB141_15:
	s_or_b64 exec, exec, s[18:19]
	s_lshl_b32 s13, s8, 3
	s_add_i32 s25, s25, -1
	s_sub_i32 s0, s15, s13
	s_cmp_ge_u32 s8, s25
	s_cselect_b32 s0, s0, 8
	v_cmp_gt_i32_e32 vcc, s0, v0
	s_waitcnt lgkmcnt(0)
	; wave barrier
	s_and_saveexec_b64 s[0:1], vcc
	s_cbranch_execz .LBB141_58
; %bb.16:
	s_load_dwordx2 s[0:1], s[4:5], 0x4
	s_load_dword s8, s[6:7], 0x50
	s_load_dwordx2 s[14:15], s[6:7], 0x58
	v_mov_b32_e32 v3, 0x200
	s_waitcnt lgkmcnt(0)
	s_lshr_b32 s0, s0, 16
	s_mul_i32 s0, s0, s1
	v_mul_u32_u24_e32 v1, s1, v1
	v_mul_u32_u24_e32 v4, s0, v0
	v_add3_u32 v1, v4, v1, v2
	s_mul_i32 s0, s15, s9
	s_mul_hi_u32 s1, s14, s9
	v_add_u32_e32 v0, s13, v0
	v_lshl_add_u32 v4, v1, 6, v3
	s_add_i32 s1, s1, s0
	s_mul_i32 s0, s14, s9
	v_mad_i64_i32 v[0:1], s[4:5], s8, v0, 0
	s_lshl_b64 s[0:1], s[0:1], 3
	s_add_u32 s6, s2, s0
	s_addc_u32 s7, s3, s1
	s_lshl_b64 s[4:5], s[16:17], 3
	s_add_u32 s6, s6, s4
	v_lshlrev_b64 v[0:1], 3, v[0:1]
	s_addc_u32 s7, s7, s5
	v_mov_b32_e32 v2, s7
	v_add_co_u32_e32 v5, vcc, s6, v0
	v_addc_co_u32_e32 v6, vcc, v2, v1, vcc
	s_cmpk_eq_i32 s12, 0x6f
	s_mov_b64 s[6:7], -1
	s_cbranch_scc1 .LBB141_37
; %bb.17:
	s_add_i32 s18, s24, -1
	s_add_u32 s6, s2, s4
	s_addc_u32 s7, s3, s5
	s_add_u32 s6, s6, s0
	s_addc_u32 s7, s7, s1
	v_mov_b32_e32 v2, s7
	v_add_co_u32_e32 v3, vcc, s6, v0
	v_addc_co_u32_e32 v2, vcc, v2, v1, vcc
	v_add_co_u32_e32 v7, vcc, 4, v3
	s_lshl_b32 s19, s24, 3
	s_mov_b32 s7, 0
	v_addc_co_u32_e32 v8, vcc, 0, v2, vcc
	s_add_i32 s19, s19, -8
	s_mov_b32 s6, s7
	s_mov_b32 s8, s18
	s_branch .LBB141_19
.LBB141_18:                             ;   in Loop: Header=BB141_19 Depth=1
	s_cmp_lt_i32 s8, 0
	s_cselect_b64 s[12:13], -1, 0
	s_add_i32 s6, s6, 1
	s_cmp_eq_u32 s6, 3
	s_cselect_b64 s[14:15], -1, 0
	s_or_b64 s[12:13], s[12:13], s[14:15]
	s_andn2_b64 vcc, exec, s[12:13]
	s_cbranch_vccz .LBB141_36
.LBB141_19:                             ; =>This Loop Header: Depth=1
                                        ;     Child Loop BB141_22 Depth 2
                                        ;       Child Loop BB141_23 Depth 3
                                        ;       Child Loop BB141_25 Depth 3
                                        ;         Child Loop BB141_26 Depth 4
                                        ;       Child Loop BB141_30 Depth 3
                                        ;         Child Loop BB141_32 Depth 4
	s_lshl_b64 s[12:13], s[6:7], 2
	s_getpc_b64 s[14:15]
	s_add_u32 s14, s14, __const._ZL30rocblas_trsm_small_left_deviceILi8ELi8ELb1E19rocblas_complex_numIfES1_PKS1_PS1_Ev13rocblas_fill_18rocblas_operation_17rocblas_diagonal_iiT3_T4_lilT5_lili.step_sizes@rel32@lo+4
	s_addc_u32 s15, s15, __const._ZL30rocblas_trsm_small_left_deviceILi8ELi8ELb1E19rocblas_complex_numIfES1_PKS1_PS1_Ev13rocblas_fill_18rocblas_operation_17rocblas_diagonal_iiT3_T4_lilT5_lili.step_sizes@rel32@hi+12
	s_add_u32 s12, s14, s12
	s_addc_u32 s13, s15, s13
	s_load_dword s20, s[12:13], 0x0
	s_waitcnt lgkmcnt(0)
	s_add_i32 s21, s20, -1
	s_cmp_lt_i32 s8, s21
	s_cbranch_scc1 .LBB141_18
; %bb.20:                               ;   in Loop: Header=BB141_19 Depth=1
	s_lshl_b32 s9, s8, 6
	s_add_i32 s23, s19, s9
	s_lshl_b32 s9, s20, 6
	s_max_i32 s22, s20, 1
	s_sub_i32 s25, 0, s9
	s_mul_i32 s26, s8, 0x48
	s_mul_i32 s27, s20, 0xffffffb8
	s_branch .LBB141_22
.LBB141_21:                             ;   in Loop: Header=BB141_22 Depth=2
	s_sub_i32 s8, s8, s20
	s_add_i32 s23, s23, s25
	s_add_i32 s26, s26, s27
	s_cmp_lt_i32 s8, s21
	s_cbranch_scc1 .LBB141_18
.LBB141_22:                             ;   Parent Loop BB141_19 Depth=1
                                        ; =>  This Loop Header: Depth=2
                                        ;       Child Loop BB141_23 Depth 3
                                        ;       Child Loop BB141_25 Depth 3
                                        ;         Child Loop BB141_26 Depth 4
                                        ;       Child Loop BB141_30 Depth 3
                                        ;         Child Loop BB141_32 Depth 4
	s_ashr_i32 s9, s8, 31
	s_lshl_b64 s[12:13], s[8:9], 3
	v_mov_b32_e32 v3, s13
	v_add_co_u32_e32 v2, vcc, s12, v7
	v_addc_co_u32_e32 v3, vcc, v8, v3, vcc
	v_mov_b32_e32 v9, v4
	s_mov_b32 s12, s22
.LBB141_23:                             ;   Parent Loop BB141_19 Depth=1
                                        ;     Parent Loop BB141_22 Depth=2
                                        ; =>    This Inner Loop Header: Depth=3
	global_load_dwordx2 v[10:11], v[2:3], off offset:-4
	s_add_i32 s12, s12, -1
	v_add_co_u32_e32 v2, vcc, -8, v2
	v_addc_co_u32_e32 v3, vcc, -1, v3, vcc
	s_cmp_eq_u32 s12, 0
	s_waitcnt vmcnt(0)
	v_mul_f32_e32 v13, s11, v11
	v_mul_f32_e32 v12, s10, v11
	v_fma_f32 v11, v10, s10, -v13
	v_fmac_f32_e32 v12, s11, v10
	ds_write_b64 v9, v[11:12]
	v_add_u32_e32 v9, 8, v9
	s_cbranch_scc0 .LBB141_23
; %bb.24:                               ;   in Loop: Header=BB141_22 Depth=2
	s_cmp_le_i32 s18, s8
	s_mov_b32 s14, s23
	s_mov_b32 s12, s18
	s_cbranch_scc1 .LBB141_28
.LBB141_25:                             ;   Parent Loop BB141_19 Depth=1
                                        ;     Parent Loop BB141_22 Depth=2
                                        ; =>    This Loop Header: Depth=3
                                        ;         Child Loop BB141_26 Depth 4
	s_ashr_i32 s13, s12, 31
	s_lshl_b64 s[16:17], s[12:13], 3
	v_mov_b32_e32 v3, s17
	v_add_co_u32_e32 v2, vcc, s16, v5
	v_addc_co_u32_e32 v3, vcc, v6, v3, vcc
	global_load_dwordx2 v[2:3], v[2:3], off
	v_mov_b32_e32 v9, v4
	s_mov_b32 s13, s14
	s_mov_b32 s15, s22
.LBB141_26:                             ;   Parent Loop BB141_19 Depth=1
                                        ;     Parent Loop BB141_22 Depth=2
                                        ;       Parent Loop BB141_25 Depth=3
                                        ; =>      This Inner Loop Header: Depth=4
	v_mov_b32_e32 v12, s13
	ds_read_b64 v[12:13], v12
	ds_read_b64 v[10:11], v9
	s_add_i32 s15, s15, -1
	s_sub_i32 s13, s13, 64
	s_cmp_eq_u32 s15, 0
	s_waitcnt vmcnt(0) lgkmcnt(1)
	v_mul_f32_e32 v14, v13, v3
	v_mul_f32_e32 v13, v13, v2
	v_fma_f32 v14, v12, v2, -v14
	v_fmac_f32_e32 v13, v12, v3
	s_waitcnt lgkmcnt(0)
	v_sub_f32_e32 v10, v10, v14
	v_sub_f32_e32 v11, v11, v13
	ds_write_b64 v9, v[10:11]
	v_add_u32_e32 v9, 8, v9
	s_cbranch_scc0 .LBB141_26
; %bb.27:                               ;   in Loop: Header=BB141_25 Depth=3
	s_add_i32 s12, s12, -1
	s_add_i32 s14, s14, -8
	s_cmp_le_i32 s12, s8
	s_cbranch_scc0 .LBB141_25
.LBB141_28:                             ;   in Loop: Header=BB141_22 Depth=2
	s_mov_b32 s28, 0
	s_mov_b32 s29, s26
	s_branch .LBB141_30
.LBB141_29:                             ;   in Loop: Header=BB141_30 Depth=3
	s_mulk_i32 s14, 0x48
	v_mov_b32_e32 v10, s14
	ds_read_b64 v[10:11], v10
	s_lshl_b64 s[12:13], s[12:13], 3
	v_mov_b32_e32 v14, s13
	s_add_i32 s28, s28, 1
	s_sub_i32 s29, s29, 64
	s_waitcnt lgkmcnt(0)
	v_mul_f32_e32 v12, v11, v3
	v_mul_f32_e32 v13, v10, v3
	v_fma_f32 v12, v10, v2, -v12
	v_fmac_f32_e32 v13, v11, v2
	v_add_co_u32_e32 v2, vcc, s12, v5
	v_addc_co_u32_e32 v3, vcc, v6, v14, vcc
	s_cmp_eq_u32 s28, s22
	ds_write_b64 v9, v[12:13]
	global_store_dwordx2 v[2:3], v[12:13], off
	s_cbranch_scc1 .LBB141_21
.LBB141_30:                             ;   Parent Loop BB141_19 Depth=1
                                        ;     Parent Loop BB141_22 Depth=2
                                        ; =>    This Loop Header: Depth=3
                                        ;         Child Loop BB141_32 Depth 4
	s_cmp_lg_u32 s28, 0
	v_lshl_add_u32 v9, s28, 3, v4
	s_cbranch_scc0 .LBB141_34
; %bb.31:                               ;   in Loop: Header=BB141_30 Depth=3
	ds_read_b64 v[2:3], v9
	v_mov_b32_e32 v10, v4
	s_mov_b32 s12, s29
	s_mov_b32 s13, s28
.LBB141_32:                             ;   Parent Loop BB141_19 Depth=1
                                        ;     Parent Loop BB141_22 Depth=2
                                        ;       Parent Loop BB141_30 Depth=3
                                        ; =>      This Inner Loop Header: Depth=4
	v_mov_b32_e32 v13, s12
	ds_read_b64 v[11:12], v10
	ds_read_b64 v[13:14], v13
	s_add_i32 s13, s13, -1
	s_add_i32 s12, s12, -8
	v_add_u32_e32 v10, 8, v10
	s_cmp_eq_u32 s13, 0
	s_waitcnt lgkmcnt(0)
	v_mul_f32_e32 v15, v14, v12
	v_mul_f32_e32 v12, v13, v12
	v_fma_f32 v13, v13, v11, -v15
	v_fmac_f32_e32 v12, v14, v11
	v_sub_f32_e32 v2, v2, v13
	v_sub_f32_e32 v3, v3, v12
	ds_write_b64 v9, v[2:3]
	s_cbranch_scc0 .LBB141_32
; %bb.33:                               ;   in Loop: Header=BB141_30 Depth=3
	s_sub_i32 s14, s8, s28
	s_ashr_i32 s15, s14, 31
	s_mov_b64 s[12:13], s[14:15]
	s_branch .LBB141_29
.LBB141_34:                             ;   in Loop: Header=BB141_30 Depth=3
                                        ; implicit-def: $vgpr2
                                        ; implicit-def: $sgpr14
                                        ; implicit-def: $sgpr12_sgpr13
	s_cbranch_execz .LBB141_29
; %bb.35:                               ;   in Loop: Header=BB141_30 Depth=3
	ds_read_b64 v[2:3], v4
	s_mov_b64 s[12:13], s[8:9]
	s_mov_b32 s14, s8
	s_branch .LBB141_29
.LBB141_36:
	s_mov_b64 s[6:7], 0
.LBB141_37:
	s_and_b64 vcc, exec, s[6:7]
	s_cbranch_vccz .LBB141_58
; %bb.38:
	s_add_u32 s2, s2, s4
	s_addc_u32 s3, s3, s5
	s_add_u32 s0, s2, s0
	s_addc_u32 s1, s3, s1
	v_mov_b32_e32 v2, s1
	v_add_co_u32_e32 v0, vcc, s0, v0
	v_addc_co_u32_e32 v1, vcc, v2, v1, vcc
	v_add_co_u32_e32 v7, vcc, 4, v0
	s_mov_b32 s1, 0
	v_addc_co_u32_e32 v8, vcc, 0, v1, vcc
	s_mov_b32 s2, s1
	s_mov_b32 s4, s1
	s_branch .LBB141_40
.LBB141_39:                             ;   in Loop: Header=BB141_40 Depth=1
	s_cmp_ge_i32 s2, s24
	s_cselect_b64 s[6:7], -1, 0
	s_add_i32 s4, s4, 1
	s_cmp_eq_u32 s4, 3
	s_cselect_b64 s[8:9], -1, 0
	s_or_b64 s[6:7], s[6:7], s[8:9]
	s_and_b64 vcc, exec, s[6:7]
	s_cbranch_vccnz .LBB141_58
.LBB141_40:                             ; =>This Loop Header: Depth=1
                                        ;     Child Loop BB141_43 Depth 2
                                        ;       Child Loop BB141_44 Depth 3
                                        ;       Child Loop BB141_47 Depth 3
                                        ;         Child Loop BB141_48 Depth 4
                                        ;       Child Loop BB141_52 Depth 3
                                        ;         Child Loop BB141_54 Depth 4
	s_mov_b32 s5, s1
	s_lshl_b64 s[6:7], s[4:5], 2
	s_getpc_b64 s[8:9]
	s_add_u32 s8, s8, __const._ZL30rocblas_trsm_small_left_deviceILi8ELi8ELb1E19rocblas_complex_numIfES1_PKS1_PS1_Ev13rocblas_fill_18rocblas_operation_17rocblas_diagonal_iiT3_T4_lilT5_lili.step_sizes@rel32@lo+4
	s_addc_u32 s9, s9, __const._ZL30rocblas_trsm_small_left_deviceILi8ELi8ELb1E19rocblas_complex_numIfES1_PKS1_PS1_Ev13rocblas_fill_18rocblas_operation_17rocblas_diagonal_iiT3_T4_lilT5_lili.step_sizes@rel32@hi+12
	s_add_u32 s6, s8, s6
	s_addc_u32 s7, s9, s7
	s_load_dword s6, s[6:7], 0x0
	s_waitcnt lgkmcnt(0)
	s_add_i32 s5, s6, -1
	s_add_i32 s0, s5, s2
	s_cmp_ge_i32 s0, s24
	s_cbranch_scc1 .LBB141_39
; %bb.41:                               ;   in Loop: Header=BB141_40 Depth=1
	s_ashr_i32 s3, s2, 31
	s_lshl_b64 s[8:9], s[2:3], 3
	v_mov_b32_e32 v1, s9
	v_add_co_u32_e32 v0, vcc, s8, v7
	s_ashr_i32 s7, s6, 31
	s_max_i32 s14, s6, 1
	v_addc_co_u32_e32 v1, vcc, v8, v1, vcc
	s_lshl_b64 s[8:9], s[6:7], 3
	s_lshl_b32 s3, s2, 3
	s_lshl_b32 s7, s6, 3
	s_mul_i32 s15, s2, 0x48
	s_mul_i32 s16, s6, 0x48
	s_branch .LBB141_43
.LBB141_42:                             ;   in Loop: Header=BB141_43 Depth=2
	s_add_i32 s2, s2, s6
	s_add_i32 s0, s5, s2
	v_mov_b32_e32 v2, s9
	s_add_i32 s3, s3, s7
	s_add_i32 s15, s15, s16
	v_add_co_u32_e32 v0, vcc, s8, v0
	s_cmp_ge_i32 s0, s24
	v_addc_co_u32_e32 v1, vcc, v1, v2, vcc
	s_cbranch_scc1 .LBB141_39
.LBB141_43:                             ;   Parent Loop BB141_40 Depth=1
                                        ; =>  This Loop Header: Depth=2
                                        ;       Child Loop BB141_44 Depth 3
                                        ;       Child Loop BB141_47 Depth 3
                                        ;         Child Loop BB141_48 Depth 4
                                        ;       Child Loop BB141_52 Depth 3
                                        ;         Child Loop BB141_54 Depth 4
	v_mov_b32_e32 v3, v1
	v_mov_b32_e32 v9, v4
	;; [unrolled: 1-line block ×3, first 2 shown]
	s_mov_b32 s0, s14
.LBB141_44:                             ;   Parent Loop BB141_40 Depth=1
                                        ;     Parent Loop BB141_43 Depth=2
                                        ; =>    This Inner Loop Header: Depth=3
	global_load_dwordx2 v[10:11], v[2:3], off offset:-4
	s_add_i32 s0, s0, -1
	v_add_co_u32_e32 v2, vcc, 8, v2
	v_addc_co_u32_e32 v3, vcc, 0, v3, vcc
	s_cmp_eq_u32 s0, 0
	s_waitcnt vmcnt(0)
	v_mul_f32_e32 v13, s11, v11
	v_mul_f32_e32 v12, s10, v11
	v_fma_f32 v11, v10, s10, -v13
	v_fmac_f32_e32 v12, s11, v10
	ds_write_b64 v9, v[11:12]
	v_add_u32_e32 v9, 8, v9
	s_cbranch_scc0 .LBB141_44
; %bb.45:                               ;   in Loop: Header=BB141_43 Depth=2
	s_cmp_lt_i32 s2, 1
	s_cbranch_scc1 .LBB141_50
; %bb.46:                               ;   in Loop: Header=BB141_43 Depth=2
	s_mov_b32 s0, 0
	s_mov_b32 s12, s3
.LBB141_47:                             ;   Parent Loop BB141_40 Depth=1
                                        ;     Parent Loop BB141_43 Depth=2
                                        ; =>    This Loop Header: Depth=3
                                        ;         Child Loop BB141_48 Depth 4
	s_lshl_b64 s[18:19], s[0:1], 3
	v_mov_b32_e32 v3, s19
	v_add_co_u32_e32 v2, vcc, s18, v5
	v_addc_co_u32_e32 v3, vcc, v6, v3, vcc
	global_load_dwordx2 v[2:3], v[2:3], off
	v_mov_b32_e32 v9, v4
	s_mov_b32 s13, s12
	s_mov_b32 s17, s14
.LBB141_48:                             ;   Parent Loop BB141_40 Depth=1
                                        ;     Parent Loop BB141_43 Depth=2
                                        ;       Parent Loop BB141_47 Depth=3
                                        ; =>      This Inner Loop Header: Depth=4
	v_mov_b32_e32 v12, s13
	ds_read_b64 v[12:13], v12
	ds_read_b64 v[10:11], v9
	s_add_i32 s17, s17, -1
	s_add_i32 s13, s13, 8
	s_cmp_eq_u32 s17, 0
	s_waitcnt vmcnt(0) lgkmcnt(1)
	v_mul_f32_e32 v14, v13, v3
	v_mul_f32_e32 v13, v13, v2
	v_fma_f32 v14, v12, v2, -v14
	v_fmac_f32_e32 v13, v12, v3
	s_waitcnt lgkmcnt(0)
	v_sub_f32_e32 v10, v10, v14
	v_sub_f32_e32 v11, v11, v13
	ds_write_b64 v9, v[10:11]
	v_add_u32_e32 v9, 8, v9
	s_cbranch_scc0 .LBB141_48
; %bb.49:                               ;   in Loop: Header=BB141_47 Depth=3
	s_add_i32 s0, s0, 1
	s_add_i32 s12, s12, 64
	s_cmp_eq_u32 s0, s2
	s_cbranch_scc0 .LBB141_47
.LBB141_50:                             ;   in Loop: Header=BB141_43 Depth=2
	s_mov_b32 s0, 0
	s_mov_b32 s17, s15
	s_branch .LBB141_52
.LBB141_51:                             ;   in Loop: Header=BB141_52 Depth=3
	s_add_i32 s12, s0, s2
	s_mul_i32 s13, s12, 0x48
	v_mov_b32_e32 v10, s13
	ds_read_b64 v[10:11], v10
	s_ashr_i32 s13, s12, 31
	s_lshl_b64 s[12:13], s[12:13], 3
	s_add_i32 s0, s0, 1
	s_add_i32 s17, s17, 8
	s_waitcnt lgkmcnt(0)
	v_mul_f32_e32 v12, v11, v3
	v_mul_f32_e32 v13, v10, v3
	v_fma_f32 v12, v10, v2, -v12
	v_fmac_f32_e32 v13, v11, v2
	v_mov_b32_e32 v3, s13
	v_add_co_u32_e32 v2, vcc, s12, v5
	v_addc_co_u32_e32 v3, vcc, v6, v3, vcc
	s_cmp_eq_u32 s0, s14
	ds_write_b64 v9, v[12:13]
	global_store_dwordx2 v[2:3], v[12:13], off
	s_cbranch_scc1 .LBB141_42
.LBB141_52:                             ;   Parent Loop BB141_40 Depth=1
                                        ;     Parent Loop BB141_43 Depth=2
                                        ; =>    This Loop Header: Depth=3
                                        ;         Child Loop BB141_54 Depth 4
	s_cmp_lg_u32 s0, 0
	v_lshl_add_u32 v9, s0, 3, v4
	s_cbranch_scc0 .LBB141_56
; %bb.53:                               ;   in Loop: Header=BB141_52 Depth=3
	ds_read_b64 v[2:3], v9
	v_mov_b32_e32 v10, v4
	s_mov_b32 s12, s17
	s_mov_b32 s13, s0
.LBB141_54:                             ;   Parent Loop BB141_40 Depth=1
                                        ;     Parent Loop BB141_43 Depth=2
                                        ;       Parent Loop BB141_52 Depth=3
                                        ; =>      This Inner Loop Header: Depth=4
	v_mov_b32_e32 v13, s12
	ds_read_b64 v[11:12], v10
	ds_read_b64 v[13:14], v13
	s_add_i32 s13, s13, -1
	s_add_i32 s12, s12, 64
	v_add_u32_e32 v10, 8, v10
	s_cmp_eq_u32 s13, 0
	s_waitcnt lgkmcnt(0)
	v_mul_f32_e32 v15, v14, v12
	v_mul_f32_e32 v12, v13, v12
	v_fma_f32 v13, v13, v11, -v15
	v_fmac_f32_e32 v12, v14, v11
	v_sub_f32_e32 v2, v2, v13
	v_sub_f32_e32 v3, v3, v12
	ds_write_b64 v9, v[2:3]
	s_cbranch_scc0 .LBB141_54
; %bb.55:                               ;   in Loop: Header=BB141_52 Depth=3
	s_branch .LBB141_51
.LBB141_56:                             ;   in Loop: Header=BB141_52 Depth=3
                                        ; implicit-def: $vgpr2
	s_cbranch_execz .LBB141_51
; %bb.57:                               ;   in Loop: Header=BB141_52 Depth=3
	ds_read_b64 v[2:3], v4
	s_branch .LBB141_51
.LBB141_58:
	s_endpgm
	.section	.rodata,"a",@progbits
	.p2align	6, 0x0
	.amdhsa_kernel _ZL30rocblas_trsm_small_left_deviceILi8ELi8ELb1E19rocblas_complex_numIfES1_PKS1_PS1_Ev13rocblas_fill_18rocblas_operation_17rocblas_diagonal_iiT3_T4_lilT5_lili
		.amdhsa_group_segment_fixed_size 1024
		.amdhsa_private_segment_fixed_size 0
		.amdhsa_kernarg_size 360
		.amdhsa_user_sgpr_count 8
		.amdhsa_user_sgpr_private_segment_buffer 1
		.amdhsa_user_sgpr_dispatch_ptr 1
		.amdhsa_user_sgpr_queue_ptr 0
		.amdhsa_user_sgpr_kernarg_segment_ptr 1
		.amdhsa_user_sgpr_dispatch_id 0
		.amdhsa_user_sgpr_flat_scratch_init 0
		.amdhsa_user_sgpr_private_segment_size 0
		.amdhsa_uses_dynamic_stack 0
		.amdhsa_system_sgpr_private_segment_wavefront_offset 0
		.amdhsa_system_sgpr_workgroup_id_x 1
		.amdhsa_system_sgpr_workgroup_id_y 0
		.amdhsa_system_sgpr_workgroup_id_z 1
		.amdhsa_system_sgpr_workgroup_info 0
		.amdhsa_system_vgpr_workitem_id 2
		.amdhsa_next_free_vgpr 16
		.amdhsa_next_free_sgpr 32
		.amdhsa_reserve_vcc 1
		.amdhsa_reserve_flat_scratch 0
		.amdhsa_float_round_mode_32 0
		.amdhsa_float_round_mode_16_64 0
		.amdhsa_float_denorm_mode_32 3
		.amdhsa_float_denorm_mode_16_64 3
		.amdhsa_dx10_clamp 1
		.amdhsa_ieee_mode 1
		.amdhsa_fp16_overflow 0
		.amdhsa_exception_fp_ieee_invalid_op 0
		.amdhsa_exception_fp_denorm_src 0
		.amdhsa_exception_fp_ieee_div_zero 0
		.amdhsa_exception_fp_ieee_overflow 0
		.amdhsa_exception_fp_ieee_underflow 0
		.amdhsa_exception_fp_ieee_inexact 0
		.amdhsa_exception_int_div_zero 0
	.end_amdhsa_kernel
	.section	.text._ZL30rocblas_trsm_small_left_deviceILi8ELi8ELb1E19rocblas_complex_numIfES1_PKS1_PS1_Ev13rocblas_fill_18rocblas_operation_17rocblas_diagonal_iiT3_T4_lilT5_lili,"axG",@progbits,_ZL30rocblas_trsm_small_left_deviceILi8ELi8ELb1E19rocblas_complex_numIfES1_PKS1_PS1_Ev13rocblas_fill_18rocblas_operation_17rocblas_diagonal_iiT3_T4_lilT5_lili,comdat
.Lfunc_end141:
	.size	_ZL30rocblas_trsm_small_left_deviceILi8ELi8ELb1E19rocblas_complex_numIfES1_PKS1_PS1_Ev13rocblas_fill_18rocblas_operation_17rocblas_diagonal_iiT3_T4_lilT5_lili, .Lfunc_end141-_ZL30rocblas_trsm_small_left_deviceILi8ELi8ELb1E19rocblas_complex_numIfES1_PKS1_PS1_Ev13rocblas_fill_18rocblas_operation_17rocblas_diagonal_iiT3_T4_lilT5_lili
                                        ; -- End function
	.set _ZL30rocblas_trsm_small_left_deviceILi8ELi8ELb1E19rocblas_complex_numIfES1_PKS1_PS1_Ev13rocblas_fill_18rocblas_operation_17rocblas_diagonal_iiT3_T4_lilT5_lili.num_vgpr, 16
	.set _ZL30rocblas_trsm_small_left_deviceILi8ELi8ELb1E19rocblas_complex_numIfES1_PKS1_PS1_Ev13rocblas_fill_18rocblas_operation_17rocblas_diagonal_iiT3_T4_lilT5_lili.num_agpr, 0
	.set _ZL30rocblas_trsm_small_left_deviceILi8ELi8ELb1E19rocblas_complex_numIfES1_PKS1_PS1_Ev13rocblas_fill_18rocblas_operation_17rocblas_diagonal_iiT3_T4_lilT5_lili.numbered_sgpr, 32
	.set _ZL30rocblas_trsm_small_left_deviceILi8ELi8ELb1E19rocblas_complex_numIfES1_PKS1_PS1_Ev13rocblas_fill_18rocblas_operation_17rocblas_diagonal_iiT3_T4_lilT5_lili.num_named_barrier, 0
	.set _ZL30rocblas_trsm_small_left_deviceILi8ELi8ELb1E19rocblas_complex_numIfES1_PKS1_PS1_Ev13rocblas_fill_18rocblas_operation_17rocblas_diagonal_iiT3_T4_lilT5_lili.private_seg_size, 0
	.set _ZL30rocblas_trsm_small_left_deviceILi8ELi8ELb1E19rocblas_complex_numIfES1_PKS1_PS1_Ev13rocblas_fill_18rocblas_operation_17rocblas_diagonal_iiT3_T4_lilT5_lili.uses_vcc, 1
	.set _ZL30rocblas_trsm_small_left_deviceILi8ELi8ELb1E19rocblas_complex_numIfES1_PKS1_PS1_Ev13rocblas_fill_18rocblas_operation_17rocblas_diagonal_iiT3_T4_lilT5_lili.uses_flat_scratch, 0
	.set _ZL30rocblas_trsm_small_left_deviceILi8ELi8ELb1E19rocblas_complex_numIfES1_PKS1_PS1_Ev13rocblas_fill_18rocblas_operation_17rocblas_diagonal_iiT3_T4_lilT5_lili.has_dyn_sized_stack, 0
	.set _ZL30rocblas_trsm_small_left_deviceILi8ELi8ELb1E19rocblas_complex_numIfES1_PKS1_PS1_Ev13rocblas_fill_18rocblas_operation_17rocblas_diagonal_iiT3_T4_lilT5_lili.has_recursion, 0
	.set _ZL30rocblas_trsm_small_left_deviceILi8ELi8ELb1E19rocblas_complex_numIfES1_PKS1_PS1_Ev13rocblas_fill_18rocblas_operation_17rocblas_diagonal_iiT3_T4_lilT5_lili.has_indirect_call, 0
	.section	.AMDGPU.csdata,"",@progbits
; Kernel info:
; codeLenInByte = 2364
; TotalNumSgprs: 36
; NumVgprs: 16
; ScratchSize: 0
; MemoryBound: 0
; FloatMode: 240
; IeeeMode: 1
; LDSByteSize: 1024 bytes/workgroup (compile time only)
; SGPRBlocks: 4
; VGPRBlocks: 3
; NumSGPRsForWavesPerEU: 36
; NumVGPRsForWavesPerEU: 16
; Occupancy: 10
; WaveLimiterHint : 0
; COMPUTE_PGM_RSRC2:SCRATCH_EN: 0
; COMPUTE_PGM_RSRC2:USER_SGPR: 8
; COMPUTE_PGM_RSRC2:TRAP_HANDLER: 0
; COMPUTE_PGM_RSRC2:TGID_X_EN: 1
; COMPUTE_PGM_RSRC2:TGID_Y_EN: 0
; COMPUTE_PGM_RSRC2:TGID_Z_EN: 1
; COMPUTE_PGM_RSRC2:TIDIG_COMP_CNT: 2
	.section	.text._ZL31rocblas_trsm_small_right_deviceI19rocblas_complex_numIfES1_PKS1_PS1_Li8EEv13rocblas_fill_18rocblas_operation_17rocblas_diagonal_iiT0_T1_lilT2_lili,"axG",@progbits,_ZL31rocblas_trsm_small_right_deviceI19rocblas_complex_numIfES1_PKS1_PS1_Li8EEv13rocblas_fill_18rocblas_operation_17rocblas_diagonal_iiT0_T1_lilT2_lili,comdat
	.globl	_ZL31rocblas_trsm_small_right_deviceI19rocblas_complex_numIfES1_PKS1_PS1_Li8EEv13rocblas_fill_18rocblas_operation_17rocblas_diagonal_iiT0_T1_lilT2_lili ; -- Begin function _ZL31rocblas_trsm_small_right_deviceI19rocblas_complex_numIfES1_PKS1_PS1_Li8EEv13rocblas_fill_18rocblas_operation_17rocblas_diagonal_iiT0_T1_lilT2_lili
	.p2align	8
	.type	_ZL31rocblas_trsm_small_right_deviceI19rocblas_complex_numIfES1_PKS1_PS1_Li8EEv13rocblas_fill_18rocblas_operation_17rocblas_diagonal_iiT0_T1_lilT2_lili,@function
_ZL31rocblas_trsm_small_right_deviceI19rocblas_complex_numIfES1_PKS1_PS1_Li8EEv13rocblas_fill_18rocblas_operation_17rocblas_diagonal_iiT0_T1_lilT2_lili: ; @_ZL31rocblas_trsm_small_right_deviceI19rocblas_complex_numIfES1_PKS1_PS1_Li8EEv13rocblas_fill_18rocblas_operation_17rocblas_diagonal_iiT0_T1_lilT2_lili
; %bb.0:
	s_load_dwordx8 s[8:15], s[4:5], 0x0
	s_load_dwordx4 s[0:3], s[4:5], 0x38
	s_load_dwordx2 s[16:17], s[4:5], 0x48
	s_waitcnt lgkmcnt(0)
	s_min_i32 s24, s12, 8
	v_cmp_gt_i32_e32 vcc, s24, v0
	s_and_saveexec_b64 s[18:19], vcc
	s_cbranch_execz .LBB142_9
; %bb.1:
	s_load_dword s22, s[4:5], 0x30
	s_load_dwordx4 s[28:31], s[4:5], 0x20
	s_mul_i32 s1, s1, s7
	s_mul_hi_u32 s15, s0, s7
	s_mul_i32 s0, s0, s7
	s_waitcnt lgkmcnt(0)
	s_ashr_i32 s23, s22, 31
	s_cmpk_lg_i32 s9, 0x71
	s_cselect_b64 s[20:21], -1, 0
	s_add_i32 s1, s15, s1
	s_lshl_b64 s[0:1], s[0:1], 3
	s_lshl_b64 s[26:27], s[30:31], 3
	s_add_u32 s0, s0, s26
	s_addc_u32 s1, s1, s27
	s_add_u32 s0, s28, s0
	v_lshlrev_b32_e32 v5, 3, v0
	s_addc_u32 s1, s29, s1
	v_mov_b32_e32 v1, s1
	v_add_co_u32_e32 v2, vcc, s0, v5
	v_addc_co_u32_e32 v3, vcc, 0, v1, vcc
	v_add_co_u32_e32 v1, vcc, 4, v2
	s_lshl_b64 s[0:1], s[22:23], 3
	v_addc_co_u32_e32 v2, vcc, 0, v3, vcc
	v_mov_b32_e32 v6, s1
	v_mov_b32_e32 v7, v5
	s_mov_b32 s1, s24
	s_branch .LBB142_3
.LBB142_2:                              ;   in Loop: Header=BB142_3 Depth=1
	global_load_dword v3, v[1:2], off offset:-4
	s_add_i32 s1, s1, -1
	v_add_co_u32_e32 v1, vcc, s0, v1
	v_addc_co_u32_e32 v2, vcc, v2, v6, vcc
	s_cmp_eq_u32 s1, 0
	s_waitcnt vmcnt(0)
	ds_write_b64 v7, v[3:4]
	v_add_u32_e32 v7, 64, v7
	s_cbranch_scc1 .LBB142_7
.LBB142_3:                              ; =>This Inner Loop Header: Depth=1
	s_mov_b64 s[22:23], -1
	s_and_b64 vcc, exec, s[20:21]
                                        ; implicit-def: $vgpr4
	s_cbranch_vccz .LBB142_5
; %bb.4:                                ;   in Loop: Header=BB142_3 Depth=1
	global_load_dword v4, v[1:2], off
	s_mov_b64 s[22:23], 0
.LBB142_5:                              ;   in Loop: Header=BB142_3 Depth=1
	s_andn2_b64 vcc, exec, s[22:23]
	s_cbranch_vccnz .LBB142_2
; %bb.6:                                ;   in Loop: Header=BB142_3 Depth=1
	global_load_dword v3, v[1:2], off
	s_waitcnt vmcnt(0)
	v_xor_b32_e32 v4, 0x80000000, v3
	s_branch .LBB142_2
.LBB142_7:
	s_cmpk_eq_i32 s10, 0x84
	s_cbranch_scc0 .LBB142_9
; %bb.8:
	v_lshl_or_b32 v3, v0, 6, v5
	v_mov_b32_e32 v1, 1.0
	v_mov_b32_e32 v2, 0
	ds_write_b64 v3, v[1:2]
.LBB142_9:
	s_or_b64 exec, exec, s[18:19]
	s_load_dword s0, s[4:5], 0x68
	s_load_dwordx2 s[18:19], s[4:5], 0x58
	s_load_dword s10, s[4:5], 0x50
	s_waitcnt lgkmcnt(0)
	s_add_i32 s0, s0, -1
	s_mul_i32 s1, s19, s7
	s_mul_hi_u32 s5, s18, s7
	s_add_i32 s5, s5, s1
	s_lshl_b32 s1, s6, 3
	s_sub_i32 s1, s11, s1
	s_cmp_ge_u32 s6, s0
	s_mul_i32 s4, s18, s7
	s_cselect_b32 s0, s1, 8
	s_ashr_i32 s7, s6, 31
	s_lshl_b64 s[6:7], s[6:7], 6
	v_cmp_gt_i32_e64 s[0:1], s0, v0
	s_and_saveexec_b64 s[18:19], s[0:1]
	s_cbranch_execz .LBB142_13
; %bb.10:
	s_cmp_lt_i32 s12, 1
	s_cbranch_scc1 .LBB142_13
; %bb.11:
	s_ashr_i32 s11, s10, 31
	s_lshl_b64 s[20:21], s[4:5], 3
	s_add_u32 s15, s20, s6
	s_addc_u32 s22, s21, s7
	s_lshl_b64 s[20:21], s[16:17], 3
	s_add_u32 s15, s15, s20
	s_addc_u32 s20, s22, s21
	s_add_u32 s15, s2, s15
	v_lshlrev_b32_e32 v3, 3, v0
	s_addc_u32 s20, s3, s20
	v_mov_b32_e32 v1, s20
	v_add_co_u32_e32 v2, vcc, s15, v3
	v_addc_co_u32_e32 v4, vcc, 0, v1, vcc
	v_add_co_u32_e32 v1, vcc, 4, v2
	s_lshl_b64 s[20:21], s[10:11], 3
	v_addc_co_u32_e32 v2, vcc, 0, v4, vcc
	v_or_b32_e32 v3, 0x200, v3
	v_mov_b32_e32 v4, s21
	s_mov_b32 s11, s12
.LBB142_12:                             ; =>This Inner Loop Header: Depth=1
	global_load_dwordx2 v[5:6], v[1:2], off offset:-4
	s_add_i32 s11, s11, -1
	v_add_co_u32_e32 v1, vcc, s20, v1
	v_addc_co_u32_e32 v2, vcc, v2, v4, vcc
	s_cmp_lg_u32 s11, 0
	s_waitcnt vmcnt(0)
	v_mul_f32_e32 v8, s14, v6
	v_mul_f32_e32 v7, s13, v6
	v_fma_f32 v6, s13, v5, -v8
	v_fmac_f32_e32 v7, s14, v5
	ds_write_b64 v3, v[6:7]
	v_add_u32_e32 v3, 64, v3
	s_cbranch_scc1 .LBB142_12
.LBB142_13:
	s_or_b64 exec, exec, s[18:19]
	s_cmpk_eq_i32 s9, 0x6f
	s_cselect_b64 s[18:19], -1, 0
	s_cmpk_lg_i32 s8, 0x79
	s_cselect_b64 s[14:15], -1, 0
	s_cmpk_eq_i32 s8, 0x79
	s_cselect_b64 s[20:21], -1, 0
	s_and_b64 s[20:21], s[20:21], s[18:19]
	s_andn2_b64 vcc, exec, s[20:21]
	s_mov_b64 s[20:21], -1
	s_waitcnt lgkmcnt(0)
	; wave barrier
	s_cbranch_vccz .LBB142_114
; %bb.14:
	s_cmpk_lg_i32 s8, 0x7a
	s_cselect_b64 s[8:9], -1, 0
	s_xor_b64 s[18:19], s[18:19], -1
	s_add_i32 s11, s24, -1
	s_or_b64 s[18:19], s[8:9], s[18:19]
	v_mov_b32_e32 v1, 0x200
	s_cmp_gt_i32 s12, 3
	v_lshl_or_b32 v13, v0, 3, v1
	s_cselect_b64 s[8:9], -1, 0
	s_and_b64 vcc, exec, s[18:19]
	s_cbranch_vccz .LBB142_81
; %bb.15:
	s_andn2_b64 vcc, exec, s[14:15]
	s_mov_b64 s[14:15], -1
	s_cbranch_vccnz .LBB142_48
; %bb.16:
	s_andn2_b64 vcc, exec, s[8:9]
	s_mov_b32 s19, 0
	s_cbranch_vccnz .LBB142_38
; %bb.17:
	v_mov_b32_e32 v1, 0x200
	v_lshl_or_b32 v14, v0, 3, v1
	s_mov_b32 s13, 0
	s_mov_b32 s18, 0
.LBB142_18:                             ; =>This Loop Header: Depth=1
                                        ;     Child Loop BB142_19 Depth 2
	s_lshl_b32 s14, s18, 6
	v_add_u32_e32 v18, s14, v13
	s_or_b32 s15, s18, 1
	s_or_b32 s20, s18, 2
	;; [unrolled: 1-line block ×3, first 2 shown]
	v_lshl_add_u32 v17, s15, 6, v13
	v_lshl_add_u32 v16, s20, 6, v13
	v_add_u32_e32 v15, s19, v13
	ds_read_b64 v[1:2], v18
	ds_read_b64 v[9:10], v17
	;; [unrolled: 1-line block ×4, first 2 shown]
	s_cmp_eq_u32 s18, 0
	v_mov_b32_e32 v3, v14
	s_mov_b32 s19, s13
	s_mov_b32 s21, s18
	s_cbranch_scc1 .LBB142_20
.LBB142_19:                             ;   Parent Loop BB142_18 Depth=1
                                        ; =>  This Inner Loop Header: Depth=2
	ds_read_b64 v[11:12], v3
	v_mov_b32_e32 v4, s19
	ds_read_b128 v[19:22], v4
	ds_read_b128 v[23:26], v4 offset:16
	s_add_i32 s21, s21, -1
	s_add_i32 s19, s19, 64
	v_add_u32_e32 v3, 64, v3
	s_waitcnt lgkmcnt(1)
	v_mul_f32_e32 v4, v20, v12
	v_fma_f32 v4, v19, v11, -v4
	v_sub_f32_e32 v1, v1, v4
	v_mul_f32_e32 v4, v22, v12
	v_mul_f32_e32 v19, v19, v12
	v_fma_f32 v4, v21, v11, -v4
	v_fmac_f32_e32 v19, v20, v11
	v_sub_f32_e32 v9, v9, v4
	s_waitcnt lgkmcnt(0)
	v_mul_f32_e32 v4, v24, v12
	v_sub_f32_e32 v2, v2, v19
	v_mul_f32_e32 v19, v22, v11
	v_fma_f32 v4, v23, v11, -v4
	v_fmac_f32_e32 v19, v21, v12
	v_sub_f32_e32 v7, v7, v4
	v_mul_f32_e32 v4, v26, v12
	v_sub_f32_e32 v10, v10, v19
	v_mul_f32_e32 v19, v24, v11
	v_fma_f32 v4, v25, v11, -v4
	v_mul_f32_e32 v11, v26, v11
	v_fmac_f32_e32 v19, v23, v12
	v_fmac_f32_e32 v11, v25, v12
	v_sub_f32_e32 v8, v8, v19
	v_sub_f32_e32 v5, v5, v4
	;; [unrolled: 1-line block ×3, first 2 shown]
	s_cmp_eq_u32 s21, 0
	s_cbranch_scc0 .LBB142_19
.LBB142_20:                             ;   in Loop: Header=BB142_18 Depth=1
	s_lshl_b32 s19, s18, 3
	s_add_i32 s21, s19, s14
	v_mov_b32_e32 v3, s21
	ds_read_b64 v[3:4], v3
	s_lshl_b32 s22, s15, 3
	s_lshl_b32 s20, s20, 3
	s_mov_b64 s[14:15], -1
                                        ; implicit-def: $vgpr12
	s_waitcnt lgkmcnt(0)
	v_cmp_ngt_f32_e64 s[26:27], |v3|, |v4|
	s_and_b64 vcc, exec, s[26:27]
	s_cbranch_vccz .LBB142_22
; %bb.21:                               ;   in Loop: Header=BB142_18 Depth=1
	v_div_scale_f32 v11, s[14:15], v4, v4, v3
	v_div_scale_f32 v12, vcc, v3, v4, v3
	v_rcp_f32_e32 v19, v11
	v_fma_f32 v20, -v11, v19, 1.0
	v_fmac_f32_e32 v19, v20, v19
	v_mul_f32_e32 v20, v12, v19
	v_fma_f32 v21, -v11, v20, v12
	v_fmac_f32_e32 v20, v21, v19
	v_fma_f32 v11, -v11, v20, v12
	v_div_fmas_f32 v11, v11, v19, v20
	v_div_fixup_f32 v11, v11, v4, v3
	v_fma_f32 v12, v3, v11, v4
	v_div_scale_f32 v19, s[14:15], v12, v12, 1.0
	v_div_scale_f32 v20, vcc, 1.0, v12, 1.0
	s_mov_b64 s[14:15], 0
	v_rcp_f32_e32 v21, v19
	v_fma_f32 v22, -v19, v21, 1.0
	v_fmac_f32_e32 v21, v22, v21
	v_mul_f32_e32 v22, v20, v21
	v_fma_f32 v23, -v19, v22, v20
	v_fmac_f32_e32 v22, v23, v21
	v_fma_f32 v19, -v19, v22, v20
	v_div_fmas_f32 v19, v19, v21, v22
	v_fma_f32 v20, v1, v11, v2
	v_fma_f32 v21, v2, v11, -v1
	v_div_fixup_f32 v12, v19, v12, 1.0
	v_mul_f32_e32 v11, v20, v12
	v_mul_f32_e32 v12, v21, v12
.LBB142_22:                             ;   in Loop: Header=BB142_18 Depth=1
	s_andn2_b64 vcc, exec, s[14:15]
	s_cbranch_vccnz .LBB142_24
; %bb.23:                               ;   in Loop: Header=BB142_18 Depth=1
	v_div_scale_f32 v11, s[14:15], v3, v3, v4
	v_div_scale_f32 v12, vcc, v4, v3, v4
	v_rcp_f32_e32 v19, v11
	v_fma_f32 v20, -v11, v19, 1.0
	v_fmac_f32_e32 v19, v20, v19
	v_mul_f32_e32 v20, v12, v19
	v_fma_f32 v21, -v11, v20, v12
	v_fmac_f32_e32 v20, v21, v19
	v_fma_f32 v11, -v11, v20, v12
	v_div_fmas_f32 v11, v11, v19, v20
	v_div_fixup_f32 v11, v11, v3, v4
	v_fmac_f32_e32 v3, v4, v11
	v_div_scale_f32 v4, s[14:15], v3, v3, 1.0
	v_div_scale_f32 v12, vcc, 1.0, v3, 1.0
	v_rcp_f32_e32 v19, v4
	v_fma_f32 v20, -v4, v19, 1.0
	v_fmac_f32_e32 v19, v20, v19
	v_mul_f32_e32 v20, v12, v19
	v_fma_f32 v21, -v4, v20, v12
	v_fmac_f32_e32 v20, v21, v19
	v_fma_f32 v4, -v4, v20, v12
	v_div_fmas_f32 v4, v4, v19, v20
	v_fma_f32 v12, v2, v11, v1
	v_fma_f32 v1, -v1, v11, v2
	v_div_fixup_f32 v2, v4, v3, 1.0
	v_mul_f32_e32 v11, v12, v2
	v_mul_f32_e32 v12, v1, v2
.LBB142_24:                             ;   in Loop: Header=BB142_18 Depth=1
	s_sub_i32 s21, s21, s19
	s_add_i32 s21, s21, s19
	v_mov_b32_e32 v1, s21
	ds_read2_b64 v[1:4], v1 offset0:1 offset1:9
	ds_write_b64 v18, v[11:12]
	s_mov_b64 s[14:15], -1
	s_waitcnt lgkmcnt(1)
	v_mul_f32_e32 v18, v12, v2
	v_mul_f32_e32 v2, v11, v2
	v_fma_f32 v18, v11, v1, -v18
	v_fmac_f32_e32 v2, v12, v1
	v_cmp_ngt_f32_e64 s[26:27], |v3|, |v4|
	v_sub_f32_e32 v1, v9, v18
	v_sub_f32_e32 v2, v10, v2
	s_and_b64 vcc, exec, s[26:27]
                                        ; implicit-def: $vgpr10
	s_cbranch_vccz .LBB142_26
; %bb.25:                               ;   in Loop: Header=BB142_18 Depth=1
	v_div_scale_f32 v9, s[14:15], v4, v4, v3
	v_div_scale_f32 v10, vcc, v3, v4, v3
	v_rcp_f32_e32 v18, v9
	v_fma_f32 v19, -v9, v18, 1.0
	v_fmac_f32_e32 v18, v19, v18
	v_mul_f32_e32 v19, v10, v18
	v_fma_f32 v20, -v9, v19, v10
	v_fmac_f32_e32 v19, v20, v18
	v_fma_f32 v9, -v9, v19, v10
	v_div_fmas_f32 v9, v9, v18, v19
	v_div_fixup_f32 v9, v9, v4, v3
	v_fma_f32 v10, v3, v9, v4
	v_div_scale_f32 v18, s[14:15], v10, v10, 1.0
	v_div_scale_f32 v19, vcc, 1.0, v10, 1.0
	s_mov_b64 s[14:15], 0
	v_rcp_f32_e32 v20, v18
	v_fma_f32 v21, -v18, v20, 1.0
	v_fmac_f32_e32 v20, v21, v20
	v_mul_f32_e32 v21, v19, v20
	v_fma_f32 v22, -v18, v21, v19
	v_fmac_f32_e32 v21, v22, v20
	v_fma_f32 v18, -v18, v21, v19
	v_div_fmas_f32 v18, v18, v20, v21
	v_fma_f32 v19, v9, v1, v2
	v_fma_f32 v20, v9, v2, -v1
	v_div_fixup_f32 v10, v18, v10, 1.0
	v_mul_f32_e32 v9, v19, v10
	v_mul_f32_e32 v10, v20, v10
.LBB142_26:                             ;   in Loop: Header=BB142_18 Depth=1
	s_andn2_b64 vcc, exec, s[14:15]
	s_cbranch_vccnz .LBB142_28
; %bb.27:                               ;   in Loop: Header=BB142_18 Depth=1
	v_div_scale_f32 v9, s[14:15], v3, v3, v4
	v_div_scale_f32 v10, vcc, v4, v3, v4
	v_rcp_f32_e32 v18, v9
	v_fma_f32 v19, -v9, v18, 1.0
	v_fmac_f32_e32 v18, v19, v18
	v_mul_f32_e32 v19, v10, v18
	v_fma_f32 v20, -v9, v19, v10
	v_fmac_f32_e32 v19, v20, v18
	v_fma_f32 v9, -v9, v19, v10
	v_div_fmas_f32 v9, v9, v18, v19
	v_div_fixup_f32 v9, v9, v3, v4
	v_fmac_f32_e32 v3, v4, v9
	v_div_scale_f32 v4, s[14:15], v3, v3, 1.0
	v_div_scale_f32 v10, vcc, 1.0, v3, 1.0
	v_rcp_f32_e32 v18, v4
	v_fma_f32 v19, -v4, v18, 1.0
	v_fmac_f32_e32 v18, v19, v18
	v_mul_f32_e32 v19, v10, v18
	v_fma_f32 v20, -v4, v19, v10
	v_fmac_f32_e32 v19, v20, v18
	v_fma_f32 v4, -v4, v19, v10
	v_div_fmas_f32 v4, v4, v18, v19
	v_fma_f32 v10, v9, v2, v1
	v_fma_f32 v1, -v9, v1, v2
	v_div_fixup_f32 v2, v4, v3, 1.0
	v_mul_f32_e32 v9, v10, v2
	v_mul_f32_e32 v10, v1, v2
.LBB142_28:                             ;   in Loop: Header=BB142_18 Depth=1
	v_mov_b32_e32 v1, s21
	ds_read2_b64 v[1:4], v1 offset0:2 offset1:18
	s_add_i32 s23, s21, 0x48
	s_sub_i32 s22, s23, s22
	ds_write_b64 v17, v[9:10]
	s_add_i32 s22, s22, s19
	s_waitcnt lgkmcnt(1)
	v_mul_f32_e32 v17, v12, v2
	v_fma_f32 v19, v11, v1, -v17
	v_mov_b32_e32 v17, s22
	ds_read_b64 v[17:18], v17 offset:16
	v_mul_f32_e32 v2, v11, v2
	v_fmac_f32_e32 v2, v12, v1
	v_sub_f32_e32 v1, v7, v19
	v_sub_f32_e32 v2, v8, v2
	s_waitcnt lgkmcnt(0)
	v_mul_f32_e32 v7, v10, v18
	v_mul_f32_e32 v8, v9, v18
	v_fma_f32 v7, v9, v17, -v7
	v_fmac_f32_e32 v8, v10, v17
	v_cmp_ngt_f32_e64 s[26:27], |v3|, |v4|
	v_sub_f32_e32 v1, v1, v7
	v_sub_f32_e32 v2, v2, v8
	s_mov_b64 s[14:15], -1
	s_and_b64 vcc, exec, s[26:27]
                                        ; implicit-def: $vgpr8
	s_cbranch_vccz .LBB142_30
; %bb.29:                               ;   in Loop: Header=BB142_18 Depth=1
	v_div_scale_f32 v7, s[14:15], v4, v4, v3
	v_div_scale_f32 v8, vcc, v3, v4, v3
	v_rcp_f32_e32 v17, v7
	v_fma_f32 v18, -v7, v17, 1.0
	v_fmac_f32_e32 v17, v18, v17
	v_mul_f32_e32 v18, v8, v17
	v_fma_f32 v19, -v7, v18, v8
	v_fmac_f32_e32 v18, v19, v17
	v_fma_f32 v7, -v7, v18, v8
	v_div_fmas_f32 v7, v7, v17, v18
	v_div_fixup_f32 v7, v7, v4, v3
	v_fma_f32 v8, v3, v7, v4
	v_div_scale_f32 v17, s[14:15], v8, v8, 1.0
	v_div_scale_f32 v18, vcc, 1.0, v8, 1.0
	s_mov_b64 s[14:15], 0
	v_rcp_f32_e32 v19, v17
	v_fma_f32 v20, -v17, v19, 1.0
	v_fmac_f32_e32 v19, v20, v19
	v_mul_f32_e32 v20, v18, v19
	v_fma_f32 v21, -v17, v20, v18
	v_fmac_f32_e32 v20, v21, v19
	v_fma_f32 v17, -v17, v20, v18
	v_div_fmas_f32 v17, v17, v19, v20
	v_fma_f32 v18, v7, v1, v2
	v_fma_f32 v19, v7, v2, -v1
	v_div_fixup_f32 v8, v17, v8, 1.0
	v_mul_f32_e32 v7, v18, v8
	v_mul_f32_e32 v8, v19, v8
.LBB142_30:                             ;   in Loop: Header=BB142_18 Depth=1
	s_andn2_b64 vcc, exec, s[14:15]
	s_cbranch_vccnz .LBB142_32
; %bb.31:                               ;   in Loop: Header=BB142_18 Depth=1
	v_div_scale_f32 v7, s[14:15], v3, v3, v4
	v_div_scale_f32 v8, vcc, v4, v3, v4
	v_rcp_f32_e32 v17, v7
	v_fma_f32 v18, -v7, v17, 1.0
	v_fmac_f32_e32 v17, v18, v17
	v_mul_f32_e32 v18, v8, v17
	v_fma_f32 v19, -v7, v18, v8
	v_fmac_f32_e32 v18, v19, v17
	v_fma_f32 v7, -v7, v18, v8
	v_div_fmas_f32 v7, v7, v17, v18
	v_div_fixup_f32 v7, v7, v3, v4
	v_fmac_f32_e32 v3, v4, v7
	v_div_scale_f32 v4, s[14:15], v3, v3, 1.0
	v_div_scale_f32 v8, vcc, 1.0, v3, 1.0
	v_rcp_f32_e32 v17, v4
	v_fma_f32 v18, -v4, v17, 1.0
	v_fmac_f32_e32 v17, v18, v17
	v_mul_f32_e32 v18, v8, v17
	v_fma_f32 v19, -v4, v18, v8
	v_fmac_f32_e32 v18, v19, v17
	v_fma_f32 v4, -v4, v18, v8
	v_div_fmas_f32 v4, v4, v17, v18
	v_fma_f32 v8, v7, v2, v1
	v_fma_f32 v1, -v7, v1, v2
	v_div_fixup_f32 v2, v4, v3, 1.0
	v_mul_f32_e32 v7, v8, v2
	v_mul_f32_e32 v8, v1, v2
.LBB142_32:                             ;   in Loop: Header=BB142_18 Depth=1
	v_mov_b32_e32 v1, s21
	ds_read2_b64 v[1:4], v1 offset0:3 offset1:27
	s_sub_i32 s14, s23, s20
	ds_write_b64 v16, v[7:8]
	s_add_i32 s14, s14, s19
	s_waitcnt lgkmcnt(1)
	v_mul_f32_e32 v16, v12, v2
	v_mul_f32_e32 v17, v11, v2
	v_fma_f32 v2, v11, v1, -v16
	v_fmac_f32_e32 v17, v12, v1
	v_mov_b32_e32 v1, s22
	v_sub_f32_e32 v11, v5, v2
	ds_read_b64 v[1:2], v1 offset:24
	v_mov_b32_e32 v5, s14
	v_sub_f32_e32 v12, v6, v17
	ds_read_b64 v[5:6], v5 offset:96
	v_cmp_ngt_f32_e64 s[20:21], |v3|, |v4|
	s_waitcnt lgkmcnt(1)
	v_mul_f32_e32 v16, v10, v2
	v_mul_f32_e32 v2, v9, v2
	v_fma_f32 v16, v9, v1, -v16
	v_fmac_f32_e32 v2, v10, v1
	s_waitcnt lgkmcnt(0)
	v_mul_f32_e32 v9, v8, v6
	v_mul_f32_e32 v6, v7, v6
	v_sub_f32_e32 v1, v11, v16
	v_sub_f32_e32 v2, v12, v2
	v_fma_f32 v9, v7, v5, -v9
	v_fmac_f32_e32 v6, v8, v5
	v_sub_f32_e32 v5, v1, v9
	v_sub_f32_e32 v6, v2, v6
	s_mov_b64 s[14:15], -1
	s_and_b64 vcc, exec, s[20:21]
                                        ; implicit-def: $vgpr2
	s_cbranch_vccz .LBB142_34
; %bb.33:                               ;   in Loop: Header=BB142_18 Depth=1
	v_div_scale_f32 v1, s[14:15], v4, v4, v3
	v_div_scale_f32 v2, vcc, v3, v4, v3
	v_rcp_f32_e32 v7, v1
	v_fma_f32 v8, -v1, v7, 1.0
	v_fmac_f32_e32 v7, v8, v7
	v_mul_f32_e32 v8, v2, v7
	v_fma_f32 v9, -v1, v8, v2
	v_fmac_f32_e32 v8, v9, v7
	v_fma_f32 v1, -v1, v8, v2
	v_div_fmas_f32 v1, v1, v7, v8
	v_div_fixup_f32 v1, v1, v4, v3
	v_fma_f32 v2, v3, v1, v4
	v_div_scale_f32 v7, s[14:15], v2, v2, 1.0
	v_div_scale_f32 v8, vcc, 1.0, v2, 1.0
	s_mov_b64 s[14:15], 0
	v_rcp_f32_e32 v9, v7
	v_fma_f32 v10, -v7, v9, 1.0
	v_fmac_f32_e32 v9, v10, v9
	v_mul_f32_e32 v10, v8, v9
	v_fma_f32 v11, -v7, v10, v8
	v_fmac_f32_e32 v10, v11, v9
	v_fma_f32 v7, -v7, v10, v8
	v_div_fmas_f32 v7, v7, v9, v10
	v_fma_f32 v8, v1, v5, v6
	v_fma_f32 v9, v1, v6, -v5
	v_div_fixup_f32 v2, v7, v2, 1.0
	v_mul_f32_e32 v1, v8, v2
	v_mul_f32_e32 v2, v9, v2
.LBB142_34:                             ;   in Loop: Header=BB142_18 Depth=1
	s_andn2_b64 vcc, exec, s[14:15]
	s_cbranch_vccnz .LBB142_36
; %bb.35:                               ;   in Loop: Header=BB142_18 Depth=1
	v_div_scale_f32 v1, s[14:15], v3, v3, v4
	v_div_scale_f32 v2, vcc, v4, v3, v4
	v_rcp_f32_e32 v7, v1
	v_fma_f32 v8, -v1, v7, 1.0
	v_fmac_f32_e32 v7, v8, v7
	v_mul_f32_e32 v8, v2, v7
	v_fma_f32 v9, -v1, v8, v2
	v_fmac_f32_e32 v8, v9, v7
	v_fma_f32 v1, -v1, v8, v2
	v_div_fmas_f32 v1, v1, v7, v8
	v_div_fixup_f32 v1, v1, v3, v4
	v_fmac_f32_e32 v3, v4, v1
	v_div_scale_f32 v2, s[14:15], v3, v3, 1.0
	v_div_scale_f32 v4, vcc, 1.0, v3, 1.0
	v_rcp_f32_e32 v7, v2
	v_fma_f32 v8, -v2, v7, 1.0
	v_fmac_f32_e32 v7, v8, v7
	v_mul_f32_e32 v8, v4, v7
	v_fma_f32 v9, -v2, v8, v4
	v_fmac_f32_e32 v8, v9, v7
	v_fma_f32 v2, -v2, v8, v4
	v_div_fmas_f32 v2, v2, v7, v8
	v_fma_f32 v4, v1, v6, v5
	v_fma_f32 v5, -v1, v5, v6
	v_div_fixup_f32 v2, v2, v3, 1.0
	v_mul_f32_e32 v1, v4, v2
	v_mul_f32_e32 v2, v5, v2
.LBB142_36:                             ;   in Loop: Header=BB142_18 Depth=1
	s_add_i32 s19, s18, 4
	s_add_i32 s14, s18, 7
	;; [unrolled: 1-line block ×3, first 2 shown]
	s_cmp_ge_i32 s14, s24
	ds_write_b64 v15, v[1:2]
	s_cbranch_scc1 .LBB142_38
; %bb.37:                               ;   in Loop: Header=BB142_18 Depth=1
	s_mov_b32 s18, s19
	s_branch .LBB142_18
.LBB142_38:
	s_cmp_ge_i32 s19, s24
	s_cbranch_scc1 .LBB142_47
; %bb.39:
	v_mov_b32_e32 v1, 0x200
	s_lshl_b32 s13, s19, 3
	v_lshl_or_b32 v7, v0, 3, v1
	s_branch .LBB142_41
.LBB142_40:                             ;   in Loop: Header=BB142_41 Depth=1
	s_add_i32 s19, s19, 1
	s_add_i32 s13, s13, 8
	s_cmp_ge_i32 s19, s24
	ds_write_b64 v8, v[5:6]
	s_cbranch_scc1 .LBB142_47
.LBB142_41:                             ; =>This Loop Header: Depth=1
                                        ;     Child Loop BB142_42 Depth 2
	s_lshl_b32 s14, s19, 6
	v_add_u32_e32 v8, s14, v13
	ds_read_b64 v[1:2], v8
	s_cmp_eq_u32 s19, 0
	v_mov_b32_e32 v3, v7
	s_mov_b32 s15, s13
	s_mov_b32 s18, s19
	s_cbranch_scc1 .LBB142_43
.LBB142_42:                             ;   Parent Loop BB142_41 Depth=1
                                        ; =>  This Inner Loop Header: Depth=2
	v_mov_b32_e32 v6, s15
	ds_read_b64 v[4:5], v3
	ds_read_b64 v[9:10], v6
	s_add_i32 s18, s18, -1
	s_add_i32 s15, s15, 64
	v_add_u32_e32 v3, 64, v3
	s_cmp_eq_u32 s18, 0
	s_waitcnt lgkmcnt(0)
	v_mul_f32_e32 v6, v10, v5
	v_mul_f32_e32 v5, v9, v5
	v_fma_f32 v6, v9, v4, -v6
	v_fmac_f32_e32 v5, v10, v4
	v_sub_f32_e32 v1, v1, v6
	v_sub_f32_e32 v2, v2, v5
	s_cbranch_scc0 .LBB142_42
.LBB142_43:                             ;   in Loop: Header=BB142_41 Depth=1
	s_lshl_b32 s15, s19, 3
	s_add_i32 s14, s15, s14
	v_mov_b32_e32 v3, s14
	ds_read_b64 v[3:4], v3
	s_mov_b64 s[14:15], -1
                                        ; implicit-def: $vgpr5
	s_waitcnt lgkmcnt(0)
	v_cmp_ngt_f32_e64 s[20:21], |v3|, |v4|
	s_and_b64 vcc, exec, s[20:21]
	s_cbranch_vccz .LBB142_45
; %bb.44:                               ;   in Loop: Header=BB142_41 Depth=1
	v_div_scale_f32 v5, s[14:15], v4, v4, v3
	v_div_scale_f32 v6, vcc, v3, v4, v3
	v_rcp_f32_e32 v9, v5
	v_fma_f32 v10, -v5, v9, 1.0
	v_fmac_f32_e32 v9, v10, v9
	v_mul_f32_e32 v10, v6, v9
	v_fma_f32 v11, -v5, v10, v6
	v_fmac_f32_e32 v10, v11, v9
	v_fma_f32 v5, -v5, v10, v6
	v_div_fmas_f32 v5, v5, v9, v10
	v_div_fixup_f32 v5, v5, v4, v3
	v_fma_f32 v6, v3, v5, v4
	v_div_scale_f32 v9, s[14:15], v6, v6, 1.0
	v_div_scale_f32 v10, vcc, 1.0, v6, 1.0
	s_mov_b64 s[14:15], 0
	v_rcp_f32_e32 v11, v9
	v_fma_f32 v12, -v9, v11, 1.0
	v_fmac_f32_e32 v11, v12, v11
	v_mul_f32_e32 v12, v10, v11
	v_fma_f32 v14, -v9, v12, v10
	v_fmac_f32_e32 v12, v14, v11
	v_fma_f32 v9, -v9, v12, v10
	v_div_fmas_f32 v9, v9, v11, v12
	v_fma_f32 v10, v1, v5, v2
	v_fma_f32 v11, v2, v5, -v1
	v_div_fixup_f32 v6, v9, v6, 1.0
	v_mul_f32_e32 v5, v10, v6
	v_mul_f32_e32 v6, v11, v6
.LBB142_45:                             ;   in Loop: Header=BB142_41 Depth=1
	s_andn2_b64 vcc, exec, s[14:15]
	s_cbranch_vccnz .LBB142_40
; %bb.46:                               ;   in Loop: Header=BB142_41 Depth=1
	v_div_scale_f32 v5, s[14:15], v3, v3, v4
	v_div_scale_f32 v6, vcc, v4, v3, v4
	v_rcp_f32_e32 v9, v5
	v_fma_f32 v10, -v5, v9, 1.0
	v_fmac_f32_e32 v9, v10, v9
	v_mul_f32_e32 v10, v6, v9
	v_fma_f32 v11, -v5, v10, v6
	v_fmac_f32_e32 v10, v11, v9
	v_fma_f32 v5, -v5, v10, v6
	v_div_fmas_f32 v5, v5, v9, v10
	v_div_fixup_f32 v5, v5, v3, v4
	v_fmac_f32_e32 v3, v4, v5
	v_div_scale_f32 v4, s[14:15], v3, v3, 1.0
	v_div_scale_f32 v6, vcc, 1.0, v3, 1.0
	v_rcp_f32_e32 v9, v4
	v_fma_f32 v10, -v4, v9, 1.0
	v_fmac_f32_e32 v9, v10, v9
	v_mul_f32_e32 v10, v6, v9
	v_fma_f32 v11, -v4, v10, v6
	v_fmac_f32_e32 v10, v11, v9
	v_fma_f32 v4, -v4, v10, v6
	v_div_fmas_f32 v4, v4, v9, v10
	v_fma_f32 v6, v2, v5, v1
	v_fma_f32 v1, -v1, v5, v2
	v_div_fixup_f32 v2, v4, v3, 1.0
	v_mul_f32_e32 v5, v6, v2
	v_mul_f32_e32 v6, v1, v2
	s_branch .LBB142_40
.LBB142_47:
	s_mov_b64 s[14:15], 0
.LBB142_48:
	s_and_b64 vcc, exec, s[14:15]
	s_cbranch_vccz .LBB142_80
; %bb.49:
	s_andn2_b64 vcc, exec, s[8:9]
	s_mov_b32 s19, s11
	s_cbranch_vccnz .LBB142_71
; %bb.50:
	v_lshlrev_b32_e32 v1, 3, v0
	s_mul_i32 s13, s24, 0x48
	v_lshl_or_b32 v1, s24, 6, v1
	s_addk_i32 s13, 0xffa0
	v_add_u32_e32 v14, 0x1c0, v1
	s_mov_b32 s18, s11
.LBB142_51:                             ; =>This Loop Header: Depth=1
                                        ;     Child Loop BB142_52 Depth 2
	s_add_i32 s19, s18, -3
	v_lshl_add_u32 v18, s18, 6, v13
	s_add_i32 s23, s18, -1
	s_add_i32 s20, s18, -2
	s_lshl_b32 s14, s19, 6
	v_lshl_add_u32 v17, s23, 6, v13
	v_lshl_add_u32 v16, s20, 6, v13
	v_add_u32_e32 v15, s14, v13
	ds_read_b64 v[9:10], v18
	ds_read_b64 v[7:8], v17
	;; [unrolled: 1-line block ×4, first 2 shown]
	s_cmp_le_i32 s11, s18
	v_mov_b32_e32 v5, v14
	s_mov_b32 s14, s13
	s_mov_b32 s15, s11
	s_cbranch_scc1 .LBB142_53
.LBB142_52:                             ;   Parent Loop BB142_51 Depth=1
                                        ; =>  This Inner Loop Header: Depth=2
	v_mov_b32_e32 v6, s14
	ds_read_b64 v[11:12], v5
	ds_read2_b64 v[19:22], v6 offset0:2 offset1:3
	s_add_i32 s15, s15, -1
	s_sub_i32 s14, s14, 64
	v_subrev_u32_e32 v5, 64, v5
	s_cmp_le_i32 s15, s18
	s_waitcnt lgkmcnt(0)
	v_mul_f32_e32 v23, v22, v12
	v_fma_f32 v23, v21, v11, -v23
	v_mul_f32_e32 v21, v21, v12
	v_fmac_f32_e32 v21, v22, v11
	v_sub_f32_e32 v10, v10, v21
	v_mul_f32_e32 v21, v20, v12
	v_mul_f32_e32 v20, v20, v11
	v_fma_f32 v21, v19, v11, -v21
	v_fmac_f32_e32 v20, v19, v12
	v_sub_f32_e32 v7, v7, v21
	v_sub_f32_e32 v8, v8, v20
	ds_read2_b64 v[19:22], v6 offset1:1
	v_sub_f32_e32 v9, v9, v23
	s_waitcnt lgkmcnt(0)
	v_mul_f32_e32 v6, v22, v12
	v_fma_f32 v6, v21, v11, -v6
	v_sub_f32_e32 v3, v3, v6
	v_mul_f32_e32 v6, v20, v12
	v_mul_f32_e32 v22, v22, v11
	v_fma_f32 v6, v19, v11, -v6
	v_mul_f32_e32 v11, v20, v11
	v_fmac_f32_e32 v22, v21, v12
	v_fmac_f32_e32 v11, v19, v12
	v_sub_f32_e32 v4, v4, v22
	v_sub_f32_e32 v1, v1, v6
	;; [unrolled: 1-line block ×3, first 2 shown]
	s_cbranch_scc0 .LBB142_52
.LBB142_53:                             ;   in Loop: Header=BB142_51 Depth=1
	s_lshl_b32 s26, s18, 3
	s_lshl_b32 s14, s18, 6
	s_add_i32 s22, s26, s14
	v_mov_b32_e32 v5, s22
	ds_read_b64 v[11:12], v5
	s_lshl_b32 s25, s23, 3
	s_lshl_b32 s21, s20, 3
	s_mov_b64 s[14:15], -1
                                        ; implicit-def: $vgpr6
	s_waitcnt lgkmcnt(0)
	v_cmp_ngt_f32_e64 s[28:29], |v11|, |v12|
	s_and_b64 vcc, exec, s[28:29]
	s_cbranch_vccz .LBB142_55
; %bb.54:                               ;   in Loop: Header=BB142_51 Depth=1
	v_div_scale_f32 v5, s[14:15], v12, v12, v11
	v_div_scale_f32 v6, vcc, v11, v12, v11
	v_rcp_f32_e32 v19, v5
	v_fma_f32 v20, -v5, v19, 1.0
	v_fmac_f32_e32 v19, v20, v19
	v_mul_f32_e32 v20, v6, v19
	v_fma_f32 v21, -v5, v20, v6
	v_fmac_f32_e32 v20, v21, v19
	v_fma_f32 v5, -v5, v20, v6
	v_div_fmas_f32 v5, v5, v19, v20
	v_div_fixup_f32 v5, v5, v12, v11
	v_fma_f32 v6, v11, v5, v12
	v_div_scale_f32 v19, s[14:15], v6, v6, 1.0
	v_div_scale_f32 v20, vcc, 1.0, v6, 1.0
	s_mov_b64 s[14:15], 0
	v_rcp_f32_e32 v21, v19
	v_fma_f32 v22, -v19, v21, 1.0
	v_fmac_f32_e32 v21, v22, v21
	v_mul_f32_e32 v22, v20, v21
	v_fma_f32 v23, -v19, v22, v20
	v_fmac_f32_e32 v22, v23, v21
	v_fma_f32 v19, -v19, v22, v20
	v_div_fmas_f32 v19, v19, v21, v22
	v_fma_f32 v20, v9, v5, v10
	v_fma_f32 v21, v10, v5, -v9
	v_div_fixup_f32 v6, v19, v6, 1.0
	v_mul_f32_e32 v5, v20, v6
	v_mul_f32_e32 v6, v21, v6
.LBB142_55:                             ;   in Loop: Header=BB142_51 Depth=1
	s_andn2_b64 vcc, exec, s[14:15]
	s_cbranch_vccnz .LBB142_57
; %bb.56:                               ;   in Loop: Header=BB142_51 Depth=1
	v_div_scale_f32 v5, s[14:15], v11, v11, v12
	v_div_scale_f32 v6, vcc, v12, v11, v12
	v_rcp_f32_e32 v19, v5
	v_fma_f32 v20, -v5, v19, 1.0
	v_fmac_f32_e32 v19, v20, v19
	v_mul_f32_e32 v20, v6, v19
	v_fma_f32 v21, -v5, v20, v6
	v_fmac_f32_e32 v20, v21, v19
	v_fma_f32 v5, -v5, v20, v6
	v_div_fmas_f32 v5, v5, v19, v20
	v_div_fixup_f32 v5, v5, v11, v12
	v_fmac_f32_e32 v11, v12, v5
	v_div_scale_f32 v6, s[14:15], v11, v11, 1.0
	v_div_scale_f32 v12, vcc, 1.0, v11, 1.0
	v_rcp_f32_e32 v19, v6
	v_fma_f32 v20, -v6, v19, 1.0
	v_fmac_f32_e32 v19, v20, v19
	v_mul_f32_e32 v20, v12, v19
	v_fma_f32 v21, -v6, v20, v12
	v_fmac_f32_e32 v20, v21, v19
	v_fma_f32 v6, -v6, v20, v12
	v_div_fmas_f32 v6, v6, v19, v20
	v_fma_f32 v12, v10, v5, v9
	v_fma_f32 v9, -v9, v5, v10
	v_div_fixup_f32 v6, v6, v11, 1.0
	v_mul_f32_e32 v5, v12, v6
	v_mul_f32_e32 v6, v9, v6
.LBB142_57:                             ;   in Loop: Header=BB142_51 Depth=1
	s_lshl_b32 s14, s23, 6
	s_add_i32 s23, s26, s14
	s_add_i32 s14, s22, -8
	v_mov_b32_e32 v9, s14
	s_add_i32 s23, s23, -8
	ds_read_b64 v[11:12], v9
	v_mov_b32_e32 v9, s23
	ds_read_b64 v[9:10], v9
	ds_write_b64 v18, v[5:6]
	s_mov_b64 s[14:15], -1
	s_waitcnt lgkmcnt(2)
	v_mul_f32_e32 v18, v6, v12
	v_mul_f32_e32 v12, v5, v12
	v_fma_f32 v18, v5, v11, -v18
	v_fmac_f32_e32 v12, v6, v11
	s_waitcnt lgkmcnt(1)
	v_cmp_ngt_f32_e64 s[28:29], |v9|, |v10|
	v_sub_f32_e32 v11, v7, v18
	v_sub_f32_e32 v12, v8, v12
	s_and_b64 vcc, exec, s[28:29]
                                        ; implicit-def: $vgpr8
	s_cbranch_vccz .LBB142_59
; %bb.58:                               ;   in Loop: Header=BB142_51 Depth=1
	v_div_scale_f32 v7, s[14:15], v10, v10, v9
	v_div_scale_f32 v8, vcc, v9, v10, v9
	v_rcp_f32_e32 v18, v7
	v_fma_f32 v19, -v7, v18, 1.0
	v_fmac_f32_e32 v18, v19, v18
	v_mul_f32_e32 v19, v8, v18
	v_fma_f32 v20, -v7, v19, v8
	v_fmac_f32_e32 v19, v20, v18
	v_fma_f32 v7, -v7, v19, v8
	v_div_fmas_f32 v7, v7, v18, v19
	v_div_fixup_f32 v7, v7, v10, v9
	v_fma_f32 v8, v9, v7, v10
	v_div_scale_f32 v18, s[14:15], v8, v8, 1.0
	v_div_scale_f32 v19, vcc, 1.0, v8, 1.0
	s_mov_b64 s[14:15], 0
	v_rcp_f32_e32 v20, v18
	v_fma_f32 v21, -v18, v20, 1.0
	v_fmac_f32_e32 v20, v21, v20
	v_mul_f32_e32 v21, v19, v20
	v_fma_f32 v22, -v18, v21, v19
	v_fmac_f32_e32 v21, v22, v20
	v_fma_f32 v18, -v18, v21, v19
	v_div_fmas_f32 v18, v18, v20, v21
	v_fma_f32 v19, v7, v11, v12
	v_fma_f32 v20, v7, v12, -v11
	v_div_fixup_f32 v8, v18, v8, 1.0
	v_mul_f32_e32 v7, v19, v8
	v_mul_f32_e32 v8, v20, v8
.LBB142_59:                             ;   in Loop: Header=BB142_51 Depth=1
	s_andn2_b64 vcc, exec, s[14:15]
	s_cbranch_vccnz .LBB142_61
; %bb.60:                               ;   in Loop: Header=BB142_51 Depth=1
	v_div_scale_f32 v7, s[14:15], v9, v9, v10
	v_div_scale_f32 v8, vcc, v10, v9, v10
	v_rcp_f32_e32 v18, v7
	v_fma_f32 v19, -v7, v18, 1.0
	v_fmac_f32_e32 v18, v19, v18
	v_mul_f32_e32 v19, v8, v18
	v_fma_f32 v20, -v7, v19, v8
	v_fmac_f32_e32 v19, v20, v18
	v_fma_f32 v7, -v7, v19, v8
	v_div_fmas_f32 v7, v7, v18, v19
	v_div_fixup_f32 v7, v7, v9, v10
	v_fmac_f32_e32 v9, v10, v7
	v_div_scale_f32 v8, s[14:15], v9, v9, 1.0
	v_div_scale_f32 v10, vcc, 1.0, v9, 1.0
	v_rcp_f32_e32 v18, v8
	v_fma_f32 v19, -v8, v18, 1.0
	v_fmac_f32_e32 v18, v19, v18
	v_mul_f32_e32 v19, v10, v18
	v_fma_f32 v20, -v8, v19, v10
	v_fmac_f32_e32 v19, v20, v18
	v_fma_f32 v8, -v8, v19, v10
	v_div_fmas_f32 v8, v8, v18, v19
	v_fma_f32 v10, v7, v12, v11
	v_fma_f32 v11, -v7, v11, v12
	v_div_fixup_f32 v8, v8, v9, 1.0
	v_mul_f32_e32 v7, v10, v8
	v_mul_f32_e32 v8, v11, v8
.LBB142_61:                             ;   in Loop: Header=BB142_51 Depth=1
	s_lshl_b32 s14, s20, 6
	s_add_i32 s20, s26, s14
	s_add_i32 s14, s22, -16
	v_mov_b32_e32 v9, s14
	ds_read_b64 v[11:12], v9
	s_sub_i32 s23, s23, s25
	s_add_i32 s14, s23, s21
	s_add_i32 s20, s20, -16
	ds_write_b64 v17, v[7:8]
	v_mov_b32_e32 v9, s14
	v_mov_b32_e32 v10, s20
	ds_read_b64 v[17:18], v9
	ds_read_b64 v[9:10], v10
	s_waitcnt lgkmcnt(3)
	v_mul_f32_e32 v19, v6, v12
	v_mul_f32_e32 v12, v5, v12
	v_fmac_f32_e32 v12, v6, v11
	v_fma_f32 v19, v5, v11, -v19
	v_sub_f32_e32 v4, v4, v12
	s_waitcnt lgkmcnt(1)
	v_mul_f32_e32 v11, v8, v18
	v_mul_f32_e32 v12, v7, v18
	v_sub_f32_e32 v3, v3, v19
	v_fma_f32 v11, v7, v17, -v11
	v_fmac_f32_e32 v12, v8, v17
	s_waitcnt lgkmcnt(0)
	v_cmp_ngt_f32_e64 s[26:27], |v9|, |v10|
	v_sub_f32_e32 v3, v3, v11
	v_sub_f32_e32 v4, v4, v12
	s_mov_b64 s[14:15], -1
	s_and_b64 vcc, exec, s[26:27]
                                        ; implicit-def: $vgpr12
	s_cbranch_vccz .LBB142_63
; %bb.62:                               ;   in Loop: Header=BB142_51 Depth=1
	v_div_scale_f32 v11, s[14:15], v10, v10, v9
	v_div_scale_f32 v12, vcc, v9, v10, v9
	v_rcp_f32_e32 v17, v11
	v_fma_f32 v18, -v11, v17, 1.0
	v_fmac_f32_e32 v17, v18, v17
	v_mul_f32_e32 v18, v12, v17
	v_fma_f32 v19, -v11, v18, v12
	v_fmac_f32_e32 v18, v19, v17
	v_fma_f32 v11, -v11, v18, v12
	v_div_fmas_f32 v11, v11, v17, v18
	v_div_fixup_f32 v11, v11, v10, v9
	v_fma_f32 v12, v9, v11, v10
	v_div_scale_f32 v17, s[14:15], v12, v12, 1.0
	v_div_scale_f32 v18, vcc, 1.0, v12, 1.0
	s_mov_b64 s[14:15], 0
	v_rcp_f32_e32 v19, v17
	v_fma_f32 v20, -v17, v19, 1.0
	v_fmac_f32_e32 v19, v20, v19
	v_mul_f32_e32 v20, v18, v19
	v_fma_f32 v21, -v17, v20, v18
	v_fmac_f32_e32 v20, v21, v19
	v_fma_f32 v17, -v17, v20, v18
	v_div_fmas_f32 v17, v17, v19, v20
	v_fma_f32 v18, v11, v3, v4
	v_fma_f32 v19, v11, v4, -v3
	v_div_fixup_f32 v12, v17, v12, 1.0
	v_mul_f32_e32 v11, v18, v12
	v_mul_f32_e32 v12, v19, v12
.LBB142_63:                             ;   in Loop: Header=BB142_51 Depth=1
	s_andn2_b64 vcc, exec, s[14:15]
	s_cbranch_vccnz .LBB142_65
; %bb.64:                               ;   in Loop: Header=BB142_51 Depth=1
	v_div_scale_f32 v11, s[14:15], v9, v9, v10
	v_div_scale_f32 v12, vcc, v10, v9, v10
	v_rcp_f32_e32 v17, v11
	v_fma_f32 v18, -v11, v17, 1.0
	v_fmac_f32_e32 v17, v18, v17
	v_mul_f32_e32 v18, v12, v17
	v_fma_f32 v19, -v11, v18, v12
	v_fmac_f32_e32 v18, v19, v17
	v_fma_f32 v11, -v11, v18, v12
	v_div_fmas_f32 v11, v11, v17, v18
	v_div_fixup_f32 v11, v11, v9, v10
	v_fmac_f32_e32 v9, v10, v11
	v_div_scale_f32 v10, s[14:15], v9, v9, 1.0
	v_div_scale_f32 v12, vcc, 1.0, v9, 1.0
	v_rcp_f32_e32 v17, v10
	v_fma_f32 v18, -v10, v17, 1.0
	v_fmac_f32_e32 v17, v18, v17
	v_mul_f32_e32 v18, v12, v17
	v_fma_f32 v19, -v10, v18, v12
	v_fmac_f32_e32 v18, v19, v17
	v_fma_f32 v10, -v10, v18, v12
	v_div_fmas_f32 v10, v10, v17, v18
	v_fma_f32 v12, v11, v4, v3
	v_fma_f32 v3, -v11, v3, v4
	v_div_fixup_f32 v4, v10, v9, 1.0
	v_mul_f32_e32 v11, v12, v4
	v_mul_f32_e32 v12, v3, v4
.LBB142_65:                             ;   in Loop: Header=BB142_51 Depth=1
	s_sub_i32 s14, s22, 24
	v_mov_b32_e32 v3, s14
	s_lshl_b32 s14, s19, 3
	ds_read_b64 v[9:10], v3
	s_add_i32 s15, s23, s14
	v_mov_b32_e32 v3, s15
	s_sub_i32 s15, s20, s21
	s_add_i32 s14, s15, s14
	v_mov_b32_e32 v4, s14
	s_add_i32 s14, s20, 0xffffffb8
	ds_write_b64 v16, v[11:12]
	v_mov_b32_e32 v20, s14
	ds_read_b64 v[16:17], v3
	ds_read_b64 v[18:19], v4
	;; [unrolled: 1-line block ×3, first 2 shown]
	s_waitcnt lgkmcnt(4)
	v_mul_f32_e32 v20, v6, v10
	v_fma_f32 v20, v5, v9, -v20
	v_mul_f32_e32 v5, v5, v10
	v_fmac_f32_e32 v5, v6, v9
	v_sub_f32_e32 v2, v2, v5
	s_waitcnt lgkmcnt(2)
	v_mul_f32_e32 v5, v8, v17
	v_mul_f32_e32 v6, v7, v17
	v_sub_f32_e32 v1, v1, v20
	v_fma_f32 v5, v7, v16, -v5
	v_fmac_f32_e32 v6, v8, v16
	v_sub_f32_e32 v1, v1, v5
	v_sub_f32_e32 v2, v2, v6
	s_waitcnt lgkmcnt(1)
	v_mul_f32_e32 v5, v12, v19
	v_mul_f32_e32 v6, v11, v19
	v_fma_f32 v5, v11, v18, -v5
	v_fmac_f32_e32 v6, v12, v18
	s_waitcnt lgkmcnt(0)
	v_cmp_ngt_f32_e64 s[20:21], |v3|, |v4|
	v_sub_f32_e32 v5, v1, v5
	v_sub_f32_e32 v6, v2, v6
	s_mov_b64 s[14:15], -1
	s_and_b64 vcc, exec, s[20:21]
                                        ; implicit-def: $vgpr2
	s_cbranch_vccz .LBB142_67
; %bb.66:                               ;   in Loop: Header=BB142_51 Depth=1
	v_div_scale_f32 v1, s[14:15], v4, v4, v3
	v_div_scale_f32 v2, vcc, v3, v4, v3
	v_rcp_f32_e32 v7, v1
	v_fma_f32 v8, -v1, v7, 1.0
	v_fmac_f32_e32 v7, v8, v7
	v_mul_f32_e32 v8, v2, v7
	v_fma_f32 v9, -v1, v8, v2
	v_fmac_f32_e32 v8, v9, v7
	v_fma_f32 v1, -v1, v8, v2
	v_div_fmas_f32 v1, v1, v7, v8
	v_div_fixup_f32 v1, v1, v4, v3
	v_fma_f32 v2, v3, v1, v4
	v_div_scale_f32 v7, s[14:15], v2, v2, 1.0
	v_div_scale_f32 v8, vcc, 1.0, v2, 1.0
	s_mov_b64 s[14:15], 0
	v_rcp_f32_e32 v9, v7
	v_fma_f32 v10, -v7, v9, 1.0
	v_fmac_f32_e32 v9, v10, v9
	v_mul_f32_e32 v10, v8, v9
	v_fma_f32 v11, -v7, v10, v8
	v_fmac_f32_e32 v10, v11, v9
	v_fma_f32 v7, -v7, v10, v8
	v_div_fmas_f32 v7, v7, v9, v10
	v_fma_f32 v8, v1, v5, v6
	v_fma_f32 v9, v1, v6, -v5
	v_div_fixup_f32 v2, v7, v2, 1.0
	v_mul_f32_e32 v1, v8, v2
	v_mul_f32_e32 v2, v9, v2
.LBB142_67:                             ;   in Loop: Header=BB142_51 Depth=1
	s_andn2_b64 vcc, exec, s[14:15]
	s_cbranch_vccnz .LBB142_69
; %bb.68:                               ;   in Loop: Header=BB142_51 Depth=1
	v_div_scale_f32 v1, s[14:15], v3, v3, v4
	v_div_scale_f32 v2, vcc, v4, v3, v4
	v_rcp_f32_e32 v7, v1
	v_fma_f32 v8, -v1, v7, 1.0
	v_fmac_f32_e32 v7, v8, v7
	v_mul_f32_e32 v8, v2, v7
	v_fma_f32 v9, -v1, v8, v2
	v_fmac_f32_e32 v8, v9, v7
	v_fma_f32 v1, -v1, v8, v2
	v_div_fmas_f32 v1, v1, v7, v8
	v_div_fixup_f32 v1, v1, v3, v4
	v_fmac_f32_e32 v3, v4, v1
	v_div_scale_f32 v2, s[14:15], v3, v3, 1.0
	v_div_scale_f32 v4, vcc, 1.0, v3, 1.0
	v_rcp_f32_e32 v7, v2
	v_fma_f32 v8, -v2, v7, 1.0
	v_fmac_f32_e32 v7, v8, v7
	v_mul_f32_e32 v8, v4, v7
	v_fma_f32 v9, -v2, v8, v4
	v_fmac_f32_e32 v8, v9, v7
	v_fma_f32 v2, -v2, v8, v4
	v_div_fmas_f32 v2, v2, v7, v8
	v_fma_f32 v4, v1, v6, v5
	v_fma_f32 v5, -v1, v5, v6
	v_div_fixup_f32 v2, v2, v3, 1.0
	v_mul_f32_e32 v1, v4, v2
	v_mul_f32_e32 v2, v5, v2
.LBB142_69:                             ;   in Loop: Header=BB142_51 Depth=1
	s_add_i32 s19, s18, -4
	s_sub_i32 s13, s13, 32
	s_cmp_lt_i32 s18, 7
	ds_write_b64 v15, v[1:2]
	s_cbranch_scc1 .LBB142_71
; %bb.70:                               ;   in Loop: Header=BB142_51 Depth=1
	s_mov_b32 s18, s19
	s_branch .LBB142_51
.LBB142_71:
	s_cmp_lt_i32 s19, 0
	s_cbranch_scc1 .LBB142_80
; %bb.72:
	s_lshl_b32 s14, s24, 6
	s_lshl_b32 s13, s19, 3
	s_add_i32 s13, s14, s13
	v_lshl_or_b32 v1, v0, 3, s14
	s_sub_i32 s13, s13, 64
	v_add_u32_e32 v7, 0x1c0, v1
	s_branch .LBB142_74
.LBB142_73:                             ;   in Loop: Header=BB142_74 Depth=1
	v_sub_co_u32_e64 v1, s[14:15], s19, 1
	v_readfirstlane_b32 s19, v1
	s_add_i32 s13, s13, -8
	s_and_b64 vcc, exec, s[14:15]
	ds_write_b64 v8, v[5:6]
	s_cbranch_vccnz .LBB142_80
.LBB142_74:                             ; =>This Loop Header: Depth=1
                                        ;     Child Loop BB142_75 Depth 2
	s_lshl_b32 s14, s19, 6
	v_add_u32_e32 v8, s14, v13
	ds_read_b64 v[1:2], v8
	s_cmp_le_i32 s11, s19
	v_mov_b32_e32 v3, v7
	s_mov_b32 s15, s13
	s_mov_b32 s18, s11
	s_cbranch_scc1 .LBB142_76
.LBB142_75:                             ;   Parent Loop BB142_74 Depth=1
                                        ; =>  This Inner Loop Header: Depth=2
	v_mov_b32_e32 v6, s15
	ds_read_b64 v[4:5], v3
	ds_read_b64 v[9:10], v6
	s_add_i32 s18, s18, -1
	s_sub_i32 s15, s15, 64
	v_subrev_u32_e32 v3, 64, v3
	s_cmp_le_u32 s18, s19
	s_waitcnt lgkmcnt(0)
	v_mul_f32_e32 v6, v10, v5
	v_mul_f32_e32 v5, v9, v5
	v_fma_f32 v6, v9, v4, -v6
	v_fmac_f32_e32 v5, v10, v4
	v_sub_f32_e32 v1, v1, v6
	v_sub_f32_e32 v2, v2, v5
	s_cbranch_scc0 .LBB142_75
.LBB142_76:                             ;   in Loop: Header=BB142_74 Depth=1
	s_lshl_b32 s15, s19, 3
	s_add_i32 s14, s15, s14
	v_mov_b32_e32 v3, s14
	ds_read_b64 v[3:4], v3
	s_mov_b64 s[14:15], -1
                                        ; implicit-def: $vgpr5
	s_waitcnt lgkmcnt(0)
	v_cmp_ngt_f32_e64 s[20:21], |v3|, |v4|
	s_and_b64 vcc, exec, s[20:21]
	s_cbranch_vccz .LBB142_78
; %bb.77:                               ;   in Loop: Header=BB142_74 Depth=1
	v_div_scale_f32 v5, s[14:15], v4, v4, v3
	v_div_scale_f32 v6, vcc, v3, v4, v3
	v_rcp_f32_e32 v9, v5
	v_fma_f32 v10, -v5, v9, 1.0
	v_fmac_f32_e32 v9, v10, v9
	v_mul_f32_e32 v10, v6, v9
	v_fma_f32 v11, -v5, v10, v6
	v_fmac_f32_e32 v10, v11, v9
	v_fma_f32 v5, -v5, v10, v6
	v_div_fmas_f32 v5, v5, v9, v10
	v_div_fixup_f32 v5, v5, v4, v3
	v_fma_f32 v6, v3, v5, v4
	v_div_scale_f32 v9, s[14:15], v6, v6, 1.0
	v_div_scale_f32 v10, vcc, 1.0, v6, 1.0
	s_mov_b64 s[14:15], 0
	v_rcp_f32_e32 v11, v9
	v_fma_f32 v12, -v9, v11, 1.0
	v_fmac_f32_e32 v11, v12, v11
	v_mul_f32_e32 v12, v10, v11
	v_fma_f32 v14, -v9, v12, v10
	v_fmac_f32_e32 v12, v14, v11
	v_fma_f32 v9, -v9, v12, v10
	v_div_fmas_f32 v9, v9, v11, v12
	v_fma_f32 v10, v1, v5, v2
	v_fma_f32 v11, v2, v5, -v1
	v_div_fixup_f32 v6, v9, v6, 1.0
	v_mul_f32_e32 v5, v10, v6
	v_mul_f32_e32 v6, v11, v6
.LBB142_78:                             ;   in Loop: Header=BB142_74 Depth=1
	s_andn2_b64 vcc, exec, s[14:15]
	s_cbranch_vccnz .LBB142_73
; %bb.79:                               ;   in Loop: Header=BB142_74 Depth=1
	v_div_scale_f32 v5, s[14:15], v3, v3, v4
	v_div_scale_f32 v6, vcc, v4, v3, v4
	v_rcp_f32_e32 v9, v5
	v_fma_f32 v10, -v5, v9, 1.0
	v_fmac_f32_e32 v9, v10, v9
	v_mul_f32_e32 v10, v6, v9
	v_fma_f32 v11, -v5, v10, v6
	v_fmac_f32_e32 v10, v11, v9
	v_fma_f32 v5, -v5, v10, v6
	v_div_fmas_f32 v5, v5, v9, v10
	v_div_fixup_f32 v5, v5, v3, v4
	v_fmac_f32_e32 v3, v4, v5
	v_div_scale_f32 v4, s[14:15], v3, v3, 1.0
	v_div_scale_f32 v6, vcc, 1.0, v3, 1.0
	v_rcp_f32_e32 v9, v4
	v_fma_f32 v10, -v4, v9, 1.0
	v_fmac_f32_e32 v9, v10, v9
	v_mul_f32_e32 v10, v6, v9
	v_fma_f32 v11, -v4, v10, v6
	v_fmac_f32_e32 v10, v11, v9
	v_fma_f32 v4, -v4, v10, v6
	v_div_fmas_f32 v4, v4, v9, v10
	v_fma_f32 v6, v2, v5, v1
	v_fma_f32 v1, -v1, v5, v2
	v_div_fixup_f32 v2, v4, v3, 1.0
	v_mul_f32_e32 v5, v6, v2
	v_mul_f32_e32 v6, v1, v2
	s_branch .LBB142_73
.LBB142_80:
	s_mov_b64 s[20:21], 0
.LBB142_81:
	s_andn2_b64 vcc, exec, s[20:21]
	s_cbranch_vccnz .LBB142_113
; %bb.82:
	s_andn2_b64 vcc, exec, s[8:9]
	s_mov_b32 s15, s11
	s_cbranch_vccnz .LBB142_104
; %bb.83:
	v_lshlrev_b32_e32 v1, 3, v0
	v_lshl_or_b32 v1, s24, 6, v1
	s_mul_i32 s8, s24, 0x48
	v_add_u32_e32 v14, 0x1c0, v1
	s_add_i32 s13, s8, 0xfffffef8
	s_mov_b32 s14, s11
.LBB142_84:                             ; =>This Loop Header: Depth=1
                                        ;     Child Loop BB142_85 Depth 2
	v_lshl_add_u32 v18, s14, 6, v13
	s_add_i32 s8, s14, -1
	s_add_i32 s9, s14, -2
	;; [unrolled: 1-line block ×3, first 2 shown]
	v_lshl_add_u32 v17, s8, 6, v13
	v_lshl_add_u32 v16, s9, 6, v13
	;; [unrolled: 1-line block ×3, first 2 shown]
	ds_read_b64 v[1:2], v18
	ds_read_b64 v[11:12], v17
	;; [unrolled: 1-line block ×4, first 2 shown]
	s_cmp_le_i32 s11, s14
	s_mov_b32 s18, s13
	v_mov_b32_e32 v3, v14
	s_mov_b32 s19, s11
	s_cbranch_scc1 .LBB142_86
.LBB142_85:                             ;   Parent Loop BB142_84 Depth=1
                                        ; =>  This Inner Loop Header: Depth=2
	v_mov_b32_e32 v4, s18
	ds_read_b64 v[9:10], v3
	ds_read2_b64 v[19:22], v4 offset0:16 offset1:24
	s_add_i32 s19, s19, -1
	s_add_i32 s18, s18, -8
	v_subrev_u32_e32 v3, 64, v3
	s_cmp_le_i32 s19, s14
	s_waitcnt lgkmcnt(0)
	v_mul_f32_e32 v23, v22, v10
	v_fma_f32 v23, v21, v9, -v23
	v_mul_f32_e32 v24, v21, v10
	v_mul_f32_e32 v21, v20, v10
	;; [unrolled: 1-line block ×3, first 2 shown]
	v_fmac_f32_e32 v24, v22, v9
	v_fma_f32 v25, v19, v9, -v21
	v_fmac_f32_e32 v26, v19, v10
	ds_read2_b64 v[19:22], v4 offset1:8
	v_sub_f32_e32 v1, v1, v23
	v_sub_f32_e32 v2, v2, v24
	;; [unrolled: 1-line block ×4, first 2 shown]
	s_waitcnt lgkmcnt(0)
	v_mul_f32_e32 v4, v22, v10
	v_mul_f32_e32 v22, v22, v9
	v_fma_f32 v4, v21, v9, -v4
	v_fmac_f32_e32 v22, v21, v10
	v_mul_f32_e32 v21, v20, v10
	v_fma_f32 v21, v19, v9, -v21
	v_mul_f32_e32 v9, v20, v9
	v_fmac_f32_e32 v9, v19, v10
	v_sub_f32_e32 v7, v7, v4
	v_sub_f32_e32 v8, v8, v22
	;; [unrolled: 1-line block ×4, first 2 shown]
	s_cbranch_scc0 .LBB142_85
.LBB142_86:                             ;   in Loop: Header=BB142_84 Depth=1
	s_lshl_b32 s19, s8, 3
	s_mul_i32 s8, s14, 0x48
	v_mov_b32_e32 v3, s8
	ds_read_b64 v[3:4], v3
	s_lshl_b32 s18, s9, 3
	s_lshl_b32 s15, s15, 3
	s_mov_b64 s[8:9], -1
                                        ; implicit-def: $vgpr10
	s_waitcnt lgkmcnt(0)
	v_cmp_ngt_f32_e64 s[20:21], |v3|, |v4|
	s_and_b64 vcc, exec, s[20:21]
	s_cbranch_vccz .LBB142_88
; %bb.87:                               ;   in Loop: Header=BB142_84 Depth=1
	v_div_scale_f32 v9, s[8:9], v4, v4, v3
	v_div_scale_f32 v10, vcc, v3, v4, v3
	v_rcp_f32_e32 v19, v9
	v_fma_f32 v20, -v9, v19, 1.0
	v_fmac_f32_e32 v19, v20, v19
	v_mul_f32_e32 v20, v10, v19
	v_fma_f32 v21, -v9, v20, v10
	v_fmac_f32_e32 v20, v21, v19
	v_fma_f32 v9, -v9, v20, v10
	v_div_fmas_f32 v9, v9, v19, v20
	v_div_fixup_f32 v9, v9, v4, v3
	v_fma_f32 v10, v3, v9, v4
	v_div_scale_f32 v19, s[8:9], v10, v10, 1.0
	v_div_scale_f32 v20, vcc, 1.0, v10, 1.0
	s_mov_b64 s[8:9], 0
	v_rcp_f32_e32 v21, v19
	v_fma_f32 v22, -v19, v21, 1.0
	v_fmac_f32_e32 v21, v22, v21
	v_mul_f32_e32 v22, v20, v21
	v_fma_f32 v23, -v19, v22, v20
	v_fmac_f32_e32 v22, v23, v21
	v_fma_f32 v19, -v19, v22, v20
	v_div_fmas_f32 v19, v19, v21, v22
	v_fma_f32 v20, v1, v9, v2
	v_fma_f32 v21, v2, v9, -v1
	v_div_fixup_f32 v10, v19, v10, 1.0
	v_mul_f32_e32 v9, v20, v10
	v_mul_f32_e32 v10, v21, v10
.LBB142_88:                             ;   in Loop: Header=BB142_84 Depth=1
	s_andn2_b64 vcc, exec, s[8:9]
	s_cbranch_vccnz .LBB142_90
; %bb.89:                               ;   in Loop: Header=BB142_84 Depth=1
	v_div_scale_f32 v9, s[8:9], v3, v3, v4
	v_div_scale_f32 v10, vcc, v4, v3, v4
	v_rcp_f32_e32 v19, v9
	v_fma_f32 v20, -v9, v19, 1.0
	v_fmac_f32_e32 v19, v20, v19
	v_mul_f32_e32 v20, v10, v19
	v_fma_f32 v21, -v9, v20, v10
	v_fmac_f32_e32 v20, v21, v19
	v_fma_f32 v9, -v9, v20, v10
	v_div_fmas_f32 v9, v9, v19, v20
	v_div_fixup_f32 v9, v9, v3, v4
	v_fmac_f32_e32 v3, v4, v9
	v_div_scale_f32 v4, s[8:9], v3, v3, 1.0
	v_div_scale_f32 v10, vcc, 1.0, v3, 1.0
	v_rcp_f32_e32 v19, v4
	v_fma_f32 v20, -v4, v19, 1.0
	v_fmac_f32_e32 v19, v20, v19
	v_mul_f32_e32 v20, v10, v19
	v_fma_f32 v21, -v4, v20, v10
	v_fmac_f32_e32 v20, v21, v19
	v_fma_f32 v4, -v4, v20, v10
	v_div_fmas_f32 v4, v4, v19, v20
	v_fma_f32 v10, v2, v9, v1
	v_fma_f32 v1, -v1, v9, v2
	v_div_fixup_f32 v2, v4, v3, 1.0
	v_mul_f32_e32 v9, v10, v2
	v_mul_f32_e32 v10, v1, v2
.LBB142_90:                             ;   in Loop: Header=BB142_84 Depth=1
	s_lshl_b32 s8, s19, 3
	s_add_i32 s8, s8, s19
	v_mov_b32_e32 v1, s8
	ds_read2_b64 v[1:4], v1 offset1:1
	ds_write_b64 v18, v[9:10]
	s_mov_b64 s[8:9], -1
	s_waitcnt lgkmcnt(1)
	v_mul_f32_e32 v18, v10, v4
	v_mul_f32_e32 v4, v9, v4
	v_fma_f32 v18, v9, v3, -v18
	v_fmac_f32_e32 v4, v10, v3
	v_cmp_ngt_f32_e64 s[20:21], |v1|, |v2|
	v_sub_f32_e32 v3, v11, v18
	v_sub_f32_e32 v4, v12, v4
	s_and_b64 vcc, exec, s[20:21]
                                        ; implicit-def: $vgpr12
	s_cbranch_vccz .LBB142_92
; %bb.91:                               ;   in Loop: Header=BB142_84 Depth=1
	v_div_scale_f32 v11, s[8:9], v2, v2, v1
	v_div_scale_f32 v12, vcc, v1, v2, v1
	v_rcp_f32_e32 v18, v11
	v_fma_f32 v19, -v11, v18, 1.0
	v_fmac_f32_e32 v18, v19, v18
	v_mul_f32_e32 v19, v12, v18
	v_fma_f32 v20, -v11, v19, v12
	v_fmac_f32_e32 v19, v20, v18
	v_fma_f32 v11, -v11, v19, v12
	v_div_fmas_f32 v11, v11, v18, v19
	v_div_fixup_f32 v11, v11, v2, v1
	v_fma_f32 v12, v1, v11, v2
	v_div_scale_f32 v18, s[8:9], v12, v12, 1.0
	v_div_scale_f32 v19, vcc, 1.0, v12, 1.0
	s_mov_b64 s[8:9], 0
	v_rcp_f32_e32 v20, v18
	v_fma_f32 v21, -v18, v20, 1.0
	v_fmac_f32_e32 v20, v21, v20
	v_mul_f32_e32 v21, v19, v20
	v_fma_f32 v22, -v18, v21, v19
	v_fmac_f32_e32 v21, v22, v20
	v_fma_f32 v18, -v18, v21, v19
	v_div_fmas_f32 v18, v18, v20, v21
	v_fma_f32 v19, v11, v3, v4
	v_fma_f32 v20, v11, v4, -v3
	v_div_fixup_f32 v12, v18, v12, 1.0
	v_mul_f32_e32 v11, v19, v12
	v_mul_f32_e32 v12, v20, v12
.LBB142_92:                             ;   in Loop: Header=BB142_84 Depth=1
	s_andn2_b64 vcc, exec, s[8:9]
	s_cbranch_vccnz .LBB142_94
; %bb.93:                               ;   in Loop: Header=BB142_84 Depth=1
	v_div_scale_f32 v11, s[8:9], v1, v1, v2
	v_div_scale_f32 v12, vcc, v2, v1, v2
	v_rcp_f32_e32 v18, v11
	v_fma_f32 v19, -v11, v18, 1.0
	v_fmac_f32_e32 v18, v19, v18
	v_mul_f32_e32 v19, v12, v18
	v_fma_f32 v20, -v11, v19, v12
	v_fmac_f32_e32 v19, v20, v18
	v_fma_f32 v11, -v11, v19, v12
	v_div_fmas_f32 v11, v11, v18, v19
	v_div_fixup_f32 v11, v11, v1, v2
	v_fmac_f32_e32 v1, v2, v11
	v_div_scale_f32 v2, s[8:9], v1, v1, 1.0
	v_div_scale_f32 v12, vcc, 1.0, v1, 1.0
	v_rcp_f32_e32 v18, v2
	v_fma_f32 v19, -v2, v18, 1.0
	v_fmac_f32_e32 v18, v19, v18
	v_mul_f32_e32 v19, v12, v18
	v_fma_f32 v20, -v2, v19, v12
	v_fmac_f32_e32 v19, v20, v18
	v_fma_f32 v2, -v2, v19, v12
	v_div_fmas_f32 v2, v2, v18, v19
	v_fma_f32 v12, v11, v4, v3
	v_fma_f32 v3, -v11, v3, v4
	v_div_fixup_f32 v1, v2, v1, 1.0
	v_mul_f32_e32 v11, v12, v1
	v_mul_f32_e32 v12, v3, v1
.LBB142_94:                             ;   in Loop: Header=BB142_84 Depth=1
	s_lshl_b32 s8, s18, 3
	s_lshl_b32 s19, s14, 3
	s_add_i32 s9, s8, s19
	v_mov_b32_e32 v1, s9
	ds_read_b64 v[18:19], v1
	s_add_i32 s8, s8, s18
	v_mov_b32_e32 v1, s8
	ds_read2_b64 v[1:4], v1 offset1:1
	ds_write_b64 v17, v[11:12]
	s_waitcnt lgkmcnt(2)
	v_mul_f32_e32 v17, v10, v19
	v_fma_f32 v17, v9, v18, -v17
	v_mul_f32_e32 v19, v9, v19
	v_fmac_f32_e32 v19, v10, v18
	v_sub_f32_e32 v7, v7, v17
	s_waitcnt lgkmcnt(1)
	v_mul_f32_e32 v17, v12, v4
	v_mul_f32_e32 v4, v11, v4
	v_sub_f32_e32 v8, v8, v19
	v_fma_f32 v17, v11, v3, -v17
	v_fmac_f32_e32 v4, v12, v3
	v_cmp_ngt_f32_e64 s[20:21], |v1|, |v2|
	v_sub_f32_e32 v3, v7, v17
	v_sub_f32_e32 v4, v8, v4
	s_mov_b64 s[8:9], -1
	s_and_b64 vcc, exec, s[20:21]
                                        ; implicit-def: $vgpr8
	s_cbranch_vccz .LBB142_96
; %bb.95:                               ;   in Loop: Header=BB142_84 Depth=1
	v_div_scale_f32 v7, s[8:9], v2, v2, v1
	v_div_scale_f32 v8, vcc, v1, v2, v1
	v_rcp_f32_e32 v17, v7
	v_fma_f32 v18, -v7, v17, 1.0
	v_fmac_f32_e32 v17, v18, v17
	v_mul_f32_e32 v18, v8, v17
	v_fma_f32 v19, -v7, v18, v8
	v_fmac_f32_e32 v18, v19, v17
	v_fma_f32 v7, -v7, v18, v8
	v_div_fmas_f32 v7, v7, v17, v18
	v_div_fixup_f32 v7, v7, v2, v1
	v_fma_f32 v8, v1, v7, v2
	v_div_scale_f32 v17, s[8:9], v8, v8, 1.0
	v_div_scale_f32 v18, vcc, 1.0, v8, 1.0
	s_mov_b64 s[8:9], 0
	v_rcp_f32_e32 v19, v17
	v_fma_f32 v20, -v17, v19, 1.0
	v_fmac_f32_e32 v19, v20, v19
	v_mul_f32_e32 v20, v18, v19
	v_fma_f32 v21, -v17, v20, v18
	v_fmac_f32_e32 v20, v21, v19
	v_fma_f32 v17, -v17, v20, v18
	v_div_fmas_f32 v17, v17, v19, v20
	v_fma_f32 v18, v7, v3, v4
	v_fma_f32 v19, v7, v4, -v3
	v_div_fixup_f32 v8, v17, v8, 1.0
	v_mul_f32_e32 v7, v18, v8
	v_mul_f32_e32 v8, v19, v8
.LBB142_96:                             ;   in Loop: Header=BB142_84 Depth=1
	s_andn2_b64 vcc, exec, s[8:9]
	s_cbranch_vccnz .LBB142_98
; %bb.97:                               ;   in Loop: Header=BB142_84 Depth=1
	v_div_scale_f32 v7, s[8:9], v1, v1, v2
	v_div_scale_f32 v8, vcc, v2, v1, v2
	v_rcp_f32_e32 v17, v7
	v_fma_f32 v18, -v7, v17, 1.0
	v_fmac_f32_e32 v17, v18, v17
	v_mul_f32_e32 v18, v8, v17
	v_fma_f32 v19, -v7, v18, v8
	v_fmac_f32_e32 v18, v19, v17
	v_fma_f32 v7, -v7, v18, v8
	v_div_fmas_f32 v7, v7, v17, v18
	v_div_fixup_f32 v7, v7, v1, v2
	v_fmac_f32_e32 v1, v2, v7
	v_div_scale_f32 v2, s[8:9], v1, v1, 1.0
	v_div_scale_f32 v8, vcc, 1.0, v1, 1.0
	v_rcp_f32_e32 v17, v2
	v_fma_f32 v18, -v2, v17, 1.0
	v_fmac_f32_e32 v17, v18, v17
	v_mul_f32_e32 v18, v8, v17
	v_fma_f32 v19, -v2, v18, v8
	v_fmac_f32_e32 v18, v19, v17
	v_fma_f32 v2, -v2, v18, v8
	v_div_fmas_f32 v2, v2, v17, v18
	v_fma_f32 v8, v7, v4, v3
	v_fma_f32 v3, -v7, v3, v4
	v_div_fixup_f32 v1, v2, v1, 1.0
	v_mul_f32_e32 v7, v8, v1
	v_mul_f32_e32 v8, v3, v1
.LBB142_98:                             ;   in Loop: Header=BB142_84 Depth=1
	s_lshl_b32 s8, s15, 3
	s_add_i32 s9, s8, s19
	s_add_i32 s9, s9, -8
	v_mov_b32_e32 v1, s9
	ds_read2_b64 v[17:20], v1 offset1:1
	s_add_i32 s8, s8, s15
	v_mov_b32_e32 v1, s8
	ds_write_b64 v16, v[7:8]
	ds_read2_b64 v[1:4], v1 offset1:1
	s_waitcnt lgkmcnt(2)
	v_mul_f32_e32 v16, v10, v20
	v_fma_f32 v16, v9, v19, -v16
	v_mul_f32_e32 v9, v9, v20
	v_fmac_f32_e32 v9, v10, v19
	v_sub_f32_e32 v6, v6, v9
	v_mul_f32_e32 v9, v12, v18
	v_sub_f32_e32 v5, v5, v16
	v_fma_f32 v9, v11, v17, -v9
	v_mul_f32_e32 v10, v11, v18
	v_fmac_f32_e32 v10, v12, v17
	v_sub_f32_e32 v5, v5, v9
	s_waitcnt lgkmcnt(0)
	v_mul_f32_e32 v9, v8, v4
	v_mul_f32_e32 v4, v7, v4
	v_sub_f32_e32 v6, v6, v10
	v_fma_f32 v9, v7, v3, -v9
	v_fmac_f32_e32 v4, v8, v3
	v_cmp_ngt_f32_e64 s[18:19], |v1|, |v2|
	v_sub_f32_e32 v5, v5, v9
	v_sub_f32_e32 v6, v6, v4
	s_mov_b64 s[8:9], -1
	s_and_b64 vcc, exec, s[18:19]
                                        ; implicit-def: $vgpr4
	s_cbranch_vccz .LBB142_100
; %bb.99:                               ;   in Loop: Header=BB142_84 Depth=1
	v_div_scale_f32 v3, s[8:9], v2, v2, v1
	v_div_scale_f32 v4, vcc, v1, v2, v1
	v_rcp_f32_e32 v7, v3
	v_fma_f32 v8, -v3, v7, 1.0
	v_fmac_f32_e32 v7, v8, v7
	v_mul_f32_e32 v8, v4, v7
	v_fma_f32 v9, -v3, v8, v4
	v_fmac_f32_e32 v8, v9, v7
	v_fma_f32 v3, -v3, v8, v4
	v_div_fmas_f32 v3, v3, v7, v8
	v_div_fixup_f32 v3, v3, v2, v1
	v_fma_f32 v4, v1, v3, v2
	v_div_scale_f32 v7, s[8:9], v4, v4, 1.0
	v_div_scale_f32 v8, vcc, 1.0, v4, 1.0
	s_mov_b64 s[8:9], 0
	v_rcp_f32_e32 v9, v7
	v_fma_f32 v10, -v7, v9, 1.0
	v_fmac_f32_e32 v9, v10, v9
	v_mul_f32_e32 v10, v8, v9
	v_fma_f32 v11, -v7, v10, v8
	v_fmac_f32_e32 v10, v11, v9
	v_fma_f32 v7, -v7, v10, v8
	v_div_fmas_f32 v7, v7, v9, v10
	v_fma_f32 v8, v3, v5, v6
	v_fma_f32 v9, v3, v6, -v5
	v_div_fixup_f32 v4, v7, v4, 1.0
	v_mul_f32_e32 v3, v8, v4
	v_mul_f32_e32 v4, v9, v4
.LBB142_100:                            ;   in Loop: Header=BB142_84 Depth=1
	s_andn2_b64 vcc, exec, s[8:9]
	s_cbranch_vccnz .LBB142_102
; %bb.101:                              ;   in Loop: Header=BB142_84 Depth=1
	v_div_scale_f32 v3, s[8:9], v1, v1, v2
	v_div_scale_f32 v4, vcc, v2, v1, v2
	v_rcp_f32_e32 v7, v3
	v_fma_f32 v8, -v3, v7, 1.0
	v_fmac_f32_e32 v7, v8, v7
	v_mul_f32_e32 v8, v4, v7
	v_fma_f32 v9, -v3, v8, v4
	v_fmac_f32_e32 v8, v9, v7
	v_fma_f32 v3, -v3, v8, v4
	v_div_fmas_f32 v3, v3, v7, v8
	v_div_fixup_f32 v3, v3, v1, v2
	v_fmac_f32_e32 v1, v2, v3
	v_div_scale_f32 v2, s[8:9], v1, v1, 1.0
	v_div_scale_f32 v4, vcc, 1.0, v1, 1.0
	v_rcp_f32_e32 v7, v2
	v_fma_f32 v8, -v2, v7, 1.0
	v_fmac_f32_e32 v7, v8, v7
	v_mul_f32_e32 v8, v4, v7
	v_fma_f32 v9, -v2, v8, v4
	v_fmac_f32_e32 v8, v9, v7
	v_fma_f32 v2, -v2, v8, v4
	v_div_fmas_f32 v2, v2, v7, v8
	v_fma_f32 v4, v3, v6, v5
	v_fma_f32 v5, -v3, v5, v6
	v_div_fixup_f32 v1, v2, v1, 1.0
	v_mul_f32_e32 v3, v4, v1
	v_mul_f32_e32 v4, v5, v1
.LBB142_102:                            ;   in Loop: Header=BB142_84 Depth=1
	s_add_i32 s15, s14, -4
	s_addk_i32 s13, 0xff00
	s_cmp_lt_i32 s14, 7
	ds_write_b64 v15, v[3:4]
	s_cbranch_scc1 .LBB142_104
; %bb.103:                              ;   in Loop: Header=BB142_84 Depth=1
	s_mov_b32 s14, s15
	s_branch .LBB142_84
.LBB142_104:
	s_cmp_lt_i32 s15, 0
	s_cbranch_scc1 .LBB142_113
; %bb.105:
	v_lshlrev_b32_e32 v1, 3, v0
	s_lshl_b32 s8, s15, 6
	s_lshl_b32 s9, s24, 3
	v_lshl_or_b32 v1, s24, 6, v1
	s_add_i32 s8, s8, s9
	v_add_u32_e32 v7, 0x1c0, v1
	s_add_i32 s13, s8, -8
	s_branch .LBB142_107
.LBB142_106:                            ;   in Loop: Header=BB142_107 Depth=1
	v_sub_co_u32_e64 v1, s[8:9], s15, 1
	v_readfirstlane_b32 s15, v1
	s_sub_i32 s13, s13, 64
	s_and_b64 vcc, exec, s[8:9]
	ds_write_b64 v8, v[5:6]
	s_cbranch_vccnz .LBB142_113
.LBB142_107:                            ; =>This Loop Header: Depth=1
                                        ;     Child Loop BB142_108 Depth 2
	v_lshl_add_u32 v8, s15, 6, v13
	ds_read_b64 v[1:2], v8
	s_cmp_le_i32 s11, s15
	s_mov_b32 s8, s13
	v_mov_b32_e32 v3, v7
	s_mov_b32 s9, s11
	s_cbranch_scc1 .LBB142_109
.LBB142_108:                            ;   Parent Loop BB142_107 Depth=1
                                        ; =>  This Inner Loop Header: Depth=2
	v_mov_b32_e32 v6, s8
	ds_read_b64 v[4:5], v3
	ds_read_b64 v[9:10], v6
	s_add_i32 s9, s9, -1
	s_add_i32 s8, s8, -8
	v_subrev_u32_e32 v3, 64, v3
	s_cmp_le_u32 s9, s15
	s_waitcnt lgkmcnt(0)
	v_mul_f32_e32 v6, v10, v5
	v_mul_f32_e32 v5, v9, v5
	v_fma_f32 v6, v9, v4, -v6
	v_fmac_f32_e32 v5, v10, v4
	v_sub_f32_e32 v1, v1, v6
	v_sub_f32_e32 v2, v2, v5
	s_cbranch_scc0 .LBB142_108
.LBB142_109:                            ;   in Loop: Header=BB142_107 Depth=1
	s_mul_i32 s8, s15, 0x48
	v_mov_b32_e32 v3, s8
	ds_read_b64 v[3:4], v3
	s_mov_b64 s[8:9], -1
                                        ; implicit-def: $vgpr5
	s_waitcnt lgkmcnt(0)
	v_cmp_ngt_f32_e64 s[18:19], |v3|, |v4|
	s_and_b64 vcc, exec, s[18:19]
	s_cbranch_vccz .LBB142_111
; %bb.110:                              ;   in Loop: Header=BB142_107 Depth=1
	v_div_scale_f32 v5, s[8:9], v4, v4, v3
	v_div_scale_f32 v6, vcc, v3, v4, v3
	v_rcp_f32_e32 v9, v5
	v_fma_f32 v10, -v5, v9, 1.0
	v_fmac_f32_e32 v9, v10, v9
	v_mul_f32_e32 v10, v6, v9
	v_fma_f32 v11, -v5, v10, v6
	v_fmac_f32_e32 v10, v11, v9
	v_fma_f32 v5, -v5, v10, v6
	v_div_fmas_f32 v5, v5, v9, v10
	v_div_fixup_f32 v5, v5, v4, v3
	v_fma_f32 v6, v3, v5, v4
	v_div_scale_f32 v9, s[8:9], v6, v6, 1.0
	v_div_scale_f32 v10, vcc, 1.0, v6, 1.0
	s_mov_b64 s[8:9], 0
	v_rcp_f32_e32 v11, v9
	v_fma_f32 v12, -v9, v11, 1.0
	v_fmac_f32_e32 v11, v12, v11
	v_mul_f32_e32 v12, v10, v11
	v_fma_f32 v14, -v9, v12, v10
	v_fmac_f32_e32 v12, v14, v11
	v_fma_f32 v9, -v9, v12, v10
	v_div_fmas_f32 v9, v9, v11, v12
	v_fma_f32 v10, v1, v5, v2
	v_fma_f32 v11, v2, v5, -v1
	v_div_fixup_f32 v6, v9, v6, 1.0
	v_mul_f32_e32 v5, v10, v6
	v_mul_f32_e32 v6, v11, v6
.LBB142_111:                            ;   in Loop: Header=BB142_107 Depth=1
	s_andn2_b64 vcc, exec, s[8:9]
	s_cbranch_vccnz .LBB142_106
; %bb.112:                              ;   in Loop: Header=BB142_107 Depth=1
	v_div_scale_f32 v5, s[8:9], v3, v3, v4
	v_div_scale_f32 v6, vcc, v4, v3, v4
	v_rcp_f32_e32 v9, v5
	v_fma_f32 v10, -v5, v9, 1.0
	v_fmac_f32_e32 v9, v10, v9
	v_mul_f32_e32 v10, v6, v9
	v_fma_f32 v11, -v5, v10, v6
	v_fmac_f32_e32 v10, v11, v9
	v_fma_f32 v5, -v5, v10, v6
	v_div_fmas_f32 v5, v5, v9, v10
	v_div_fixup_f32 v5, v5, v3, v4
	v_fmac_f32_e32 v3, v4, v5
	v_div_scale_f32 v4, s[8:9], v3, v3, 1.0
	v_div_scale_f32 v6, vcc, 1.0, v3, 1.0
	v_rcp_f32_e32 v9, v4
	v_fma_f32 v10, -v4, v9, 1.0
	v_fmac_f32_e32 v9, v10, v9
	v_mul_f32_e32 v10, v6, v9
	v_fma_f32 v11, -v4, v10, v6
	v_fmac_f32_e32 v10, v11, v9
	v_fma_f32 v4, -v4, v10, v6
	v_div_fmas_f32 v4, v4, v9, v10
	v_fma_f32 v6, v2, v5, v1
	v_fma_f32 v1, -v1, v5, v2
	v_div_fixup_f32 v2, v4, v3, 1.0
	v_mul_f32_e32 v5, v6, v2
	v_mul_f32_e32 v6, v1, v2
	s_branch .LBB142_106
.LBB142_113:
	s_mov_b64 s[20:21], 0
.LBB142_114:
	s_andn2_b64 vcc, exec, s[20:21]
	s_cbranch_vccnz .LBB142_146
; %bb.115:
	v_mov_b32_e32 v1, 0x200
	v_lshl_or_b32 v13, v0, 3, v1
	s_cmp_lt_i32 s12, 4
	s_mov_b32 s14, 0
	s_cbranch_scc1 .LBB142_137
; %bb.116:
	s_mov_b32 s11, 0
	s_mov_b32 s13, 0
.LBB142_117:                            ; =>This Loop Header: Depth=1
                                        ;     Child Loop BB142_118 Depth 2
	s_or_b32 s8, s13, 3
	v_lshl_add_u32 v17, s13, 6, v13
	s_or_b32 s9, s13, 1
	s_or_b32 s14, s13, 2
	v_lshl_add_u32 v16, s9, 6, v13
	v_lshl_add_u32 v15, s14, 6, v13
	;; [unrolled: 1-line block ×3, first 2 shown]
	ds_read_b64 v[1:2], v17
	ds_read_b64 v[11:12], v16
	ds_read_b64 v[7:8], v15
	ds_read_b64 v[5:6], v14
	s_cmp_eq_u32 s13, 0
	s_mov_b32 s15, s11
	v_mov_b32_e32 v3, v13
	s_mov_b32 s18, s13
	s_cbranch_scc1 .LBB142_119
.LBB142_118:                            ;   Parent Loop BB142_117 Depth=1
                                        ; =>  This Inner Loop Header: Depth=2
	v_mov_b32_e32 v4, s15
	ds_read_b64 v[9:10], v3
	ds_read2_b64 v[18:21], v4 offset1:8
	s_add_i32 s18, s18, -1
	s_add_i32 s15, s15, 8
	v_add_u32_e32 v3, 64, v3
	s_cmp_eq_u32 s18, 0
	s_waitcnt lgkmcnt(0)
	v_mul_f32_e32 v22, v19, v10
	v_fma_f32 v22, v18, v9, -v22
	v_mul_f32_e32 v18, v18, v10
	v_fmac_f32_e32 v18, v19, v9
	v_sub_f32_e32 v2, v2, v18
	v_mul_f32_e32 v18, v21, v10
	v_mul_f32_e32 v19, v21, v9
	v_fma_f32 v18, v20, v9, -v18
	v_fmac_f32_e32 v19, v20, v10
	v_sub_f32_e32 v11, v11, v18
	v_sub_f32_e32 v12, v12, v19
	ds_read2_b64 v[18:21], v4 offset0:16 offset1:24
	v_sub_f32_e32 v1, v1, v22
	s_waitcnt lgkmcnt(0)
	v_mul_f32_e32 v4, v19, v10
	v_fma_f32 v4, v18, v9, -v4
	v_sub_f32_e32 v7, v7, v4
	v_mul_f32_e32 v4, v21, v10
	v_mul_f32_e32 v19, v19, v9
	v_fma_f32 v4, v20, v9, -v4
	v_mul_f32_e32 v9, v21, v9
	v_fmac_f32_e32 v19, v18, v10
	v_fmac_f32_e32 v9, v20, v10
	v_sub_f32_e32 v8, v8, v19
	v_sub_f32_e32 v5, v5, v4
	;; [unrolled: 1-line block ×3, first 2 shown]
	s_cbranch_scc0 .LBB142_118
.LBB142_119:                            ;   in Loop: Header=BB142_117 Depth=1
	s_lshl_b32 s18, s14, 3
	s_lshl_b32 s14, s8, 3
	s_mul_i32 s8, s13, 0x48
	v_mov_b32_e32 v3, s8
	ds_read_b64 v[3:4], v3
	s_lshl_b32 s15, s9, 3
	s_mov_b64 s[8:9], -1
                                        ; implicit-def: $vgpr10
	s_waitcnt lgkmcnt(0)
	v_cmp_ngt_f32_e64 s[20:21], |v3|, |v4|
	s_and_b64 vcc, exec, s[20:21]
	s_cbranch_vccz .LBB142_121
; %bb.120:                              ;   in Loop: Header=BB142_117 Depth=1
	v_div_scale_f32 v9, s[8:9], v4, v4, v3
	v_div_scale_f32 v10, vcc, v3, v4, v3
	v_rcp_f32_e32 v18, v9
	v_fma_f32 v19, -v9, v18, 1.0
	v_fmac_f32_e32 v18, v19, v18
	v_mul_f32_e32 v19, v10, v18
	v_fma_f32 v20, -v9, v19, v10
	v_fmac_f32_e32 v19, v20, v18
	v_fma_f32 v9, -v9, v19, v10
	v_div_fmas_f32 v9, v9, v18, v19
	v_div_fixup_f32 v9, v9, v4, v3
	v_fma_f32 v10, v3, v9, v4
	v_div_scale_f32 v18, s[8:9], v10, v10, 1.0
	v_div_scale_f32 v19, vcc, 1.0, v10, 1.0
	s_mov_b64 s[8:9], 0
	v_rcp_f32_e32 v20, v18
	v_fma_f32 v21, -v18, v20, 1.0
	v_fmac_f32_e32 v20, v21, v20
	v_mul_f32_e32 v21, v19, v20
	v_fma_f32 v22, -v18, v21, v19
	v_fmac_f32_e32 v21, v22, v20
	v_fma_f32 v18, -v18, v21, v19
	v_div_fmas_f32 v18, v18, v20, v21
	v_fma_f32 v19, v1, v9, v2
	v_fma_f32 v20, v2, v9, -v1
	v_div_fixup_f32 v10, v18, v10, 1.0
	v_mul_f32_e32 v9, v19, v10
	v_mul_f32_e32 v10, v20, v10
.LBB142_121:                            ;   in Loop: Header=BB142_117 Depth=1
	s_andn2_b64 vcc, exec, s[8:9]
	s_cbranch_vccnz .LBB142_123
; %bb.122:                              ;   in Loop: Header=BB142_117 Depth=1
	v_div_scale_f32 v9, s[8:9], v3, v3, v4
	v_div_scale_f32 v10, vcc, v4, v3, v4
	v_rcp_f32_e32 v18, v9
	v_fma_f32 v19, -v9, v18, 1.0
	v_fmac_f32_e32 v18, v19, v18
	v_mul_f32_e32 v19, v10, v18
	v_fma_f32 v20, -v9, v19, v10
	v_fmac_f32_e32 v19, v20, v18
	v_fma_f32 v9, -v9, v19, v10
	v_div_fmas_f32 v9, v9, v18, v19
	v_div_fixup_f32 v9, v9, v3, v4
	v_fmac_f32_e32 v3, v4, v9
	v_div_scale_f32 v4, s[8:9], v3, v3, 1.0
	v_div_scale_f32 v10, vcc, 1.0, v3, 1.0
	v_rcp_f32_e32 v18, v4
	v_fma_f32 v19, -v4, v18, 1.0
	v_fmac_f32_e32 v18, v19, v18
	v_mul_f32_e32 v19, v10, v18
	v_fma_f32 v20, -v4, v19, v10
	v_fmac_f32_e32 v19, v20, v18
	v_fma_f32 v4, -v4, v19, v10
	v_div_fmas_f32 v4, v4, v18, v19
	v_fma_f32 v10, v2, v9, v1
	v_fma_f32 v1, -v1, v9, v2
	v_div_fixup_f32 v2, v4, v3, 1.0
	v_mul_f32_e32 v9, v10, v2
	v_mul_f32_e32 v10, v1, v2
.LBB142_123:                            ;   in Loop: Header=BB142_117 Depth=1
	s_lshl_b32 s8, s15, 3
	s_lshl_b32 s15, s13, 3
	s_add_i32 s8, s8, s15
	v_mov_b32_e32 v1, s8
	ds_read_b128 v[1:4], v1
	ds_write_b64 v17, v[9:10]
	s_mov_b64 s[8:9], -1
	s_waitcnt lgkmcnt(1)
	v_mul_f32_e32 v17, v10, v2
	v_mul_f32_e32 v2, v9, v2
	v_fma_f32 v17, v9, v1, -v17
	v_fmac_f32_e32 v2, v10, v1
	v_cmp_ngt_f32_e64 s[20:21], |v3|, |v4|
	v_sub_f32_e32 v1, v11, v17
	v_sub_f32_e32 v2, v12, v2
	s_and_b64 vcc, exec, s[20:21]
                                        ; implicit-def: $vgpr12
	s_cbranch_vccz .LBB142_125
; %bb.124:                              ;   in Loop: Header=BB142_117 Depth=1
	v_div_scale_f32 v11, s[8:9], v4, v4, v3
	v_div_scale_f32 v12, vcc, v3, v4, v3
	v_rcp_f32_e32 v17, v11
	v_fma_f32 v18, -v11, v17, 1.0
	v_fmac_f32_e32 v17, v18, v17
	v_mul_f32_e32 v18, v12, v17
	v_fma_f32 v19, -v11, v18, v12
	v_fmac_f32_e32 v18, v19, v17
	v_fma_f32 v11, -v11, v18, v12
	v_div_fmas_f32 v11, v11, v17, v18
	v_div_fixup_f32 v11, v11, v4, v3
	v_fma_f32 v12, v3, v11, v4
	v_div_scale_f32 v17, s[8:9], v12, v12, 1.0
	v_div_scale_f32 v18, vcc, 1.0, v12, 1.0
	s_mov_b64 s[8:9], 0
	v_rcp_f32_e32 v19, v17
	v_fma_f32 v20, -v17, v19, 1.0
	v_fmac_f32_e32 v19, v20, v19
	v_mul_f32_e32 v20, v18, v19
	v_fma_f32 v21, -v17, v20, v18
	v_fmac_f32_e32 v20, v21, v19
	v_fma_f32 v17, -v17, v20, v18
	v_div_fmas_f32 v17, v17, v19, v20
	v_fma_f32 v18, v11, v1, v2
	v_fma_f32 v19, v11, v2, -v1
	v_div_fixup_f32 v12, v17, v12, 1.0
	v_mul_f32_e32 v11, v18, v12
	v_mul_f32_e32 v12, v19, v12
.LBB142_125:                            ;   in Loop: Header=BB142_117 Depth=1
	s_andn2_b64 vcc, exec, s[8:9]
	s_cbranch_vccnz .LBB142_127
; %bb.126:                              ;   in Loop: Header=BB142_117 Depth=1
	v_div_scale_f32 v11, s[8:9], v3, v3, v4
	v_div_scale_f32 v12, vcc, v4, v3, v4
	v_rcp_f32_e32 v17, v11
	v_fma_f32 v18, -v11, v17, 1.0
	v_fmac_f32_e32 v17, v18, v17
	v_mul_f32_e32 v18, v12, v17
	v_fma_f32 v19, -v11, v18, v12
	v_fmac_f32_e32 v18, v19, v17
	v_fma_f32 v11, -v11, v18, v12
	v_div_fmas_f32 v11, v11, v17, v18
	v_div_fixup_f32 v11, v11, v3, v4
	v_fmac_f32_e32 v3, v4, v11
	v_div_scale_f32 v4, s[8:9], v3, v3, 1.0
	v_div_scale_f32 v12, vcc, 1.0, v3, 1.0
	v_rcp_f32_e32 v17, v4
	v_fma_f32 v18, -v4, v17, 1.0
	v_fmac_f32_e32 v17, v18, v17
	v_mul_f32_e32 v18, v12, v17
	v_fma_f32 v19, -v4, v18, v12
	v_fmac_f32_e32 v18, v19, v17
	v_fma_f32 v4, -v4, v18, v12
	v_div_fmas_f32 v4, v4, v17, v18
	v_fma_f32 v12, v11, v2, v1
	v_fma_f32 v1, -v11, v1, v2
	v_div_fixup_f32 v2, v4, v3, 1.0
	v_mul_f32_e32 v11, v12, v2
	v_mul_f32_e32 v12, v1, v2
.LBB142_127:                            ;   in Loop: Header=BB142_117 Depth=1
	s_lshl_b32 s8, s18, 3
	s_add_i32 s9, s8, s15
	v_mov_b32_e32 v1, s9
	ds_read_b128 v[17:20], v1
	s_add_i32 s8, s8, s18
	v_mov_b32_e32 v1, s8
	ds_read_b64 v[1:2], v1
	s_mov_b64 s[8:9], -1
	s_waitcnt lgkmcnt(1)
	v_mul_f32_e32 v3, v10, v18
	v_mul_f32_e32 v4, v9, v18
	v_fma_f32 v3, v9, v17, -v3
	v_fmac_f32_e32 v4, v10, v17
	v_sub_f32_e32 v3, v7, v3
	v_sub_f32_e32 v4, v8, v4
	v_mul_f32_e32 v7, v12, v20
	v_mul_f32_e32 v8, v11, v20
	v_fma_f32 v7, v11, v19, -v7
	v_fmac_f32_e32 v8, v12, v19
	s_waitcnt lgkmcnt(0)
	v_cmp_ngt_f32_e64 s[18:19], |v1|, |v2|
	v_sub_f32_e32 v3, v3, v7
	v_sub_f32_e32 v4, v4, v8
	s_and_b64 vcc, exec, s[18:19]
	ds_write_b64 v16, v[11:12]
                                        ; implicit-def: $vgpr8
	s_cbranch_vccz .LBB142_129
; %bb.128:                              ;   in Loop: Header=BB142_117 Depth=1
	v_div_scale_f32 v7, s[8:9], v2, v2, v1
	v_div_scale_f32 v8, vcc, v1, v2, v1
	v_rcp_f32_e32 v16, v7
	v_fma_f32 v17, -v7, v16, 1.0
	v_fmac_f32_e32 v16, v17, v16
	v_mul_f32_e32 v17, v8, v16
	v_fma_f32 v18, -v7, v17, v8
	v_fmac_f32_e32 v17, v18, v16
	v_fma_f32 v7, -v7, v17, v8
	v_div_fmas_f32 v7, v7, v16, v17
	v_div_fixup_f32 v7, v7, v2, v1
	v_fma_f32 v8, v1, v7, v2
	v_div_scale_f32 v16, s[8:9], v8, v8, 1.0
	v_div_scale_f32 v17, vcc, 1.0, v8, 1.0
	s_mov_b64 s[8:9], 0
	v_rcp_f32_e32 v18, v16
	v_fma_f32 v19, -v16, v18, 1.0
	v_fmac_f32_e32 v18, v19, v18
	v_mul_f32_e32 v19, v17, v18
	v_fma_f32 v20, -v16, v19, v17
	v_fmac_f32_e32 v19, v20, v18
	v_fma_f32 v16, -v16, v19, v17
	v_div_fmas_f32 v16, v16, v18, v19
	v_fma_f32 v17, v7, v3, v4
	v_fma_f32 v18, v7, v4, -v3
	v_div_fixup_f32 v8, v16, v8, 1.0
	v_mul_f32_e32 v7, v17, v8
	v_mul_f32_e32 v8, v18, v8
.LBB142_129:                            ;   in Loop: Header=BB142_117 Depth=1
	s_andn2_b64 vcc, exec, s[8:9]
	s_cbranch_vccnz .LBB142_131
; %bb.130:                              ;   in Loop: Header=BB142_117 Depth=1
	v_div_scale_f32 v7, s[8:9], v1, v1, v2
	v_div_scale_f32 v8, vcc, v2, v1, v2
	v_rcp_f32_e32 v16, v7
	v_fma_f32 v17, -v7, v16, 1.0
	v_fmac_f32_e32 v16, v17, v16
	v_mul_f32_e32 v17, v8, v16
	v_fma_f32 v18, -v7, v17, v8
	v_fmac_f32_e32 v17, v18, v16
	v_fma_f32 v7, -v7, v17, v8
	v_div_fmas_f32 v7, v7, v16, v17
	v_div_fixup_f32 v7, v7, v1, v2
	v_fmac_f32_e32 v1, v2, v7
	v_div_scale_f32 v2, s[8:9], v1, v1, 1.0
	v_div_scale_f32 v8, vcc, 1.0, v1, 1.0
	v_rcp_f32_e32 v16, v2
	v_fma_f32 v17, -v2, v16, 1.0
	v_fmac_f32_e32 v16, v17, v16
	v_mul_f32_e32 v17, v8, v16
	v_fma_f32 v18, -v2, v17, v8
	v_fmac_f32_e32 v17, v18, v16
	v_fma_f32 v2, -v2, v17, v8
	v_div_fmas_f32 v2, v2, v16, v17
	v_fma_f32 v8, v7, v4, v3
	v_fma_f32 v3, -v7, v3, v4
	v_div_fixup_f32 v1, v2, v1, 1.0
	v_mul_f32_e32 v7, v8, v1
	v_mul_f32_e32 v8, v3, v1
.LBB142_131:                            ;   in Loop: Header=BB142_117 Depth=1
	s_lshl_b32 s8, s14, 3
	s_add_i32 s8, s8, s15
	v_mov_b32_e32 v1, s8
	ds_read_b128 v[16:19], v1
	ds_read_b128 v[1:4], v1 offset:16
	ds_write_b64 v15, v[7:8]
	s_mov_b64 s[8:9], -1
	s_waitcnt lgkmcnt(2)
	v_mul_f32_e32 v15, v10, v17
	v_mul_f32_e32 v17, v9, v17
	v_fma_f32 v9, v9, v16, -v15
	v_sub_f32_e32 v5, v5, v9
	v_mul_f32_e32 v9, v12, v19
	v_fmac_f32_e32 v17, v10, v16
	v_fma_f32 v9, v11, v18, -v9
	v_mul_f32_e32 v10, v11, v19
	v_sub_f32_e32 v6, v6, v17
	v_fmac_f32_e32 v10, v12, v18
	v_sub_f32_e32 v5, v5, v9
	s_waitcnt lgkmcnt(1)
	v_mul_f32_e32 v9, v8, v2
	v_mul_f32_e32 v2, v7, v2
	v_sub_f32_e32 v6, v6, v10
	v_fma_f32 v9, v7, v1, -v9
	v_fmac_f32_e32 v2, v8, v1
	v_cmp_ngt_f32_e64 s[14:15], |v3|, |v4|
	v_sub_f32_e32 v5, v5, v9
	v_sub_f32_e32 v6, v6, v2
	s_and_b64 vcc, exec, s[14:15]
                                        ; implicit-def: $vgpr2
	s_cbranch_vccz .LBB142_133
; %bb.132:                              ;   in Loop: Header=BB142_117 Depth=1
	v_div_scale_f32 v1, s[8:9], v4, v4, v3
	v_div_scale_f32 v2, vcc, v3, v4, v3
	v_rcp_f32_e32 v7, v1
	v_fma_f32 v8, -v1, v7, 1.0
	v_fmac_f32_e32 v7, v8, v7
	v_mul_f32_e32 v8, v2, v7
	v_fma_f32 v9, -v1, v8, v2
	v_fmac_f32_e32 v8, v9, v7
	v_fma_f32 v1, -v1, v8, v2
	v_div_fmas_f32 v1, v1, v7, v8
	v_div_fixup_f32 v1, v1, v4, v3
	v_fma_f32 v2, v3, v1, v4
	v_div_scale_f32 v7, s[8:9], v2, v2, 1.0
	v_div_scale_f32 v8, vcc, 1.0, v2, 1.0
	s_mov_b64 s[8:9], 0
	v_rcp_f32_e32 v9, v7
	v_fma_f32 v10, -v7, v9, 1.0
	v_fmac_f32_e32 v9, v10, v9
	v_mul_f32_e32 v10, v8, v9
	v_fma_f32 v11, -v7, v10, v8
	v_fmac_f32_e32 v10, v11, v9
	v_fma_f32 v7, -v7, v10, v8
	v_div_fmas_f32 v7, v7, v9, v10
	v_fma_f32 v8, v1, v5, v6
	v_fma_f32 v9, v1, v6, -v5
	v_div_fixup_f32 v2, v7, v2, 1.0
	v_mul_f32_e32 v1, v8, v2
	v_mul_f32_e32 v2, v9, v2
.LBB142_133:                            ;   in Loop: Header=BB142_117 Depth=1
	s_andn2_b64 vcc, exec, s[8:9]
	s_cbranch_vccnz .LBB142_135
; %bb.134:                              ;   in Loop: Header=BB142_117 Depth=1
	v_div_scale_f32 v1, s[8:9], v3, v3, v4
	v_div_scale_f32 v2, vcc, v4, v3, v4
	v_rcp_f32_e32 v7, v1
	v_fma_f32 v8, -v1, v7, 1.0
	v_fmac_f32_e32 v7, v8, v7
	v_mul_f32_e32 v8, v2, v7
	v_fma_f32 v9, -v1, v8, v2
	v_fmac_f32_e32 v8, v9, v7
	v_fma_f32 v1, -v1, v8, v2
	v_div_fmas_f32 v1, v1, v7, v8
	v_div_fixup_f32 v1, v1, v3, v4
	v_fmac_f32_e32 v3, v4, v1
	v_div_scale_f32 v2, s[8:9], v3, v3, 1.0
	v_div_scale_f32 v4, vcc, 1.0, v3, 1.0
	v_rcp_f32_e32 v7, v2
	v_fma_f32 v8, -v2, v7, 1.0
	v_fmac_f32_e32 v7, v8, v7
	v_mul_f32_e32 v8, v4, v7
	v_fma_f32 v9, -v2, v8, v4
	v_fmac_f32_e32 v8, v9, v7
	v_fma_f32 v2, -v2, v8, v4
	v_div_fmas_f32 v2, v2, v7, v8
	v_fma_f32 v4, v1, v6, v5
	v_fma_f32 v5, -v1, v5, v6
	v_div_fixup_f32 v2, v2, v3, 1.0
	v_mul_f32_e32 v1, v4, v2
	v_mul_f32_e32 v2, v5, v2
.LBB142_135:                            ;   in Loop: Header=BB142_117 Depth=1
	s_add_i32 s14, s13, 4
	s_add_i32 s8, s13, 7
	s_addk_i32 s11, 0x100
	s_cmp_ge_i32 s8, s24
	ds_write_b64 v14, v[1:2]
	s_cbranch_scc1 .LBB142_137
; %bb.136:                              ;   in Loop: Header=BB142_117 Depth=1
	s_mov_b32 s13, s14
	s_branch .LBB142_117
.LBB142_137:
	s_cmp_ge_i32 s14, s24
	s_cbranch_scc1 .LBB142_146
; %bb.138:
	v_mov_b32_e32 v1, 0x200
	v_lshl_or_b32 v7, v0, 3, v1
	s_lshl_b32 s11, s14, 6
	s_branch .LBB142_140
.LBB142_139:                            ;   in Loop: Header=BB142_140 Depth=1
	s_add_i32 s14, s14, 1
	s_add_i32 s11, s11, 64
	s_cmp_ge_i32 s14, s24
	ds_write_b64 v8, v[5:6]
	s_cbranch_scc1 .LBB142_146
.LBB142_140:                            ; =>This Loop Header: Depth=1
                                        ;     Child Loop BB142_141 Depth 2
	v_lshl_add_u32 v8, s14, 6, v13
	ds_read_b64 v[1:2], v8
	s_cmp_eq_u32 s14, 0
	s_mov_b32 s8, s11
	v_mov_b32_e32 v3, v7
	s_mov_b32 s9, s14
	s_cbranch_scc1 .LBB142_142
.LBB142_141:                            ;   Parent Loop BB142_140 Depth=1
                                        ; =>  This Inner Loop Header: Depth=2
	v_mov_b32_e32 v6, s8
	ds_read_b64 v[4:5], v3
	ds_read_b64 v[9:10], v6
	s_add_i32 s9, s9, -1
	s_add_i32 s8, s8, 8
	v_add_u32_e32 v3, 64, v3
	s_cmp_eq_u32 s9, 0
	s_waitcnt lgkmcnt(0)
	v_mul_f32_e32 v6, v10, v5
	v_mul_f32_e32 v5, v9, v5
	v_fma_f32 v6, v9, v4, -v6
	v_fmac_f32_e32 v5, v10, v4
	v_sub_f32_e32 v1, v1, v6
	v_sub_f32_e32 v2, v2, v5
	s_cbranch_scc0 .LBB142_141
.LBB142_142:                            ;   in Loop: Header=BB142_140 Depth=1
	s_mul_i32 s8, s14, 0x48
	v_mov_b32_e32 v3, s8
	ds_read_b64 v[3:4], v3
	s_mov_b64 s[8:9], -1
                                        ; implicit-def: $vgpr5
	s_waitcnt lgkmcnt(0)
	v_cmp_ngt_f32_e64 s[18:19], |v3|, |v4|
	s_and_b64 vcc, exec, s[18:19]
	s_cbranch_vccz .LBB142_144
; %bb.143:                              ;   in Loop: Header=BB142_140 Depth=1
	v_div_scale_f32 v5, s[8:9], v4, v4, v3
	v_div_scale_f32 v6, vcc, v3, v4, v3
	v_rcp_f32_e32 v9, v5
	v_fma_f32 v10, -v5, v9, 1.0
	v_fmac_f32_e32 v9, v10, v9
	v_mul_f32_e32 v10, v6, v9
	v_fma_f32 v11, -v5, v10, v6
	v_fmac_f32_e32 v10, v11, v9
	v_fma_f32 v5, -v5, v10, v6
	v_div_fmas_f32 v5, v5, v9, v10
	v_div_fixup_f32 v5, v5, v4, v3
	v_fma_f32 v6, v3, v5, v4
	v_div_scale_f32 v9, s[8:9], v6, v6, 1.0
	v_div_scale_f32 v10, vcc, 1.0, v6, 1.0
	s_mov_b64 s[8:9], 0
	v_rcp_f32_e32 v11, v9
	v_fma_f32 v12, -v9, v11, 1.0
	v_fmac_f32_e32 v11, v12, v11
	v_mul_f32_e32 v12, v10, v11
	v_fma_f32 v14, -v9, v12, v10
	v_fmac_f32_e32 v12, v14, v11
	v_fma_f32 v9, -v9, v12, v10
	v_div_fmas_f32 v9, v9, v11, v12
	v_fma_f32 v10, v1, v5, v2
	v_fma_f32 v11, v2, v5, -v1
	v_div_fixup_f32 v6, v9, v6, 1.0
	v_mul_f32_e32 v5, v10, v6
	v_mul_f32_e32 v6, v11, v6
.LBB142_144:                            ;   in Loop: Header=BB142_140 Depth=1
	s_andn2_b64 vcc, exec, s[8:9]
	s_cbranch_vccnz .LBB142_139
; %bb.145:                              ;   in Loop: Header=BB142_140 Depth=1
	v_div_scale_f32 v5, s[8:9], v3, v3, v4
	v_div_scale_f32 v6, vcc, v4, v3, v4
	v_rcp_f32_e32 v9, v5
	v_fma_f32 v10, -v5, v9, 1.0
	v_fmac_f32_e32 v9, v10, v9
	v_mul_f32_e32 v10, v6, v9
	v_fma_f32 v11, -v5, v10, v6
	v_fmac_f32_e32 v10, v11, v9
	v_fma_f32 v5, -v5, v10, v6
	v_div_fmas_f32 v5, v5, v9, v10
	v_div_fixup_f32 v5, v5, v3, v4
	v_fmac_f32_e32 v3, v4, v5
	v_div_scale_f32 v4, s[8:9], v3, v3, 1.0
	v_div_scale_f32 v6, vcc, 1.0, v3, 1.0
	v_rcp_f32_e32 v9, v4
	v_fma_f32 v10, -v4, v9, 1.0
	v_fmac_f32_e32 v9, v10, v9
	v_mul_f32_e32 v10, v6, v9
	v_fma_f32 v11, -v4, v10, v6
	v_fmac_f32_e32 v10, v11, v9
	v_fma_f32 v4, -v4, v10, v6
	v_div_fmas_f32 v4, v4, v9, v10
	v_fma_f32 v6, v2, v5, v1
	v_fma_f32 v1, -v1, v5, v2
	v_div_fixup_f32 v2, v4, v3, 1.0
	v_mul_f32_e32 v5, v6, v2
	v_mul_f32_e32 v6, v1, v2
	s_branch .LBB142_139
.LBB142_146:
	s_and_saveexec_b64 s[8:9], s[0:1]
	s_cbranch_execz .LBB142_150
; %bb.147:
	s_cmp_lt_i32 s12, 1
	s_cbranch_scc1 .LBB142_150
; %bb.148:
	s_lshl_b64 s[0:1], s[4:5], 3
	s_add_u32 s2, s2, s0
	s_addc_u32 s3, s3, s1
	s_lshl_b64 s[0:1], s[16:17], 3
	s_add_u32 s0, s2, s0
	s_addc_u32 s1, s3, s1
	s_add_u32 s0, s0, s6
	s_addc_u32 s1, s1, s7
	s_ashr_i32 s11, s10, 31
	v_lshlrev_b32_e32 v2, 3, v0
	v_mov_b32_e32 v1, s1
	v_add_co_u32_e32 v0, vcc, s0, v2
	s_lshl_b64 s[0:1], s[10:11], 3
	v_addc_co_u32_e32 v1, vcc, 0, v1, vcc
	v_or_b32_e32 v2, 0x200, v2
	v_mov_b32_e32 v3, s1
.LBB142_149:                            ; =>This Inner Loop Header: Depth=1
	ds_read_b64 v[4:5], v2
	s_add_i32 s12, s12, -1
	v_add_u32_e32 v2, 64, v2
	s_cmp_lg_u32 s12, 0
	s_waitcnt lgkmcnt(0)
	global_store_dwordx2 v[0:1], v[4:5], off
	v_add_co_u32_e32 v0, vcc, s0, v0
	v_addc_co_u32_e32 v1, vcc, v1, v3, vcc
	s_cbranch_scc1 .LBB142_149
.LBB142_150:
	s_endpgm
	.section	.rodata,"a",@progbits
	.p2align	6, 0x0
	.amdhsa_kernel _ZL31rocblas_trsm_small_right_deviceI19rocblas_complex_numIfES1_PKS1_PS1_Li8EEv13rocblas_fill_18rocblas_operation_17rocblas_diagonal_iiT0_T1_lilT2_lili
		.amdhsa_group_segment_fixed_size 1024
		.amdhsa_private_segment_fixed_size 0
		.amdhsa_kernarg_size 360
		.amdhsa_user_sgpr_count 6
		.amdhsa_user_sgpr_private_segment_buffer 1
		.amdhsa_user_sgpr_dispatch_ptr 0
		.amdhsa_user_sgpr_queue_ptr 0
		.amdhsa_user_sgpr_kernarg_segment_ptr 1
		.amdhsa_user_sgpr_dispatch_id 0
		.amdhsa_user_sgpr_flat_scratch_init 0
		.amdhsa_user_sgpr_private_segment_size 0
		.amdhsa_uses_dynamic_stack 0
		.amdhsa_system_sgpr_private_segment_wavefront_offset 0
		.amdhsa_system_sgpr_workgroup_id_x 1
		.amdhsa_system_sgpr_workgroup_id_y 0
		.amdhsa_system_sgpr_workgroup_id_z 1
		.amdhsa_system_sgpr_workgroup_info 0
		.amdhsa_system_vgpr_workitem_id 0
		.amdhsa_next_free_vgpr 27
		.amdhsa_next_free_sgpr 32
		.amdhsa_reserve_vcc 1
		.amdhsa_reserve_flat_scratch 0
		.amdhsa_float_round_mode_32 0
		.amdhsa_float_round_mode_16_64 0
		.amdhsa_float_denorm_mode_32 3
		.amdhsa_float_denorm_mode_16_64 3
		.amdhsa_dx10_clamp 1
		.amdhsa_ieee_mode 1
		.amdhsa_fp16_overflow 0
		.amdhsa_exception_fp_ieee_invalid_op 0
		.amdhsa_exception_fp_denorm_src 0
		.amdhsa_exception_fp_ieee_div_zero 0
		.amdhsa_exception_fp_ieee_overflow 0
		.amdhsa_exception_fp_ieee_underflow 0
		.amdhsa_exception_fp_ieee_inexact 0
		.amdhsa_exception_int_div_zero 0
	.end_amdhsa_kernel
	.section	.text._ZL31rocblas_trsm_small_right_deviceI19rocblas_complex_numIfES1_PKS1_PS1_Li8EEv13rocblas_fill_18rocblas_operation_17rocblas_diagonal_iiT0_T1_lilT2_lili,"axG",@progbits,_ZL31rocblas_trsm_small_right_deviceI19rocblas_complex_numIfES1_PKS1_PS1_Li8EEv13rocblas_fill_18rocblas_operation_17rocblas_diagonal_iiT0_T1_lilT2_lili,comdat
.Lfunc_end142:
	.size	_ZL31rocblas_trsm_small_right_deviceI19rocblas_complex_numIfES1_PKS1_PS1_Li8EEv13rocblas_fill_18rocblas_operation_17rocblas_diagonal_iiT0_T1_lilT2_lili, .Lfunc_end142-_ZL31rocblas_trsm_small_right_deviceI19rocblas_complex_numIfES1_PKS1_PS1_Li8EEv13rocblas_fill_18rocblas_operation_17rocblas_diagonal_iiT0_T1_lilT2_lili
                                        ; -- End function
	.set _ZL31rocblas_trsm_small_right_deviceI19rocblas_complex_numIfES1_PKS1_PS1_Li8EEv13rocblas_fill_18rocblas_operation_17rocblas_diagonal_iiT0_T1_lilT2_lili.num_vgpr, 27
	.set _ZL31rocblas_trsm_small_right_deviceI19rocblas_complex_numIfES1_PKS1_PS1_Li8EEv13rocblas_fill_18rocblas_operation_17rocblas_diagonal_iiT0_T1_lilT2_lili.num_agpr, 0
	.set _ZL31rocblas_trsm_small_right_deviceI19rocblas_complex_numIfES1_PKS1_PS1_Li8EEv13rocblas_fill_18rocblas_operation_17rocblas_diagonal_iiT0_T1_lilT2_lili.numbered_sgpr, 32
	.set _ZL31rocblas_trsm_small_right_deviceI19rocblas_complex_numIfES1_PKS1_PS1_Li8EEv13rocblas_fill_18rocblas_operation_17rocblas_diagonal_iiT0_T1_lilT2_lili.num_named_barrier, 0
	.set _ZL31rocblas_trsm_small_right_deviceI19rocblas_complex_numIfES1_PKS1_PS1_Li8EEv13rocblas_fill_18rocblas_operation_17rocblas_diagonal_iiT0_T1_lilT2_lili.private_seg_size, 0
	.set _ZL31rocblas_trsm_small_right_deviceI19rocblas_complex_numIfES1_PKS1_PS1_Li8EEv13rocblas_fill_18rocblas_operation_17rocblas_diagonal_iiT0_T1_lilT2_lili.uses_vcc, 1
	.set _ZL31rocblas_trsm_small_right_deviceI19rocblas_complex_numIfES1_PKS1_PS1_Li8EEv13rocblas_fill_18rocblas_operation_17rocblas_diagonal_iiT0_T1_lilT2_lili.uses_flat_scratch, 0
	.set _ZL31rocblas_trsm_small_right_deviceI19rocblas_complex_numIfES1_PKS1_PS1_Li8EEv13rocblas_fill_18rocblas_operation_17rocblas_diagonal_iiT0_T1_lilT2_lili.has_dyn_sized_stack, 0
	.set _ZL31rocblas_trsm_small_right_deviceI19rocblas_complex_numIfES1_PKS1_PS1_Li8EEv13rocblas_fill_18rocblas_operation_17rocblas_diagonal_iiT0_T1_lilT2_lili.has_recursion, 0
	.set _ZL31rocblas_trsm_small_right_deviceI19rocblas_complex_numIfES1_PKS1_PS1_Li8EEv13rocblas_fill_18rocblas_operation_17rocblas_diagonal_iiT0_T1_lilT2_lili.has_indirect_call, 0
	.section	.AMDGPU.csdata,"",@progbits
; Kernel info:
; codeLenInByte = 12068
; TotalNumSgprs: 36
; NumVgprs: 27
; ScratchSize: 0
; MemoryBound: 0
; FloatMode: 240
; IeeeMode: 1
; LDSByteSize: 1024 bytes/workgroup (compile time only)
; SGPRBlocks: 4
; VGPRBlocks: 6
; NumSGPRsForWavesPerEU: 36
; NumVGPRsForWavesPerEU: 27
; Occupancy: 9
; WaveLimiterHint : 0
; COMPUTE_PGM_RSRC2:SCRATCH_EN: 0
; COMPUTE_PGM_RSRC2:USER_SGPR: 6
; COMPUTE_PGM_RSRC2:TRAP_HANDLER: 0
; COMPUTE_PGM_RSRC2:TGID_X_EN: 1
; COMPUTE_PGM_RSRC2:TGID_Y_EN: 0
; COMPUTE_PGM_RSRC2:TGID_Z_EN: 1
; COMPUTE_PGM_RSRC2:TIDIG_COMP_CNT: 0
	.section	.text._ZL38rocblas_trsm_small_left_device_sharedBILi12ELi12ELb0E19rocblas_complex_numIfES1_PKS1_PS1_Ev13rocblas_fill_18rocblas_operation_17rocblas_diagonal_iiT3_T4_lilT5_lili,"axG",@progbits,_ZL38rocblas_trsm_small_left_device_sharedBILi12ELi12ELb0E19rocblas_complex_numIfES1_PKS1_PS1_Ev13rocblas_fill_18rocblas_operation_17rocblas_diagonal_iiT3_T4_lilT5_lili,comdat
	.globl	_ZL38rocblas_trsm_small_left_device_sharedBILi12ELi12ELb0E19rocblas_complex_numIfES1_PKS1_PS1_Ev13rocblas_fill_18rocblas_operation_17rocblas_diagonal_iiT3_T4_lilT5_lili ; -- Begin function _ZL38rocblas_trsm_small_left_device_sharedBILi12ELi12ELb0E19rocblas_complex_numIfES1_PKS1_PS1_Ev13rocblas_fill_18rocblas_operation_17rocblas_diagonal_iiT3_T4_lilT5_lili
	.p2align	8
	.type	_ZL38rocblas_trsm_small_left_device_sharedBILi12ELi12ELb0E19rocblas_complex_numIfES1_PKS1_PS1_Ev13rocblas_fill_18rocblas_operation_17rocblas_diagonal_iiT3_T4_lilT5_lili,@function
_ZL38rocblas_trsm_small_left_device_sharedBILi12ELi12ELb0E19rocblas_complex_numIfES1_PKS1_PS1_Ev13rocblas_fill_18rocblas_operation_17rocblas_diagonal_iiT3_T4_lilT5_lili: ; @_ZL38rocblas_trsm_small_left_device_sharedBILi12ELi12ELb0E19rocblas_complex_numIfES1_PKS1_PS1_Ev13rocblas_fill_18rocblas_operation_17rocblas_diagonal_iiT3_T4_lilT5_lili
; %bb.0:
	s_add_u32 s0, s0, s8
	s_load_dwordx4 s[12:15], s[4:5], 0x4
	s_load_dwordx2 s[18:19], s[4:5], 0x14
	s_load_dwordx4 s[8:11], s[4:5], 0x38
	s_load_dwordx2 s[16:17], s[4:5], 0x48
	s_load_dword s27, s[4:5], 0x68
	s_addc_u32 s1, s1, 0
	s_waitcnt lgkmcnt(0)
	s_min_i32 s26, s14, 12
	v_cmp_gt_i32_e32 vcc, s26, v0
	s_and_saveexec_b64 s[20:21], vcc
	s_cbranch_execz .LBB143_15
; %bb.1:
	s_load_dword s24, s[4:5], 0x30
	s_load_dwordx4 s[28:31], s[4:5], 0x20
	s_mul_i32 s9, s9, s7
	s_mul_hi_u32 s33, s8, s7
	s_mul_i32 s8, s8, s7
	s_waitcnt lgkmcnt(0)
	s_ashr_i32 s25, s24, 31
	s_cmpk_lg_i32 s12, 0x71
	s_cselect_b64 s[22:23], -1, 0
	s_add_i32 s9, s33, s9
	s_lshl_b64 s[8:9], s[8:9], 3
	s_lshl_b64 s[30:31], s[30:31], 3
	s_add_u32 s8, s8, s30
	s_addc_u32 s9, s9, s31
	s_add_u32 s8, s28, s8
	v_lshlrev_b32_e32 v5, 3, v0
	s_addc_u32 s9, s29, s9
	v_mov_b32_e32 v1, s9
	v_add_co_u32_e32 v2, vcc, s8, v5
	v_addc_co_u32_e32 v3, vcc, 0, v1, vcc
	v_add_co_u32_e32 v1, vcc, 4, v2
	s_lshl_b64 s[8:9], s[24:25], 3
	v_addc_co_u32_e32 v2, vcc, 0, v3, vcc
	v_mov_b32_e32 v6, s9
	v_mov_b32_e32 v7, v5
	s_mov_b32 s9, s26
	s_branch .LBB143_3
.LBB143_2:                              ;   in Loop: Header=BB143_3 Depth=1
	global_load_dword v3, v[1:2], off offset:-4
	s_add_i32 s9, s9, -1
	v_add_co_u32_e32 v1, vcc, s8, v1
	v_addc_co_u32_e32 v2, vcc, v2, v6, vcc
	s_cmp_eq_u32 s9, 0
	s_waitcnt vmcnt(0)
	ds_write_b64 v7, v[3:4]
	v_add_u32_e32 v7, 0x60, v7
	s_cbranch_scc1 .LBB143_7
.LBB143_3:                              ; =>This Inner Loop Header: Depth=1
	s_mov_b64 s[24:25], -1
	s_and_b64 vcc, exec, s[22:23]
                                        ; implicit-def: $vgpr4
	s_cbranch_vccz .LBB143_5
; %bb.4:                                ;   in Loop: Header=BB143_3 Depth=1
	global_load_dword v4, v[1:2], off
	s_mov_b64 s[24:25], 0
.LBB143_5:                              ;   in Loop: Header=BB143_3 Depth=1
	s_andn2_b64 vcc, exec, s[24:25]
	s_cbranch_vccnz .LBB143_2
; %bb.6:                                ;   in Loop: Header=BB143_3 Depth=1
	global_load_dword v3, v[1:2], off
	s_waitcnt vmcnt(0)
	v_xor_b32_e32 v4, 0x80000000, v3
	s_branch .LBB143_2
.LBB143_7:
	v_mul_u32_u24_e32 v1, 0x60, v0
	s_cmpk_lg_i32 s13, 0x84
	s_mov_b64 s[8:9], -1
	v_add_u32_e32 v5, v5, v1
	s_cbranch_scc0 .LBB143_13
; %bb.8:
	ds_read_b64 v[1:2], v5
                                        ; implicit-def: $vgpr3
	s_waitcnt lgkmcnt(0)
	v_cmp_ngt_f32_e64 s[8:9], |v1|, |v2|
	s_and_saveexec_b64 s[22:23], s[8:9]
	s_xor_b64 s[8:9], exec, s[22:23]
	s_cbranch_execz .LBB143_10
; %bb.9:
	v_div_scale_f32 v3, s[22:23], v2, v2, v1
	v_div_scale_f32 v4, vcc, v1, v2, v1
	v_rcp_f32_e32 v6, v3
	v_fma_f32 v7, -v3, v6, 1.0
	v_fmac_f32_e32 v6, v7, v6
	v_mul_f32_e32 v7, v4, v6
	v_fma_f32 v8, -v3, v7, v4
	v_fmac_f32_e32 v7, v8, v6
	v_fma_f32 v3, -v3, v7, v4
	v_div_fmas_f32 v3, v3, v6, v7
	v_div_fixup_f32 v3, v3, v2, v1
	v_fmac_f32_e32 v2, v1, v3
	v_div_scale_f32 v1, s[22:23], v2, v2, 1.0
	v_div_scale_f32 v4, vcc, 1.0, v2, 1.0
	v_rcp_f32_e32 v6, v1
	v_fma_f32 v7, -v1, v6, 1.0
	v_fmac_f32_e32 v6, v7, v6
	v_mul_f32_e32 v7, v4, v6
	v_fma_f32 v8, -v1, v7, v4
	v_fmac_f32_e32 v7, v8, v6
	v_fma_f32 v1, -v1, v7, v4
	v_div_fmas_f32 v1, v1, v6, v7
	v_add_f32_e32 v4, 0, v3
	v_fma_f32 v6, v3, 0, -1.0
	v_div_fixup_f32 v1, v1, v2, 1.0
	v_mul_f32_e32 v3, v4, v1
	v_mul_f32_e32 v4, v6, v1
                                        ; implicit-def: $vgpr1_vgpr2
.LBB143_10:
	s_andn2_saveexec_b64 s[8:9], s[8:9]
	s_cbranch_execz .LBB143_12
; %bb.11:
	v_div_scale_f32 v3, s[22:23], v1, v1, v2
	v_div_scale_f32 v4, vcc, v2, v1, v2
	v_rcp_f32_e32 v6, v3
	v_fma_f32 v7, -v3, v6, 1.0
	v_fmac_f32_e32 v6, v7, v6
	v_mul_f32_e32 v7, v4, v6
	v_fma_f32 v8, -v3, v7, v4
	v_fmac_f32_e32 v7, v8, v6
	v_fma_f32 v3, -v3, v7, v4
	v_div_fmas_f32 v3, v3, v6, v7
	v_div_fixup_f32 v4, v3, v1, v2
	v_fmac_f32_e32 v1, v2, v4
	v_div_scale_f32 v2, s[22:23], v1, v1, 1.0
	v_div_scale_f32 v3, vcc, 1.0, v1, 1.0
	v_rcp_f32_e32 v6, v2
	v_fma_f32 v7, -v2, v6, 1.0
	v_fmac_f32_e32 v6, v7, v6
	v_mul_f32_e32 v7, v3, v6
	v_fma_f32 v8, -v2, v7, v3
	v_fmac_f32_e32 v7, v8, v6
	v_fma_f32 v2, -v2, v7, v3
	v_div_fmas_f32 v2, v2, v6, v7
	v_fma_f32 v3, v4, 0, 1.0
	v_div_fixup_f32 v1, v2, v1, 1.0
	v_mul_f32_e32 v3, v3, v1
	v_mul_f32_e64 v4, -v4, v1
.LBB143_12:
	s_or_b64 exec, exec, s[8:9]
	s_mov_b64 s[8:9], 0
	ds_write_b64 v5, v[3:4]
.LBB143_13:
	s_and_b64 vcc, exec, s[8:9]
	s_cbranch_vccz .LBB143_15
; %bb.14:
	v_mov_b32_e32 v1, 1.0
	v_mov_b32_e32 v2, 0
	ds_write_b64 v5, v[1:2]
.LBB143_15:
	s_or_b64 exec, exec, s[20:21]
	s_load_dword s22, s[4:5], 0x50
	s_load_dwordx2 s[8:9], s[4:5], 0x58
	s_add_i32 s27, s27, -1
	s_waitcnt lgkmcnt(0)
	s_ashr_i32 s13, s22, 31
	s_mul_i32 s4, s9, s7
	s_mul_hi_u32 s5, s8, s7
	s_add_i32 s9, s5, s4
	s_mul_i32 s4, s6, -12
	s_add_i32 s4, s15, s4
	s_cmp_ge_u32 s6, s27
	s_mul_i32 s6, s6, 12
	s_mul_i32 s8, s8, s7
	s_cselect_b32 s4, s4, 12
	s_ashr_i32 s7, s6, 31
	s_cmp_gt_i32 s14, 0
	v_cmp_gt_i32_e64 s[4:5], s4, v0
	s_cselect_b64 s[14:15], -1, 0
	s_and_b64 s[24:25], s[4:5], s[14:15]
	s_and_saveexec_b64 s[20:21], s[24:25]
	s_cbranch_execz .LBB143_18
; %bb.16:
	v_lshlrev_b32_e32 v3, 3, v0
	s_lshl_b64 s[28:29], s[6:7], 3
	s_lshl_b64 s[24:25], s[8:9], 3
	v_mov_b32_e32 v1, s29
	v_add_co_u32_e32 v4, vcc, s28, v3
	s_lshl_b64 s[28:29], s[16:17], 3
	s_add_u32 s7, s10, s28
	s_addc_u32 s23, s11, s29
	s_add_u32 s24, s7, s24
	v_addc_co_u32_e32 v5, vcc, 0, v1, vcc
	s_addc_u32 s25, s23, s25
	v_mov_b32_e32 v1, s24
	v_mov_b32_e32 v2, s25
	v_mad_u64_u32 v[1:2], s[24:25], v4, s22, v[1:2]
	v_mul_lo_u32 v4, v4, s13
	v_mul_lo_u32 v5, v5, s22
	v_add_co_u32_e32 v1, vcc, 4, v1
	v_or_b32_e32 v3, 0x480, v3
	v_add3_u32 v2, v5, v2, v4
	v_addc_co_u32_e32 v2, vcc, 0, v2, vcc
	s_mov_b32 s7, s26
.LBB143_17:                             ; =>This Inner Loop Header: Depth=1
	global_load_dwordx2 v[4:5], v[1:2], off offset:-4
	s_add_i32 s7, s7, -1
	v_add_co_u32_e32 v1, vcc, 8, v1
	v_addc_co_u32_e32 v2, vcc, 0, v2, vcc
	s_cmp_lg_u32 s7, 0
	s_waitcnt vmcnt(0)
	v_mul_f32_e32 v7, s19, v5
	v_mul_f32_e32 v6, s18, v5
	v_fma_f32 v5, s18, v4, -v7
	v_fmac_f32_e32 v6, s19, v4
	ds_write_b64 v3, v[5:6]
	v_add_u32_e32 v3, 0x60, v3
	s_cbranch_scc1 .LBB143_17
.LBB143_18:
	s_or_b64 exec, exec, s[20:21]
	v_mov_b32_e32 v1, 0x480
	s_cmpk_eq_i32 s12, 0x6f
	v_lshl_or_b32 v3, v0, 3, v1
	s_mov_b64 s[12:13], -1
	s_waitcnt lgkmcnt(0)
	; wave barrier
	s_cbranch_scc1 .LBB143_40
; %bb.19:
	s_mov_b32 s13, 0
	s_mov_b32 s12, s13
	;; [unrolled: 1-line block ×3, first 2 shown]
	s_branch .LBB143_21
.LBB143_20:                             ;   in Loop: Header=BB143_21 Depth=1
	s_cmp_ge_i32 s7, s26
	s_cselect_b64 s[18:19], -1, 0
	s_add_i32 s12, s12, 1
	s_cmp_eq_u32 s12, 3
	s_cselect_b64 s[20:21], -1, 0
	s_or_b64 s[18:19], s[18:19], s[20:21]
	s_andn2_b64 vcc, exec, s[18:19]
	s_cbranch_vccz .LBB143_39
.LBB143_21:                             ; =>This Loop Header: Depth=1
                                        ;     Child Loop BB143_24 Depth 2
                                        ;       Child Loop BB143_25 Depth 3
                                        ;       Child Loop BB143_28 Depth 3
                                        ;         Child Loop BB143_29 Depth 4
                                        ;       Child Loop BB143_33 Depth 3
                                        ;         Child Loop BB143_35 Depth 4
	s_lshl_b64 s[18:19], s[12:13], 2
	s_getpc_b64 s[20:21]
	s_add_u32 s20, s20, __const._ZL38rocblas_trsm_small_left_device_sharedBILi12ELi12ELb0E19rocblas_complex_numIfES1_PKS1_PS1_Ev13rocblas_fill_18rocblas_operation_17rocblas_diagonal_iiT3_T4_lilT5_lili.step_sizes@rel32@lo+4
	s_addc_u32 s21, s21, __const._ZL38rocblas_trsm_small_left_device_sharedBILi12ELi12ELb0E19rocblas_complex_numIfES1_PKS1_PS1_Ev13rocblas_fill_18rocblas_operation_17rocblas_diagonal_iiT3_T4_lilT5_lili.step_sizes@rel32@hi+12
	s_add_u32 s18, s20, s18
	s_addc_u32 s19, s21, s19
	s_load_dword s20, s[18:19], 0x0
	s_waitcnt lgkmcnt(0)
	s_add_i32 s21, s20, -1
	s_add_i32 s18, s21, s7
	s_cmp_ge_i32 s18, s26
	s_cbranch_scc1 .LBB143_20
; %bb.22:                               ;   in Loop: Header=BB143_21 Depth=1
	s_mul_i32 s24, s7, 0x60
	s_max_i32 s23, s20, 1
	v_add_u32_e32 v4, s24, v3
	s_mul_i32 s25, s20, 0x60
	s_mul_i32 s27, s7, 0x68
	;; [unrolled: 1-line block ×3, first 2 shown]
	s_branch .LBB143_24
.LBB143_23:                             ;   in Loop: Header=BB143_24 Depth=2
	s_add_i32 s7, s7, s20
	s_add_i32 s18, s21, s7
	;; [unrolled: 1-line block ×4, first 2 shown]
	s_cmp_ge_i32 s18, s26
	v_add_u32_e32 v4, s25, v4
	s_cbranch_scc1 .LBB143_20
.LBB143_24:                             ;   Parent Loop BB143_21 Depth=1
                                        ; =>  This Loop Header: Depth=2
                                        ;       Child Loop BB143_25 Depth 3
                                        ;       Child Loop BB143_28 Depth 3
                                        ;         Child Loop BB143_29 Depth 4
                                        ;       Child Loop BB143_33 Depth 3
                                        ;         Child Loop BB143_35 Depth 4
	s_mov_b32 s18, 0
	v_mov_b32_e32 v1, v4
	s_mov_b32 s19, s23
.LBB143_25:                             ;   Parent Loop BB143_21 Depth=1
                                        ;     Parent Loop BB143_24 Depth=2
                                        ; =>    This Inner Loop Header: Depth=3
	ds_read_b64 v[5:6], v1
	v_mov_b32_e32 v2, s18
	s_add_i32 s19, s19, -1
	s_add_i32 s18, s18, 8
	v_add_u32_e32 v1, 0x60, v1
	s_cmp_eq_u32 s19, 0
	s_waitcnt lgkmcnt(0)
	buffer_store_dword v6, v2, s[0:3], 0 offen offset:4
	buffer_store_dword v5, v2, s[0:3], 0 offen
	s_cbranch_scc0 .LBB143_25
; %bb.26:                               ;   in Loop: Header=BB143_24 Depth=2
	s_cmp_lt_i32 s7, 1
	s_cbranch_scc1 .LBB143_31
; %bb.27:                               ;   in Loop: Header=BB143_24 Depth=2
	s_mov_b32 s18, 0
	s_mov_b32 s19, s24
.LBB143_28:                             ;   Parent Loop BB143_21 Depth=1
                                        ;     Parent Loop BB143_24 Depth=2
                                        ; =>    This Loop Header: Depth=3
                                        ;         Child Loop BB143_29 Depth 4
	s_mul_i32 s29, s18, 0x60
	v_add_u32_e32 v1, s29, v3
	ds_read_b64 v[1:2], v1
	s_mov_b32 s29, 0
	s_mov_b32 s30, s19
	;; [unrolled: 1-line block ×3, first 2 shown]
.LBB143_29:                             ;   Parent Loop BB143_21 Depth=1
                                        ;     Parent Loop BB143_24 Depth=2
                                        ;       Parent Loop BB143_28 Depth=3
                                        ; =>      This Inner Loop Header: Depth=4
	v_mov_b32_e32 v7, s29
	buffer_load_dword v8, v7, s[0:3], 0 offen
	buffer_load_dword v9, v7, s[0:3], 0 offen offset:4
	v_mov_b32_e32 v5, s30
	ds_read_b64 v[5:6], v5
	s_add_i32 s31, s31, -1
	s_addk_i32 s30, 0x60
	s_add_i32 s29, s29, 8
	s_cmp_eq_u32 s31, 0
	s_waitcnt lgkmcnt(0)
	v_mul_f32_e32 v10, v6, v2
	v_mul_f32_e32 v6, v6, v1
	v_fma_f32 v10, v5, v1, -v10
	v_fmac_f32_e32 v6, v5, v2
	s_waitcnt vmcnt(1)
	v_sub_f32_e32 v5, v8, v10
	s_waitcnt vmcnt(0)
	v_sub_f32_e32 v6, v9, v6
	buffer_store_dword v5, v7, s[0:3], 0 offen
	buffer_store_dword v6, v7, s[0:3], 0 offen offset:4
	s_cbranch_scc0 .LBB143_29
; %bb.30:                               ;   in Loop: Header=BB143_28 Depth=3
	s_add_i32 s18, s18, 1
	s_add_i32 s19, s19, 8
	s_cmp_eq_u32 s18, s7
	s_cbranch_scc0 .LBB143_28
.LBB143_31:                             ;   in Loop: Header=BB143_24 Depth=2
	s_mul_i32 s29, s7, 0x60
	s_mov_b32 s30, 0
	s_mov_b32 s31, s27
	s_branch .LBB143_33
.LBB143_32:                             ;   in Loop: Header=BB143_33 Depth=3
	s_mul_i32 s18, s34, 0x68
	v_mov_b32_e32 v5, s18
	ds_read_b64 v[5:6], v5
	s_lshl_b32 s18, s30, 3
	s_add_i32 s30, s30, 1
	s_addk_i32 s31, 0x60
	v_mov_b32_e32 v9, s18
	s_waitcnt vmcnt(0) lgkmcnt(0)
	v_mul_f32_e32 v7, v6, v2
	v_mul_f32_e32 v8, v5, v2
	v_fma_f32 v7, v5, v1, -v7
	v_fmac_f32_e32 v8, v6, v1
	v_add_u32_e32 v1, s33, v3
	s_cmp_eq_u32 s30, s23
	buffer_store_dword v7, v9, s[0:3], 0 offen
	buffer_store_dword v8, v9, s[0:3], 0 offen offset:4
	ds_write_b64 v1, v[7:8]
	s_cbranch_scc1 .LBB143_23
.LBB143_33:                             ;   Parent Loop BB143_21 Depth=1
                                        ;     Parent Loop BB143_24 Depth=2
                                        ; =>    This Loop Header: Depth=3
                                        ;         Child Loop BB143_35 Depth 4
	s_cmp_lg_u32 s30, 0
	s_cbranch_scc0 .LBB143_37
; %bb.34:                               ;   in Loop: Header=BB143_33 Depth=3
	s_lshl_b32 s18, s30, 3
	v_mov_b32_e32 v5, s18
	buffer_load_dword v1, v5, s[0:3], 0 offen
	buffer_load_dword v2, v5, s[0:3], 0 offen offset:4
	s_add_i32 s34, s30, s7
	s_mul_i32 s33, s34, 0x60
	s_mov_b32 s18, 0
	s_mov_b32 s19, s31
	;; [unrolled: 1-line block ×3, first 2 shown]
.LBB143_35:                             ;   Parent Loop BB143_21 Depth=1
                                        ;     Parent Loop BB143_24 Depth=2
                                        ;       Parent Loop BB143_33 Depth=3
                                        ; =>      This Inner Loop Header: Depth=4
	v_mov_b32_e32 v6, s18
	buffer_load_dword v8, v6, s[0:3], 0 offen offset:4
	buffer_load_dword v9, v6, s[0:3], 0 offen
	v_mov_b32_e32 v6, s19
	ds_read_b64 v[6:7], v6
	s_add_i32 s35, s35, -1
	s_add_i32 s18, s18, 8
	s_add_i32 s19, s19, 8
	s_cmp_eq_u32 s35, 0
	s_waitcnt vmcnt(1) lgkmcnt(0)
	v_mul_f32_e32 v10, v7, v8
	v_mul_f32_e32 v8, v6, v8
	s_waitcnt vmcnt(0)
	v_fma_f32 v6, v6, v9, -v10
	v_fmac_f32_e32 v8, v7, v9
	v_sub_f32_e32 v1, v1, v6
	v_sub_f32_e32 v2, v2, v8
	buffer_store_dword v1, v5, s[0:3], 0 offen
	buffer_store_dword v2, v5, s[0:3], 0 offen offset:4
	s_cbranch_scc0 .LBB143_35
; %bb.36:                               ;   in Loop: Header=BB143_33 Depth=3
	s_branch .LBB143_32
.LBB143_37:                             ;   in Loop: Header=BB143_33 Depth=3
                                        ; implicit-def: $vgpr1
                                        ; implicit-def: $vgpr2
                                        ; implicit-def: $sgpr34
                                        ; implicit-def: $sgpr33
	s_cbranch_execz .LBB143_32
; %bb.38:                               ;   in Loop: Header=BB143_33 Depth=3
	buffer_load_dword v1, off, s[0:3], 0
	buffer_load_dword v2, off, s[0:3], 0 offset:4
	s_mov_b32 s33, s29
	s_mov_b32 s34, s7
	s_branch .LBB143_32
.LBB143_39:
	s_mov_b64 s[12:13], 0
.LBB143_40:
	s_and_b64 vcc, exec, s[12:13]
	s_cbranch_vccz .LBB143_60
; %bb.41:
	s_add_i32 s7, s26, -1
	v_mov_b32_e32 v1, 0x480
	s_mul_i32 s20, s26, 0x60
	s_mov_b32 s13, 0
	v_lshl_or_b32 v4, v0, 3, v1
	s_addk_i32 s20, 0xffa0
	s_mov_b32 s12, s13
	s_mov_b32 s21, s7
	s_branch .LBB143_43
.LBB143_42:                             ;   in Loop: Header=BB143_43 Depth=1
	s_cmp_lt_i32 s21, 0
	s_cselect_b64 s[18:19], -1, 0
	s_add_i32 s12, s12, 1
	s_cmp_eq_u32 s12, 3
	s_cselect_b64 s[24:25], -1, 0
	s_or_b64 s[18:19], s[18:19], s[24:25]
	s_and_b64 vcc, exec, s[18:19]
	s_cbranch_vccnz .LBB143_60
.LBB143_43:                             ; =>This Loop Header: Depth=1
                                        ;     Child Loop BB143_46 Depth 2
                                        ;       Child Loop BB143_47 Depth 3
                                        ;       Child Loop BB143_49 Depth 3
                                        ;         Child Loop BB143_50 Depth 4
                                        ;       Child Loop BB143_54 Depth 3
                                        ;         Child Loop BB143_56 Depth 4
	s_lshl_b64 s[18:19], s[12:13], 2
	s_getpc_b64 s[24:25]
	s_add_u32 s24, s24, __const._ZL38rocblas_trsm_small_left_device_sharedBILi12ELi12ELb0E19rocblas_complex_numIfES1_PKS1_PS1_Ev13rocblas_fill_18rocblas_operation_17rocblas_diagonal_iiT3_T4_lilT5_lili.step_sizes@rel32@lo+4
	s_addc_u32 s25, s25, __const._ZL38rocblas_trsm_small_left_device_sharedBILi12ELi12ELb0E19rocblas_complex_numIfES1_PKS1_PS1_Ev13rocblas_fill_18rocblas_operation_17rocblas_diagonal_iiT3_T4_lilT5_lili.step_sizes@rel32@hi+12
	s_add_u32 s18, s24, s18
	s_addc_u32 s19, s25, s19
	s_load_dword s23, s[18:19], 0x0
	s_waitcnt lgkmcnt(0)
	s_add_i32 s24, s23, -1
	s_cmp_lt_i32 s21, s24
	s_cbranch_scc1 .LBB143_42
; %bb.44:                               ;   in Loop: Header=BB143_43 Depth=1
	s_mul_i32 s18, s21, 0x60
	v_add_u32_e32 v5, s18, v4
	s_lshl_b32 s18, s21, 3
	s_add_i32 s28, s20, s18
	s_lshl_b32 s18, s23, 3
	s_max_i32 s25, s23, 1
	s_mul_i32 s27, s23, 0xffffffa0
	s_sub_i32 s29, 0, s18
	s_mul_i32 s30, s21, 0x68
	s_mul_i32 s31, s23, 0xffffff98
	s_branch .LBB143_46
.LBB143_45:                             ;   in Loop: Header=BB143_46 Depth=2
	s_sub_i32 s21, s21, s23
	s_add_i32 s28, s28, s29
	s_add_i32 s30, s30, s31
	s_cmp_lt_i32 s21, s24
	v_add_u32_e32 v5, s27, v5
	s_cbranch_scc1 .LBB143_42
.LBB143_46:                             ;   Parent Loop BB143_43 Depth=1
                                        ; =>  This Loop Header: Depth=2
                                        ;       Child Loop BB143_47 Depth 3
                                        ;       Child Loop BB143_49 Depth 3
                                        ;         Child Loop BB143_50 Depth 4
                                        ;       Child Loop BB143_54 Depth 3
                                        ;         Child Loop BB143_56 Depth 4
	s_mov_b32 s18, 0
	v_mov_b32_e32 v1, v5
	s_mov_b32 s19, s25
.LBB143_47:                             ;   Parent Loop BB143_43 Depth=1
                                        ;     Parent Loop BB143_46 Depth=2
                                        ; =>    This Inner Loop Header: Depth=3
	ds_read_b64 v[6:7], v1
	v_mov_b32_e32 v2, s18
	s_add_i32 s19, s19, -1
	s_add_i32 s18, s18, 8
	v_add_u32_e32 v1, 0xffffffa0, v1
	s_cmp_eq_u32 s19, 0
	s_waitcnt lgkmcnt(0)
	buffer_store_dword v7, v2, s[0:3], 0 offen offset:4
	buffer_store_dword v6, v2, s[0:3], 0 offen
	s_cbranch_scc0 .LBB143_47
; %bb.48:                               ;   in Loop: Header=BB143_46 Depth=2
	s_cmp_le_i32 s7, s21
	s_mov_b32 s18, s28
	s_mov_b32 s19, s7
	s_cbranch_scc1 .LBB143_52
.LBB143_49:                             ;   Parent Loop BB143_43 Depth=1
                                        ;     Parent Loop BB143_46 Depth=2
                                        ; =>    This Loop Header: Depth=3
                                        ;         Child Loop BB143_50 Depth 4
	s_mul_i32 s33, s19, 0x60
	v_add_u32_e32 v1, s33, v3
	ds_read_b64 v[1:2], v1
	s_mov_b32 s33, 0
	s_mov_b32 s34, s18
	;; [unrolled: 1-line block ×3, first 2 shown]
.LBB143_50:                             ;   Parent Loop BB143_43 Depth=1
                                        ;     Parent Loop BB143_46 Depth=2
                                        ;       Parent Loop BB143_49 Depth=3
                                        ; =>      This Inner Loop Header: Depth=4
	v_mov_b32_e32 v8, s33
	buffer_load_dword v9, v8, s[0:3], 0 offen
	buffer_load_dword v10, v8, s[0:3], 0 offen offset:4
	v_mov_b32_e32 v6, s34
	ds_read_b64 v[6:7], v6
	s_add_i32 s35, s35, -1
	s_add_i32 s34, s34, -8
	s_add_i32 s33, s33, 8
	s_cmp_eq_u32 s35, 0
	s_waitcnt lgkmcnt(0)
	v_mul_f32_e32 v11, v7, v2
	v_mul_f32_e32 v7, v7, v1
	v_fma_f32 v11, v6, v1, -v11
	v_fmac_f32_e32 v7, v6, v2
	s_waitcnt vmcnt(1)
	v_sub_f32_e32 v6, v9, v11
	s_waitcnt vmcnt(0)
	v_sub_f32_e32 v7, v10, v7
	buffer_store_dword v6, v8, s[0:3], 0 offen
	buffer_store_dword v7, v8, s[0:3], 0 offen offset:4
	s_cbranch_scc0 .LBB143_50
; %bb.51:                               ;   in Loop: Header=BB143_49 Depth=3
	s_add_i32 s19, s19, -1
	s_addk_i32 s18, 0xffa0
	s_cmp_le_i32 s19, s21
	s_cbranch_scc0 .LBB143_49
.LBB143_52:                             ;   in Loop: Header=BB143_46 Depth=2
	s_mov_b32 s33, 0
	s_mov_b32 s34, s30
	s_branch .LBB143_54
.LBB143_53:                             ;   in Loop: Header=BB143_54 Depth=3
	s_mul_i32 s18, s35, 0x68
	v_mov_b32_e32 v6, s18
	ds_read_b64 v[6:7], v6
	s_lshl_b32 s18, s33, 3
	v_mov_b32_e32 v10, s18
	s_mul_i32 s18, s35, 0x60
	s_add_i32 s33, s33, 1
	s_waitcnt vmcnt(0) lgkmcnt(0)
	v_mul_f32_e32 v8, v7, v2
	v_mul_f32_e32 v9, v6, v2
	s_add_i32 s34, s34, -8
	v_fma_f32 v8, v6, v1, -v8
	v_fmac_f32_e32 v9, v7, v1
	v_add_u32_e32 v1, s18, v3
	s_cmp_eq_u32 s33, s25
	buffer_store_dword v8, v10, s[0:3], 0 offen
	buffer_store_dword v9, v10, s[0:3], 0 offen offset:4
	ds_write_b64 v1, v[8:9]
	s_cbranch_scc1 .LBB143_45
.LBB143_54:                             ;   Parent Loop BB143_43 Depth=1
                                        ;     Parent Loop BB143_46 Depth=2
                                        ; =>    This Loop Header: Depth=3
                                        ;         Child Loop BB143_56 Depth 4
	s_cmp_lg_u32 s33, 0
	s_cbranch_scc0 .LBB143_58
; %bb.55:                               ;   in Loop: Header=BB143_54 Depth=3
	s_lshl_b32 s18, s33, 3
	v_mov_b32_e32 v6, s18
	buffer_load_dword v1, v6, s[0:3], 0 offen
	buffer_load_dword v2, v6, s[0:3], 0 offen offset:4
	s_sub_i32 s35, s21, s33
	s_mov_b32 s18, 0
	s_mov_b32 s19, s34
	;; [unrolled: 1-line block ×3, first 2 shown]
.LBB143_56:                             ;   Parent Loop BB143_43 Depth=1
                                        ;     Parent Loop BB143_46 Depth=2
                                        ;       Parent Loop BB143_54 Depth=3
                                        ; =>      This Inner Loop Header: Depth=4
	v_mov_b32_e32 v7, s18
	buffer_load_dword v9, v7, s[0:3], 0 offen offset:4
	buffer_load_dword v10, v7, s[0:3], 0 offen
	v_mov_b32_e32 v7, s19
	ds_read_b64 v[7:8], v7
	s_add_i32 s36, s36, -1
	s_addk_i32 s19, 0xffa0
	s_add_i32 s18, s18, 8
	s_cmp_eq_u32 s36, 0
	s_waitcnt vmcnt(1) lgkmcnt(0)
	v_mul_f32_e32 v11, v8, v9
	v_mul_f32_e32 v9, v7, v9
	s_waitcnt vmcnt(0)
	v_fma_f32 v7, v7, v10, -v11
	v_fmac_f32_e32 v9, v8, v10
	v_sub_f32_e32 v1, v1, v7
	v_sub_f32_e32 v2, v2, v9
	buffer_store_dword v1, v6, s[0:3], 0 offen
	buffer_store_dword v2, v6, s[0:3], 0 offen offset:4
	s_cbranch_scc0 .LBB143_56
; %bb.57:                               ;   in Loop: Header=BB143_54 Depth=3
	s_branch .LBB143_53
.LBB143_58:                             ;   in Loop: Header=BB143_54 Depth=3
                                        ; implicit-def: $vgpr1
                                        ; implicit-def: $vgpr2
                                        ; implicit-def: $sgpr35
	s_cbranch_execz .LBB143_53
; %bb.59:                               ;   in Loop: Header=BB143_54 Depth=3
	buffer_load_dword v1, off, s[0:3], 0
	buffer_load_dword v2, off, s[0:3], 0 offset:4
	s_mov_b32 s35, s21
	s_branch .LBB143_53
.LBB143_60:
	s_waitcnt lgkmcnt(0)
	; wave barrier
	s_and_saveexec_b64 s[12:13], s[4:5]
	s_cbranch_execz .LBB143_64
; %bb.61:
	s_andn2_b64 vcc, exec, s[14:15]
	s_cbranch_vccnz .LBB143_64
; %bb.62:
	s_lshl_b64 s[4:5], s[8:9], 3
	s_add_u32 s7, s10, s4
	s_addc_u32 s8, s11, s5
	s_lshl_b64 s[4:5], s[16:17], 3
	s_add_u32 s9, s7, s4
	s_addc_u32 s8, s8, s5
	s_mul_hi_i32 s5, s22, s6
	s_mul_i32 s4, s22, s6
	v_mad_i64_i32 v[1:2], s[6:7], s22, v0, 0
	s_lshl_b64 s[4:5], s[4:5], 3
	s_add_u32 s4, s9, s4
	v_lshlrev_b64 v[1:2], 3, v[1:2]
	s_addc_u32 s5, s8, s5
	v_mov_b32_e32 v3, s5
	v_add_co_u32_e32 v1, vcc, s4, v1
	v_addc_co_u32_e32 v2, vcc, v3, v2, vcc
	v_mov_b32_e32 v3, 0x480
	v_lshl_or_b32 v0, v0, 3, v3
.LBB143_63:                             ; =>This Inner Loop Header: Depth=1
	ds_read_b64 v[3:4], v0
	s_add_i32 s26, s26, -1
	v_add_u32_e32 v0, 0x60, v0
	s_cmp_lg_u32 s26, 0
	s_waitcnt lgkmcnt(0)
	global_store_dwordx2 v[1:2], v[3:4], off
	v_add_co_u32_e32 v1, vcc, 8, v1
	v_addc_co_u32_e32 v2, vcc, 0, v2, vcc
	s_cbranch_scc1 .LBB143_63
.LBB143_64:
	s_endpgm
	.section	.rodata,"a",@progbits
	.p2align	6, 0x0
	.amdhsa_kernel _ZL38rocblas_trsm_small_left_device_sharedBILi12ELi12ELb0E19rocblas_complex_numIfES1_PKS1_PS1_Ev13rocblas_fill_18rocblas_operation_17rocblas_diagonal_iiT3_T4_lilT5_lili
		.amdhsa_group_segment_fixed_size 2304
		.amdhsa_private_segment_fixed_size 112
		.amdhsa_kernarg_size 360
		.amdhsa_user_sgpr_count 6
		.amdhsa_user_sgpr_private_segment_buffer 1
		.amdhsa_user_sgpr_dispatch_ptr 0
		.amdhsa_user_sgpr_queue_ptr 0
		.amdhsa_user_sgpr_kernarg_segment_ptr 1
		.amdhsa_user_sgpr_dispatch_id 0
		.amdhsa_user_sgpr_flat_scratch_init 0
		.amdhsa_user_sgpr_private_segment_size 0
		.amdhsa_uses_dynamic_stack 0
		.amdhsa_system_sgpr_private_segment_wavefront_offset 1
		.amdhsa_system_sgpr_workgroup_id_x 1
		.amdhsa_system_sgpr_workgroup_id_y 0
		.amdhsa_system_sgpr_workgroup_id_z 1
		.amdhsa_system_sgpr_workgroup_info 0
		.amdhsa_system_vgpr_workitem_id 0
		.amdhsa_next_free_vgpr 33
		.amdhsa_next_free_sgpr 77
		.amdhsa_reserve_vcc 1
		.amdhsa_reserve_flat_scratch 0
		.amdhsa_float_round_mode_32 0
		.amdhsa_float_round_mode_16_64 0
		.amdhsa_float_denorm_mode_32 3
		.amdhsa_float_denorm_mode_16_64 3
		.amdhsa_dx10_clamp 1
		.amdhsa_ieee_mode 1
		.amdhsa_fp16_overflow 0
		.amdhsa_exception_fp_ieee_invalid_op 0
		.amdhsa_exception_fp_denorm_src 0
		.amdhsa_exception_fp_ieee_div_zero 0
		.amdhsa_exception_fp_ieee_overflow 0
		.amdhsa_exception_fp_ieee_underflow 0
		.amdhsa_exception_fp_ieee_inexact 0
		.amdhsa_exception_int_div_zero 0
	.end_amdhsa_kernel
	.section	.text._ZL38rocblas_trsm_small_left_device_sharedBILi12ELi12ELb0E19rocblas_complex_numIfES1_PKS1_PS1_Ev13rocblas_fill_18rocblas_operation_17rocblas_diagonal_iiT3_T4_lilT5_lili,"axG",@progbits,_ZL38rocblas_trsm_small_left_device_sharedBILi12ELi12ELb0E19rocblas_complex_numIfES1_PKS1_PS1_Ev13rocblas_fill_18rocblas_operation_17rocblas_diagonal_iiT3_T4_lilT5_lili,comdat
.Lfunc_end143:
	.size	_ZL38rocblas_trsm_small_left_device_sharedBILi12ELi12ELb0E19rocblas_complex_numIfES1_PKS1_PS1_Ev13rocblas_fill_18rocblas_operation_17rocblas_diagonal_iiT3_T4_lilT5_lili, .Lfunc_end143-_ZL38rocblas_trsm_small_left_device_sharedBILi12ELi12ELb0E19rocblas_complex_numIfES1_PKS1_PS1_Ev13rocblas_fill_18rocblas_operation_17rocblas_diagonal_iiT3_T4_lilT5_lili
                                        ; -- End function
	.set _ZL38rocblas_trsm_small_left_device_sharedBILi12ELi12ELb0E19rocblas_complex_numIfES1_PKS1_PS1_Ev13rocblas_fill_18rocblas_operation_17rocblas_diagonal_iiT3_T4_lilT5_lili.num_vgpr, 12
	.set _ZL38rocblas_trsm_small_left_device_sharedBILi12ELi12ELb0E19rocblas_complex_numIfES1_PKS1_PS1_Ev13rocblas_fill_18rocblas_operation_17rocblas_diagonal_iiT3_T4_lilT5_lili.num_agpr, 0
	.set _ZL38rocblas_trsm_small_left_device_sharedBILi12ELi12ELb0E19rocblas_complex_numIfES1_PKS1_PS1_Ev13rocblas_fill_18rocblas_operation_17rocblas_diagonal_iiT3_T4_lilT5_lili.numbered_sgpr, 37
	.set _ZL38rocblas_trsm_small_left_device_sharedBILi12ELi12ELb0E19rocblas_complex_numIfES1_PKS1_PS1_Ev13rocblas_fill_18rocblas_operation_17rocblas_diagonal_iiT3_T4_lilT5_lili.num_named_barrier, 0
	.set _ZL38rocblas_trsm_small_left_device_sharedBILi12ELi12ELb0E19rocblas_complex_numIfES1_PKS1_PS1_Ev13rocblas_fill_18rocblas_operation_17rocblas_diagonal_iiT3_T4_lilT5_lili.private_seg_size, 112
	.set _ZL38rocblas_trsm_small_left_device_sharedBILi12ELi12ELb0E19rocblas_complex_numIfES1_PKS1_PS1_Ev13rocblas_fill_18rocblas_operation_17rocblas_diagonal_iiT3_T4_lilT5_lili.uses_vcc, 1
	.set _ZL38rocblas_trsm_small_left_device_sharedBILi12ELi12ELb0E19rocblas_complex_numIfES1_PKS1_PS1_Ev13rocblas_fill_18rocblas_operation_17rocblas_diagonal_iiT3_T4_lilT5_lili.uses_flat_scratch, 0
	.set _ZL38rocblas_trsm_small_left_device_sharedBILi12ELi12ELb0E19rocblas_complex_numIfES1_PKS1_PS1_Ev13rocblas_fill_18rocblas_operation_17rocblas_diagonal_iiT3_T4_lilT5_lili.has_dyn_sized_stack, 0
	.set _ZL38rocblas_trsm_small_left_device_sharedBILi12ELi12ELb0E19rocblas_complex_numIfES1_PKS1_PS1_Ev13rocblas_fill_18rocblas_operation_17rocblas_diagonal_iiT3_T4_lilT5_lili.has_recursion, 0
	.set _ZL38rocblas_trsm_small_left_device_sharedBILi12ELi12ELb0E19rocblas_complex_numIfES1_PKS1_PS1_Ev13rocblas_fill_18rocblas_operation_17rocblas_diagonal_iiT3_T4_lilT5_lili.has_indirect_call, 0
	.section	.AMDGPU.csdata,"",@progbits
; Kernel info:
; codeLenInByte = 2700
; TotalNumSgprs: 41
; NumVgprs: 12
; ScratchSize: 112
; MemoryBound: 0
; FloatMode: 240
; IeeeMode: 1
; LDSByteSize: 2304 bytes/workgroup (compile time only)
; SGPRBlocks: 10
; VGPRBlocks: 8
; NumSGPRsForWavesPerEU: 81
; NumVGPRsForWavesPerEU: 33
; Occupancy: 7
; WaveLimiterHint : 0
; COMPUTE_PGM_RSRC2:SCRATCH_EN: 1
; COMPUTE_PGM_RSRC2:USER_SGPR: 6
; COMPUTE_PGM_RSRC2:TRAP_HANDLER: 0
; COMPUTE_PGM_RSRC2:TGID_X_EN: 1
; COMPUTE_PGM_RSRC2:TGID_Y_EN: 0
; COMPUTE_PGM_RSRC2:TGID_Z_EN: 1
; COMPUTE_PGM_RSRC2:TIDIG_COMP_CNT: 0
	.section	.text._ZL30rocblas_trsm_small_left_deviceILi12ELi12ELb0E19rocblas_complex_numIfES1_PKS1_PS1_Ev13rocblas_fill_18rocblas_operation_17rocblas_diagonal_iiT3_T4_lilT5_lili,"axG",@progbits,_ZL30rocblas_trsm_small_left_deviceILi12ELi12ELb0E19rocblas_complex_numIfES1_PKS1_PS1_Ev13rocblas_fill_18rocblas_operation_17rocblas_diagonal_iiT3_T4_lilT5_lili,comdat
	.globl	_ZL30rocblas_trsm_small_left_deviceILi12ELi12ELb0E19rocblas_complex_numIfES1_PKS1_PS1_Ev13rocblas_fill_18rocblas_operation_17rocblas_diagonal_iiT3_T4_lilT5_lili ; -- Begin function _ZL30rocblas_trsm_small_left_deviceILi12ELi12ELb0E19rocblas_complex_numIfES1_PKS1_PS1_Ev13rocblas_fill_18rocblas_operation_17rocblas_diagonal_iiT3_T4_lilT5_lili
	.p2align	8
	.type	_ZL30rocblas_trsm_small_left_deviceILi12ELi12ELb0E19rocblas_complex_numIfES1_PKS1_PS1_Ev13rocblas_fill_18rocblas_operation_17rocblas_diagonal_iiT3_T4_lilT5_lili,@function
_ZL30rocblas_trsm_small_left_deviceILi12ELi12ELb0E19rocblas_complex_numIfES1_PKS1_PS1_Ev13rocblas_fill_18rocblas_operation_17rocblas_diagonal_iiT3_T4_lilT5_lili: ; @_ZL30rocblas_trsm_small_left_deviceILi12ELi12ELb0E19rocblas_complex_numIfES1_PKS1_PS1_Ev13rocblas_fill_18rocblas_operation_17rocblas_diagonal_iiT3_T4_lilT5_lili
; %bb.0:
	s_add_u32 s0, s0, s8
	s_load_dwordx4 s[12:15], s[4:5], 0x4
	s_load_dwordx2 s[16:17], s[4:5], 0x14
	s_load_dwordx4 s[8:11], s[4:5], 0x38
	s_load_dwordx2 s[18:19], s[4:5], 0x48
	s_load_dword s27, s[4:5], 0x68
	s_addc_u32 s1, s1, 0
	s_waitcnt lgkmcnt(0)
	s_min_i32 s26, s14, 12
	v_cmp_gt_i32_e32 vcc, s26, v0
	s_and_saveexec_b64 s[20:21], vcc
	s_cbranch_execz .LBB144_15
; %bb.1:
	s_load_dword s24, s[4:5], 0x30
	s_load_dwordx4 s[28:31], s[4:5], 0x20
	s_mul_i32 s9, s9, s7
	s_mul_hi_u32 s14, s8, s7
	s_mul_i32 s8, s8, s7
	s_waitcnt lgkmcnt(0)
	s_ashr_i32 s25, s24, 31
	s_cmpk_lg_i32 s12, 0x71
	s_cselect_b64 s[22:23], -1, 0
	s_add_i32 s9, s14, s9
	s_lshl_b64 s[8:9], s[8:9], 3
	s_lshl_b64 s[30:31], s[30:31], 3
	s_add_u32 s8, s8, s30
	s_addc_u32 s9, s9, s31
	s_add_u32 s8, s28, s8
	v_lshlrev_b32_e32 v5, 3, v0
	s_addc_u32 s9, s29, s9
	v_mov_b32_e32 v1, s9
	v_add_co_u32_e32 v2, vcc, s8, v5
	v_addc_co_u32_e32 v3, vcc, 0, v1, vcc
	v_add_co_u32_e32 v1, vcc, 4, v2
	s_lshl_b64 s[8:9], s[24:25], 3
	v_addc_co_u32_e32 v2, vcc, 0, v3, vcc
	v_mov_b32_e32 v6, s9
	v_mov_b32_e32 v7, v5
	s_mov_b32 s9, s26
	s_branch .LBB144_3
.LBB144_2:                              ;   in Loop: Header=BB144_3 Depth=1
	global_load_dword v3, v[1:2], off offset:-4
	s_add_i32 s9, s9, -1
	v_add_co_u32_e32 v1, vcc, s8, v1
	v_addc_co_u32_e32 v2, vcc, v2, v6, vcc
	s_cmp_eq_u32 s9, 0
	s_waitcnt vmcnt(0)
	ds_write_b64 v7, v[3:4]
	v_add_u32_e32 v7, 0x60, v7
	s_cbranch_scc1 .LBB144_7
.LBB144_3:                              ; =>This Inner Loop Header: Depth=1
	s_mov_b64 s[24:25], -1
	s_and_b64 vcc, exec, s[22:23]
                                        ; implicit-def: $vgpr4
	s_cbranch_vccz .LBB144_5
; %bb.4:                                ;   in Loop: Header=BB144_3 Depth=1
	global_load_dword v4, v[1:2], off
	s_mov_b64 s[24:25], 0
.LBB144_5:                              ;   in Loop: Header=BB144_3 Depth=1
	s_andn2_b64 vcc, exec, s[24:25]
	s_cbranch_vccnz .LBB144_2
; %bb.6:                                ;   in Loop: Header=BB144_3 Depth=1
	global_load_dword v3, v[1:2], off
	s_waitcnt vmcnt(0)
	v_xor_b32_e32 v4, 0x80000000, v3
	s_branch .LBB144_2
.LBB144_7:
	s_cmpk_lg_i32 s13, 0x84
	v_mul_u32_u24_e32 v6, 0x60, v0
	s_mov_b64 s[8:9], -1
	s_cbranch_scc0 .LBB144_13
; %bb.8:
	v_add_u32_e32 v7, v5, v6
	ds_read_b64 v[1:2], v7
                                        ; implicit-def: $vgpr3
	s_waitcnt lgkmcnt(0)
	v_cmp_ngt_f32_e64 s[8:9], |v1|, |v2|
	s_and_saveexec_b64 s[22:23], s[8:9]
	s_xor_b64 s[8:9], exec, s[22:23]
	s_cbranch_execz .LBB144_10
; %bb.9:
	v_div_scale_f32 v3, s[22:23], v2, v2, v1
	v_div_scale_f32 v4, vcc, v1, v2, v1
	v_rcp_f32_e32 v8, v3
	v_fma_f32 v9, -v3, v8, 1.0
	v_fmac_f32_e32 v8, v9, v8
	v_mul_f32_e32 v9, v4, v8
	v_fma_f32 v10, -v3, v9, v4
	v_fmac_f32_e32 v9, v10, v8
	v_fma_f32 v3, -v3, v9, v4
	v_div_fmas_f32 v3, v3, v8, v9
	v_div_fixup_f32 v3, v3, v2, v1
	v_fmac_f32_e32 v2, v1, v3
	v_div_scale_f32 v1, s[22:23], v2, v2, 1.0
	v_div_scale_f32 v4, vcc, 1.0, v2, 1.0
	v_rcp_f32_e32 v8, v1
	v_fma_f32 v9, -v1, v8, 1.0
	v_fmac_f32_e32 v8, v9, v8
	v_mul_f32_e32 v9, v4, v8
	v_fma_f32 v10, -v1, v9, v4
	v_fmac_f32_e32 v9, v10, v8
	v_fma_f32 v1, -v1, v9, v4
	v_div_fmas_f32 v1, v1, v8, v9
	v_add_f32_e32 v4, 0, v3
	v_fma_f32 v8, v3, 0, -1.0
	v_div_fixup_f32 v1, v1, v2, 1.0
	v_mul_f32_e32 v3, v4, v1
	v_mul_f32_e32 v4, v8, v1
                                        ; implicit-def: $vgpr1_vgpr2
.LBB144_10:
	s_andn2_saveexec_b64 s[8:9], s[8:9]
	s_cbranch_execz .LBB144_12
; %bb.11:
	v_div_scale_f32 v3, s[22:23], v1, v1, v2
	v_div_scale_f32 v4, vcc, v2, v1, v2
	v_rcp_f32_e32 v8, v3
	v_fma_f32 v9, -v3, v8, 1.0
	v_fmac_f32_e32 v8, v9, v8
	v_mul_f32_e32 v9, v4, v8
	v_fma_f32 v10, -v3, v9, v4
	v_fmac_f32_e32 v9, v10, v8
	v_fma_f32 v3, -v3, v9, v4
	v_div_fmas_f32 v3, v3, v8, v9
	v_div_fixup_f32 v4, v3, v1, v2
	v_fmac_f32_e32 v1, v2, v4
	v_div_scale_f32 v2, s[22:23], v1, v1, 1.0
	v_div_scale_f32 v3, vcc, 1.0, v1, 1.0
	v_rcp_f32_e32 v8, v2
	v_fma_f32 v9, -v2, v8, 1.0
	v_fmac_f32_e32 v8, v9, v8
	v_mul_f32_e32 v9, v3, v8
	v_fma_f32 v10, -v2, v9, v3
	v_fmac_f32_e32 v9, v10, v8
	v_fma_f32 v2, -v2, v9, v3
	v_div_fmas_f32 v2, v2, v8, v9
	v_fma_f32 v3, v4, 0, 1.0
	v_div_fixup_f32 v1, v2, v1, 1.0
	v_mul_f32_e32 v3, v3, v1
	v_mul_f32_e64 v4, -v4, v1
.LBB144_12:
	s_or_b64 exec, exec, s[8:9]
	s_mov_b64 s[8:9], 0
	ds_write_b64 v7, v[3:4]
.LBB144_13:
	s_and_b64 vcc, exec, s[8:9]
	s_cbranch_vccz .LBB144_15
; %bb.14:
	v_add_u32_e32 v3, v5, v6
	v_mov_b32_e32 v1, 1.0
	v_mov_b32_e32 v2, 0
	ds_write_b64 v3, v[1:2]
.LBB144_15:
	s_or_b64 exec, exec, s[20:21]
	s_mul_i32 s8, s6, -12
	s_add_i32 s27, s27, -1
	s_add_i32 s8, s15, s8
	s_cmp_ge_u32 s6, s27
	s_cselect_b32 s8, s8, 12
	v_cmp_gt_i32_e32 vcc, s8, v0
	s_waitcnt lgkmcnt(0)
	; wave barrier
	s_and_saveexec_b64 s[8:9], vcc
	s_cbranch_execz .LBB144_58
; %bb.16:
	s_load_dwordx2 s[8:9], s[4:5], 0x58
	s_load_dword s13, s[4:5], 0x50
	s_waitcnt lgkmcnt(0)
	s_mul_i32 s5, s9, s7
	s_mul_hi_u32 s9, s8, s7
	s_mul_i32 s4, s8, s7
	v_mad_u64_u32 v[0:1], s[6:7], s6, 12, v[0:1]
	s_add_i32 s5, s9, s5
	s_lshl_b64 s[4:5], s[4:5], 3
	v_mad_i64_i32 v[0:1], s[6:7], s13, v0, 0
	s_add_u32 s8, s10, s4
	s_addc_u32 s9, s11, s5
	s_lshl_b64 s[6:7], s[18:19], 3
	s_add_u32 s8, s8, s6
	v_lshlrev_b64 v[0:1], 3, v[0:1]
	s_addc_u32 s9, s9, s7
	v_mov_b32_e32 v2, s9
	v_add_co_u32_e32 v6, vcc, s8, v0
	v_addc_co_u32_e32 v7, vcc, v2, v1, vcc
	s_cmpk_eq_i32 s12, 0x6f
	s_mov_b64 s[8:9], -1
	s_cbranch_scc1 .LBB144_38
; %bb.17:
	s_add_u32 s8, s10, s6
	s_addc_u32 s9, s11, s7
	s_add_u32 s8, s8, s4
	s_addc_u32 s9, s9, s5
	v_mov_b32_e32 v2, s9
	v_add_co_u32_e32 v3, vcc, s8, v0
	v_addc_co_u32_e32 v2, vcc, v2, v1, vcc
	v_add_co_u32_e32 v8, vcc, 4, v3
	s_mov_b32 s9, 0
	v_addc_co_u32_e32 v9, vcc, 0, v2, vcc
	s_mov_b32 s12, s9
	s_mov_b32 s14, s9
	s_branch .LBB144_19
.LBB144_18:                             ;   in Loop: Header=BB144_19 Depth=1
	s_cmp_ge_i32 s14, s26
	s_cselect_b64 s[18:19], -1, 0
	s_add_i32 s12, s12, 1
	s_cmp_eq_u32 s12, 3
	s_cselect_b64 s[20:21], -1, 0
	s_or_b64 s[18:19], s[18:19], s[20:21]
	s_andn2_b64 vcc, exec, s[18:19]
	s_cbranch_vccz .LBB144_37
.LBB144_19:                             ; =>This Loop Header: Depth=1
                                        ;     Child Loop BB144_22 Depth 2
                                        ;       Child Loop BB144_23 Depth 3
                                        ;       Child Loop BB144_26 Depth 3
                                        ;         Child Loop BB144_27 Depth 4
                                        ;       Child Loop BB144_31 Depth 3
                                        ;         Child Loop BB144_33 Depth 4
	s_mov_b32 s13, s9
	s_lshl_b64 s[18:19], s[12:13], 2
	s_getpc_b64 s[20:21]
	s_add_u32 s20, s20, __const._ZL30rocblas_trsm_small_left_deviceILi12ELi12ELb0E19rocblas_complex_numIfES1_PKS1_PS1_Ev13rocblas_fill_18rocblas_operation_17rocblas_diagonal_iiT3_T4_lilT5_lili.step_sizes@rel32@lo+4
	s_addc_u32 s21, s21, __const._ZL30rocblas_trsm_small_left_deviceILi12ELi12ELb0E19rocblas_complex_numIfES1_PKS1_PS1_Ev13rocblas_fill_18rocblas_operation_17rocblas_diagonal_iiT3_T4_lilT5_lili.step_sizes@rel32@hi+12
	s_add_u32 s18, s20, s18
	s_addc_u32 s19, s21, s19
	s_load_dword s18, s[18:19], 0x0
	s_waitcnt lgkmcnt(0)
	s_add_i32 s13, s18, -1
	s_add_i32 s8, s13, s14
	s_cmp_ge_i32 s8, s26
	s_cbranch_scc1 .LBB144_18
; %bb.20:                               ;   in Loop: Header=BB144_19 Depth=1
	s_ashr_i32 s15, s14, 31
	s_lshl_b64 s[20:21], s[14:15], 3
	v_mov_b32_e32 v3, s21
	v_add_co_u32_e32 v2, vcc, s20, v8
	s_ashr_i32 s19, s18, 31
	s_max_i32 s27, s18, 1
	v_addc_co_u32_e32 v3, vcc, v9, v3, vcc
	s_lshl_b64 s[20:21], s[18:19], 3
	s_mul_i32 s15, s14, 0x60
	s_mul_i32 s19, s18, 0x60
	;; [unrolled: 1-line block ×4, first 2 shown]
	s_branch .LBB144_22
.LBB144_21:                             ;   in Loop: Header=BB144_22 Depth=2
	s_add_i32 s14, s14, s18
	s_add_i32 s8, s13, s14
	v_mov_b32_e32 v4, s21
	s_add_i32 s15, s15, s19
	s_add_i32 s28, s28, s29
	v_add_co_u32_e32 v2, vcc, s20, v2
	s_cmp_ge_i32 s8, s26
	v_addc_co_u32_e32 v3, vcc, v3, v4, vcc
	s_cbranch_scc1 .LBB144_18
.LBB144_22:                             ;   Parent Loop BB144_19 Depth=1
                                        ; =>  This Loop Header: Depth=2
                                        ;       Child Loop BB144_23 Depth 3
                                        ;       Child Loop BB144_26 Depth 3
                                        ;         Child Loop BB144_27 Depth 4
                                        ;       Child Loop BB144_31 Depth 3
                                        ;         Child Loop BB144_33 Depth 4
	v_mov_b32_e32 v5, v3
	s_mov_b32 s8, 0
	v_mov_b32_e32 v4, v2
	s_mov_b32 s22, s27
.LBB144_23:                             ;   Parent Loop BB144_19 Depth=1
                                        ;     Parent Loop BB144_22 Depth=2
                                        ; =>    This Inner Loop Header: Depth=3
	global_load_dwordx2 v[10:11], v[4:5], off offset:-4
	v_mov_b32_e32 v12, s8
	s_add_i32 s22, s22, -1
	v_add_co_u32_e32 v4, vcc, 8, v4
	s_add_i32 s8, s8, 8
	v_addc_co_u32_e32 v5, vcc, 0, v5, vcc
	s_cmp_eq_u32 s22, 0
	s_waitcnt vmcnt(0)
	v_mul_f32_e32 v13, s17, v11
	v_mul_f32_e32 v11, s16, v11
	v_fma_f32 v13, v10, s16, -v13
	v_fmac_f32_e32 v11, s17, v10
	buffer_store_dword v13, v12, s[0:3], 0 offen
	buffer_store_dword v11, v12, s[0:3], 0 offen offset:4
	s_cbranch_scc0 .LBB144_23
; %bb.24:                               ;   in Loop: Header=BB144_22 Depth=2
	s_cmp_lt_i32 s14, 1
	s_cbranch_scc1 .LBB144_29
; %bb.25:                               ;   in Loop: Header=BB144_22 Depth=2
	s_mov_b32 s8, 0
	s_mov_b32 s22, s15
.LBB144_26:                             ;   Parent Loop BB144_19 Depth=1
                                        ;     Parent Loop BB144_22 Depth=2
                                        ; =>    This Loop Header: Depth=3
                                        ;         Child Loop BB144_27 Depth 4
	s_lshl_b64 s[24:25], s[8:9], 3
	v_mov_b32_e32 v5, s25
	v_add_co_u32_e32 v4, vcc, s24, v6
	v_addc_co_u32_e32 v5, vcc, v7, v5, vcc
	global_load_dwordx2 v[4:5], v[4:5], off
	s_mov_b32 s23, 0
	s_mov_b32 s24, s22
	;; [unrolled: 1-line block ×3, first 2 shown]
.LBB144_27:                             ;   Parent Loop BB144_19 Depth=1
                                        ;     Parent Loop BB144_22 Depth=2
                                        ;       Parent Loop BB144_26 Depth=3
                                        ; =>      This Inner Loop Header: Depth=4
	v_mov_b32_e32 v12, s23
	buffer_load_dword v13, v12, s[0:3], 0 offen
	buffer_load_dword v14, v12, s[0:3], 0 offen offset:4
	v_mov_b32_e32 v10, s24
	ds_read_b64 v[10:11], v10
	s_add_i32 s25, s25, -1
	s_addk_i32 s24, 0x60
	s_add_i32 s23, s23, 8
	s_cmp_eq_u32 s25, 0
	s_waitcnt vmcnt(2) lgkmcnt(0)
	v_mul_f32_e32 v15, v11, v5
	v_mul_f32_e32 v11, v11, v4
	v_fma_f32 v15, v10, v4, -v15
	v_fmac_f32_e32 v11, v10, v5
	s_waitcnt vmcnt(1)
	v_sub_f32_e32 v10, v13, v15
	s_waitcnt vmcnt(0)
	v_sub_f32_e32 v11, v14, v11
	buffer_store_dword v10, v12, s[0:3], 0 offen
	buffer_store_dword v11, v12, s[0:3], 0 offen offset:4
	s_cbranch_scc0 .LBB144_27
; %bb.28:                               ;   in Loop: Header=BB144_26 Depth=3
	s_add_i32 s8, s8, 1
	s_add_i32 s22, s22, 8
	s_cmp_eq_u32 s8, s14
	s_cbranch_scc0 .LBB144_26
.LBB144_29:                             ;   in Loop: Header=BB144_22 Depth=2
	s_mov_b32 s8, 0
	s_mov_b32 s30, s28
	s_branch .LBB144_31
.LBB144_30:                             ;   in Loop: Header=BB144_31 Depth=3
	s_mul_i32 s23, s22, 0x68
	v_mov_b32_e32 v10, s23
	ds_read_b64 v[10:11], v10
	s_lshl_b32 s23, s8, 3
	v_mov_b32_e32 v14, s23
	s_ashr_i32 s23, s22, 31
	s_lshl_b64 s[22:23], s[22:23], 3
	s_waitcnt vmcnt(0) lgkmcnt(0)
	v_mul_f32_e32 v12, v11, v5
	v_mul_f32_e32 v13, v10, v5
	v_fma_f32 v12, v10, v4, -v12
	v_fmac_f32_e32 v13, v11, v4
	v_mov_b32_e32 v5, s23
	v_add_co_u32_e32 v4, vcc, s22, v6
	s_add_i32 s8, s8, 1
	s_addk_i32 s30, 0x60
	v_addc_co_u32_e32 v5, vcc, v7, v5, vcc
	s_cmp_eq_u32 s8, s27
	buffer_store_dword v12, v14, s[0:3], 0 offen
	buffer_store_dword v13, v14, s[0:3], 0 offen offset:4
	global_store_dwordx2 v[4:5], v[12:13], off
	s_cbranch_scc1 .LBB144_21
.LBB144_31:                             ;   Parent Loop BB144_19 Depth=1
                                        ;     Parent Loop BB144_22 Depth=2
                                        ; =>    This Loop Header: Depth=3
                                        ;         Child Loop BB144_33 Depth 4
	s_cmp_lg_u32 s8, 0
	s_cbranch_scc0 .LBB144_35
; %bb.32:                               ;   in Loop: Header=BB144_31 Depth=3
	s_lshl_b32 s23, s8, 3
	v_mov_b32_e32 v10, s23
	buffer_load_dword v4, v10, s[0:3], 0 offen
	buffer_load_dword v5, v10, s[0:3], 0 offen offset:4
	s_add_i32 s22, s8, s14
	s_mov_b32 s24, 0
	s_mov_b32 s25, s30
	;; [unrolled: 1-line block ×3, first 2 shown]
.LBB144_33:                             ;   Parent Loop BB144_19 Depth=1
                                        ;     Parent Loop BB144_22 Depth=2
                                        ;       Parent Loop BB144_31 Depth=3
                                        ; =>      This Inner Loop Header: Depth=4
	v_mov_b32_e32 v10, s24
	buffer_load_dword v12, v10, s[0:3], 0 offen offset:4
	buffer_load_dword v13, v10, s[0:3], 0 offen
	v_mov_b32_e32 v10, s25
	ds_read_b64 v[10:11], v10
	s_add_i32 s31, s31, -1
	s_add_i32 s24, s24, 8
	s_add_i32 s25, s25, 8
	v_mov_b32_e32 v14, s23
	s_cmp_eq_u32 s31, 0
	s_waitcnt vmcnt(1) lgkmcnt(0)
	v_mul_f32_e32 v15, v11, v12
	v_mul_f32_e32 v12, v10, v12
	s_waitcnt vmcnt(0)
	v_fma_f32 v10, v10, v13, -v15
	v_fmac_f32_e32 v12, v11, v13
	v_sub_f32_e32 v4, v4, v10
	v_sub_f32_e32 v5, v5, v12
	buffer_store_dword v4, v14, s[0:3], 0 offen
	buffer_store_dword v5, v14, s[0:3], 0 offen offset:4
	s_cbranch_scc0 .LBB144_33
; %bb.34:                               ;   in Loop: Header=BB144_31 Depth=3
	s_branch .LBB144_30
.LBB144_35:                             ;   in Loop: Header=BB144_31 Depth=3
                                        ; implicit-def: $vgpr4
                                        ; implicit-def: $vgpr5
                                        ; implicit-def: $sgpr22
	s_cbranch_execz .LBB144_30
; %bb.36:                               ;   in Loop: Header=BB144_31 Depth=3
	buffer_load_dword v4, off, s[0:3], 0
	buffer_load_dword v5, off, s[0:3], 0 offset:4
	s_mov_b32 s22, s14
	s_branch .LBB144_30
.LBB144_37:
	s_mov_b64 s[8:9], 0
.LBB144_38:
	s_and_b64 vcc, exec, s[8:9]
	s_cbranch_vccz .LBB144_58
; %bb.39:
	s_add_i32 s14, s26, -1
	s_add_u32 s6, s10, s6
	s_addc_u32 s7, s11, s7
	s_add_u32 s4, s6, s4
	s_addc_u32 s5, s7, s5
	v_mov_b32_e32 v2, s5
	v_add_co_u32_e32 v0, vcc, s4, v0
	v_addc_co_u32_e32 v1, vcc, v2, v1, vcc
	v_add_co_u32_e32 v2, vcc, 4, v0
	s_mul_i32 s15, s26, 0x60
	s_mov_b32 s5, 0
	v_addc_co_u32_e32 v3, vcc, 0, v1, vcc
	s_addk_i32 s15, 0xffa0
	s_mov_b32 s6, s14
	s_mov_b32 s4, s5
	s_branch .LBB144_41
.LBB144_40:                             ;   in Loop: Header=BB144_41 Depth=1
	s_cmp_lt_i32 s6, 0
	s_cselect_b64 s[8:9], -1, 0
	s_add_i32 s4, s4, 1
	s_cmp_eq_u32 s4, 3
	s_cselect_b64 s[10:11], -1, 0
	s_or_b64 s[8:9], s[8:9], s[10:11]
	s_and_b64 vcc, exec, s[8:9]
	s_cbranch_vccnz .LBB144_58
.LBB144_41:                             ; =>This Loop Header: Depth=1
                                        ;     Child Loop BB144_44 Depth 2
                                        ;       Child Loop BB144_45 Depth 3
                                        ;       Child Loop BB144_47 Depth 3
                                        ;         Child Loop BB144_48 Depth 4
                                        ;       Child Loop BB144_52 Depth 3
                                        ;         Child Loop BB144_54 Depth 4
	s_lshl_b64 s[8:9], s[4:5], 2
	s_getpc_b64 s[10:11]
	s_add_u32 s10, s10, __const._ZL30rocblas_trsm_small_left_deviceILi12ELi12ELb0E19rocblas_complex_numIfES1_PKS1_PS1_Ev13rocblas_fill_18rocblas_operation_17rocblas_diagonal_iiT3_T4_lilT5_lili.step_sizes@rel32@lo+4
	s_addc_u32 s11, s11, __const._ZL30rocblas_trsm_small_left_deviceILi12ELi12ELb0E19rocblas_complex_numIfES1_PKS1_PS1_Ev13rocblas_fill_18rocblas_operation_17rocblas_diagonal_iiT3_T4_lilT5_lili.step_sizes@rel32@hi+12
	s_add_u32 s8, s10, s8
	s_addc_u32 s9, s11, s9
	s_load_dword s18, s[8:9], 0x0
	s_waitcnt lgkmcnt(0)
	s_add_i32 s19, s18, -1
	s_cmp_lt_i32 s6, s19
	s_cbranch_scc1 .LBB144_40
; %bb.42:                               ;   in Loop: Header=BB144_41 Depth=1
	s_lshl_b32 s7, s6, 3
	s_add_i32 s21, s15, s7
	s_lshl_b32 s7, s18, 3
	s_max_i32 s20, s18, 1
	s_sub_i32 s22, 0, s7
	s_mul_i32 s23, s6, 0x68
	s_mul_i32 s24, s18, 0xffffff98
	s_branch .LBB144_44
.LBB144_43:                             ;   in Loop: Header=BB144_44 Depth=2
	s_sub_i32 s6, s6, s18
	s_add_i32 s21, s21, s22
	s_add_i32 s23, s23, s24
	s_cmp_lt_i32 s6, s19
	s_cbranch_scc1 .LBB144_40
.LBB144_44:                             ;   Parent Loop BB144_41 Depth=1
                                        ; =>  This Loop Header: Depth=2
                                        ;       Child Loop BB144_45 Depth 3
                                        ;       Child Loop BB144_47 Depth 3
                                        ;         Child Loop BB144_48 Depth 4
                                        ;       Child Loop BB144_52 Depth 3
                                        ;         Child Loop BB144_54 Depth 4
	s_ashr_i32 s7, s6, 31
	s_lshl_b64 s[8:9], s[6:7], 3
	v_mov_b32_e32 v1, s9
	v_add_co_u32_e32 v0, vcc, s8, v2
	v_addc_co_u32_e32 v1, vcc, v3, v1, vcc
	s_mov_b32 s8, 0
	s_mov_b32 s9, s20
.LBB144_45:                             ;   Parent Loop BB144_41 Depth=1
                                        ;     Parent Loop BB144_44 Depth=2
                                        ; =>    This Inner Loop Header: Depth=3
	global_load_dwordx2 v[4:5], v[0:1], off offset:-4
	v_mov_b32_e32 v8, s8
	s_add_i32 s9, s9, -1
	v_add_co_u32_e32 v0, vcc, -8, v0
	s_add_i32 s8, s8, 8
	v_addc_co_u32_e32 v1, vcc, -1, v1, vcc
	s_cmp_eq_u32 s9, 0
	s_waitcnt vmcnt(0)
	v_mul_f32_e32 v9, s17, v5
	v_mul_f32_e32 v5, s16, v5
	v_fma_f32 v9, v4, s16, -v9
	v_fmac_f32_e32 v5, s17, v4
	buffer_store_dword v9, v8, s[0:3], 0 offen
	buffer_store_dword v5, v8, s[0:3], 0 offen offset:4
	s_cbranch_scc0 .LBB144_45
; %bb.46:                               ;   in Loop: Header=BB144_44 Depth=2
	s_cmp_le_i32 s14, s6
	s_mov_b32 s10, s21
	s_mov_b32 s8, s14
	s_cbranch_scc1 .LBB144_50
.LBB144_47:                             ;   Parent Loop BB144_41 Depth=1
                                        ;     Parent Loop BB144_44 Depth=2
                                        ; =>    This Loop Header: Depth=3
                                        ;         Child Loop BB144_48 Depth 4
	s_ashr_i32 s9, s8, 31
	s_lshl_b64 s[12:13], s[8:9], 3
	v_mov_b32_e32 v1, s13
	v_add_co_u32_e32 v0, vcc, s12, v6
	v_addc_co_u32_e32 v1, vcc, v7, v1, vcc
	global_load_dwordx2 v[0:1], v[0:1], off
	s_mov_b32 s9, 0
	s_mov_b32 s11, s10
	;; [unrolled: 1-line block ×3, first 2 shown]
.LBB144_48:                             ;   Parent Loop BB144_41 Depth=1
                                        ;     Parent Loop BB144_44 Depth=2
                                        ;       Parent Loop BB144_47 Depth=3
                                        ; =>      This Inner Loop Header: Depth=4
	v_mov_b32_e32 v8, s9
	buffer_load_dword v9, v8, s[0:3], 0 offen
	buffer_load_dword v10, v8, s[0:3], 0 offen offset:4
	v_mov_b32_e32 v4, s11
	ds_read_b64 v[4:5], v4
	s_add_i32 s12, s12, -1
	s_add_i32 s11, s11, -8
	s_add_i32 s9, s9, 8
	s_cmp_eq_u32 s12, 0
	s_waitcnt vmcnt(2) lgkmcnt(0)
	v_mul_f32_e32 v11, v5, v1
	v_mul_f32_e32 v5, v5, v0
	v_fma_f32 v11, v4, v0, -v11
	v_fmac_f32_e32 v5, v4, v1
	s_waitcnt vmcnt(1)
	v_sub_f32_e32 v4, v9, v11
	s_waitcnt vmcnt(0)
	v_sub_f32_e32 v5, v10, v5
	buffer_store_dword v4, v8, s[0:3], 0 offen
	buffer_store_dword v5, v8, s[0:3], 0 offen offset:4
	s_cbranch_scc0 .LBB144_48
; %bb.49:                               ;   in Loop: Header=BB144_47 Depth=3
	s_add_i32 s8, s8, -1
	s_addk_i32 s10, 0xffa0
	s_cmp_le_i32 s8, s6
	s_cbranch_scc0 .LBB144_47
.LBB144_50:                             ;   in Loop: Header=BB144_44 Depth=2
	s_mov_b32 s25, 0
	s_mov_b32 s26, s23
	s_branch .LBB144_52
.LBB144_51:                             ;   in Loop: Header=BB144_52 Depth=3
	s_mulk_i32 s10, 0x68
	v_mov_b32_e32 v4, s10
	ds_read_b64 v[4:5], v4
	s_lshl_b64 s[8:9], s[8:9], 3
	s_lshl_b32 s10, s25, 3
	s_add_i32 s25, s25, 1
	s_add_i32 s26, s26, -8
	s_waitcnt vmcnt(0) lgkmcnt(0)
	v_mul_f32_e32 v8, v5, v1
	v_mul_f32_e32 v9, v4, v1
	v_fma_f32 v8, v4, v0, -v8
	v_fmac_f32_e32 v9, v5, v0
	v_mov_b32_e32 v1, s9
	v_add_co_u32_e32 v0, vcc, s8, v6
	v_mov_b32_e32 v10, s10
	v_addc_co_u32_e32 v1, vcc, v7, v1, vcc
	s_cmp_eq_u32 s25, s20
	buffer_store_dword v8, v10, s[0:3], 0 offen
	buffer_store_dword v9, v10, s[0:3], 0 offen offset:4
	global_store_dwordx2 v[0:1], v[8:9], off
	s_cbranch_scc1 .LBB144_43
.LBB144_52:                             ;   Parent Loop BB144_41 Depth=1
                                        ;     Parent Loop BB144_44 Depth=2
                                        ; =>    This Loop Header: Depth=3
                                        ;         Child Loop BB144_54 Depth 4
	s_cmp_lg_u32 s25, 0
	s_cbranch_scc0 .LBB144_56
; %bb.53:                               ;   in Loop: Header=BB144_52 Depth=3
	s_lshl_b32 s8, s25, 3
	v_mov_b32_e32 v4, s8
	buffer_load_dword v0, v4, s[0:3], 0 offen
	buffer_load_dword v1, v4, s[0:3], 0 offen offset:4
	s_mov_b32 s9, 0
	s_mov_b32 s10, s26
	;; [unrolled: 1-line block ×3, first 2 shown]
.LBB144_54:                             ;   Parent Loop BB144_41 Depth=1
                                        ;     Parent Loop BB144_44 Depth=2
                                        ;       Parent Loop BB144_52 Depth=3
                                        ; =>      This Inner Loop Header: Depth=4
	v_mov_b32_e32 v4, s9
	buffer_load_dword v8, v4, s[0:3], 0 offen offset:4
	buffer_load_dword v9, v4, s[0:3], 0 offen
	v_mov_b32_e32 v4, s10
	ds_read_b64 v[4:5], v4
	s_add_i32 s11, s11, -1
	s_addk_i32 s10, 0xffa0
	s_add_i32 s9, s9, 8
	v_mov_b32_e32 v10, s8
	s_cmp_eq_u32 s11, 0
	s_waitcnt vmcnt(1) lgkmcnt(0)
	v_mul_f32_e32 v11, v5, v8
	v_mul_f32_e32 v8, v4, v8
	s_waitcnt vmcnt(0)
	v_fma_f32 v4, v4, v9, -v11
	v_fmac_f32_e32 v8, v5, v9
	v_sub_f32_e32 v0, v0, v4
	v_sub_f32_e32 v1, v1, v8
	buffer_store_dword v0, v10, s[0:3], 0 offen
	buffer_store_dword v1, v10, s[0:3], 0 offen offset:4
	s_cbranch_scc0 .LBB144_54
; %bb.55:                               ;   in Loop: Header=BB144_52 Depth=3
	s_sub_i32 s10, s6, s25
	s_ashr_i32 s11, s10, 31
	s_mov_b64 s[8:9], s[10:11]
	s_branch .LBB144_51
.LBB144_56:                             ;   in Loop: Header=BB144_52 Depth=3
                                        ; implicit-def: $vgpr0
                                        ; implicit-def: $vgpr1
                                        ; implicit-def: $sgpr10
                                        ; implicit-def: $sgpr8_sgpr9
	s_cbranch_execz .LBB144_51
; %bb.57:                               ;   in Loop: Header=BB144_52 Depth=3
	buffer_load_dword v0, off, s[0:3], 0
	buffer_load_dword v1, off, s[0:3], 0 offset:4
	s_mov_b64 s[8:9], s[6:7]
	s_mov_b32 s10, s6
	s_branch .LBB144_51
.LBB144_58:
	s_endpgm
	.section	.rodata,"a",@progbits
	.p2align	6, 0x0
	.amdhsa_kernel _ZL30rocblas_trsm_small_left_deviceILi12ELi12ELb0E19rocblas_complex_numIfES1_PKS1_PS1_Ev13rocblas_fill_18rocblas_operation_17rocblas_diagonal_iiT3_T4_lilT5_lili
		.amdhsa_group_segment_fixed_size 1152
		.amdhsa_private_segment_fixed_size 112
		.amdhsa_kernarg_size 360
		.amdhsa_user_sgpr_count 6
		.amdhsa_user_sgpr_private_segment_buffer 1
		.amdhsa_user_sgpr_dispatch_ptr 0
		.amdhsa_user_sgpr_queue_ptr 0
		.amdhsa_user_sgpr_kernarg_segment_ptr 1
		.amdhsa_user_sgpr_dispatch_id 0
		.amdhsa_user_sgpr_flat_scratch_init 0
		.amdhsa_user_sgpr_private_segment_size 0
		.amdhsa_uses_dynamic_stack 0
		.amdhsa_system_sgpr_private_segment_wavefront_offset 1
		.amdhsa_system_sgpr_workgroup_id_x 1
		.amdhsa_system_sgpr_workgroup_id_y 0
		.amdhsa_system_sgpr_workgroup_id_z 1
		.amdhsa_system_sgpr_workgroup_info 0
		.amdhsa_system_vgpr_workitem_id 0
		.amdhsa_next_free_vgpr 16
		.amdhsa_next_free_sgpr 32
		.amdhsa_reserve_vcc 1
		.amdhsa_reserve_flat_scratch 0
		.amdhsa_float_round_mode_32 0
		.amdhsa_float_round_mode_16_64 0
		.amdhsa_float_denorm_mode_32 3
		.amdhsa_float_denorm_mode_16_64 3
		.amdhsa_dx10_clamp 1
		.amdhsa_ieee_mode 1
		.amdhsa_fp16_overflow 0
		.amdhsa_exception_fp_ieee_invalid_op 0
		.amdhsa_exception_fp_denorm_src 0
		.amdhsa_exception_fp_ieee_div_zero 0
		.amdhsa_exception_fp_ieee_overflow 0
		.amdhsa_exception_fp_ieee_underflow 0
		.amdhsa_exception_fp_ieee_inexact 0
		.amdhsa_exception_int_div_zero 0
	.end_amdhsa_kernel
	.section	.text._ZL30rocblas_trsm_small_left_deviceILi12ELi12ELb0E19rocblas_complex_numIfES1_PKS1_PS1_Ev13rocblas_fill_18rocblas_operation_17rocblas_diagonal_iiT3_T4_lilT5_lili,"axG",@progbits,_ZL30rocblas_trsm_small_left_deviceILi12ELi12ELb0E19rocblas_complex_numIfES1_PKS1_PS1_Ev13rocblas_fill_18rocblas_operation_17rocblas_diagonal_iiT3_T4_lilT5_lili,comdat
.Lfunc_end144:
	.size	_ZL30rocblas_trsm_small_left_deviceILi12ELi12ELb0E19rocblas_complex_numIfES1_PKS1_PS1_Ev13rocblas_fill_18rocblas_operation_17rocblas_diagonal_iiT3_T4_lilT5_lili, .Lfunc_end144-_ZL30rocblas_trsm_small_left_deviceILi12ELi12ELb0E19rocblas_complex_numIfES1_PKS1_PS1_Ev13rocblas_fill_18rocblas_operation_17rocblas_diagonal_iiT3_T4_lilT5_lili
                                        ; -- End function
	.set _ZL30rocblas_trsm_small_left_deviceILi12ELi12ELb0E19rocblas_complex_numIfES1_PKS1_PS1_Ev13rocblas_fill_18rocblas_operation_17rocblas_diagonal_iiT3_T4_lilT5_lili.num_vgpr, 16
	.set _ZL30rocblas_trsm_small_left_deviceILi12ELi12ELb0E19rocblas_complex_numIfES1_PKS1_PS1_Ev13rocblas_fill_18rocblas_operation_17rocblas_diagonal_iiT3_T4_lilT5_lili.num_agpr, 0
	.set _ZL30rocblas_trsm_small_left_deviceILi12ELi12ELb0E19rocblas_complex_numIfES1_PKS1_PS1_Ev13rocblas_fill_18rocblas_operation_17rocblas_diagonal_iiT3_T4_lilT5_lili.numbered_sgpr, 32
	.set _ZL30rocblas_trsm_small_left_deviceILi12ELi12ELb0E19rocblas_complex_numIfES1_PKS1_PS1_Ev13rocblas_fill_18rocblas_operation_17rocblas_diagonal_iiT3_T4_lilT5_lili.num_named_barrier, 0
	.set _ZL30rocblas_trsm_small_left_deviceILi12ELi12ELb0E19rocblas_complex_numIfES1_PKS1_PS1_Ev13rocblas_fill_18rocblas_operation_17rocblas_diagonal_iiT3_T4_lilT5_lili.private_seg_size, 112
	.set _ZL30rocblas_trsm_small_left_deviceILi12ELi12ELb0E19rocblas_complex_numIfES1_PKS1_PS1_Ev13rocblas_fill_18rocblas_operation_17rocblas_diagonal_iiT3_T4_lilT5_lili.uses_vcc, 1
	.set _ZL30rocblas_trsm_small_left_deviceILi12ELi12ELb0E19rocblas_complex_numIfES1_PKS1_PS1_Ev13rocblas_fill_18rocblas_operation_17rocblas_diagonal_iiT3_T4_lilT5_lili.uses_flat_scratch, 0
	.set _ZL30rocblas_trsm_small_left_deviceILi12ELi12ELb0E19rocblas_complex_numIfES1_PKS1_PS1_Ev13rocblas_fill_18rocblas_operation_17rocblas_diagonal_iiT3_T4_lilT5_lili.has_dyn_sized_stack, 0
	.set _ZL30rocblas_trsm_small_left_deviceILi12ELi12ELb0E19rocblas_complex_numIfES1_PKS1_PS1_Ev13rocblas_fill_18rocblas_operation_17rocblas_diagonal_iiT3_T4_lilT5_lili.has_recursion, 0
	.set _ZL30rocblas_trsm_small_left_deviceILi12ELi12ELb0E19rocblas_complex_numIfES1_PKS1_PS1_Ev13rocblas_fill_18rocblas_operation_17rocblas_diagonal_iiT3_T4_lilT5_lili.has_indirect_call, 0
	.section	.AMDGPU.csdata,"",@progbits
; Kernel info:
; codeLenInByte = 2544
; TotalNumSgprs: 36
; NumVgprs: 16
; ScratchSize: 112
; MemoryBound: 0
; FloatMode: 240
; IeeeMode: 1
; LDSByteSize: 1152 bytes/workgroup (compile time only)
; SGPRBlocks: 4
; VGPRBlocks: 3
; NumSGPRsForWavesPerEU: 36
; NumVGPRsForWavesPerEU: 16
; Occupancy: 10
; WaveLimiterHint : 0
; COMPUTE_PGM_RSRC2:SCRATCH_EN: 1
; COMPUTE_PGM_RSRC2:USER_SGPR: 6
; COMPUTE_PGM_RSRC2:TRAP_HANDLER: 0
; COMPUTE_PGM_RSRC2:TGID_X_EN: 1
; COMPUTE_PGM_RSRC2:TGID_Y_EN: 0
; COMPUTE_PGM_RSRC2:TGID_Z_EN: 1
; COMPUTE_PGM_RSRC2:TIDIG_COMP_CNT: 0
	.section	.text._ZL38rocblas_trsm_small_left_device_sharedBILi12ELi12ELb1E19rocblas_complex_numIfES1_PKS1_PS1_Ev13rocblas_fill_18rocblas_operation_17rocblas_diagonal_iiT3_T4_lilT5_lili,"axG",@progbits,_ZL38rocblas_trsm_small_left_device_sharedBILi12ELi12ELb1E19rocblas_complex_numIfES1_PKS1_PS1_Ev13rocblas_fill_18rocblas_operation_17rocblas_diagonal_iiT3_T4_lilT5_lili,comdat
	.globl	_ZL38rocblas_trsm_small_left_device_sharedBILi12ELi12ELb1E19rocblas_complex_numIfES1_PKS1_PS1_Ev13rocblas_fill_18rocblas_operation_17rocblas_diagonal_iiT3_T4_lilT5_lili ; -- Begin function _ZL38rocblas_trsm_small_left_device_sharedBILi12ELi12ELb1E19rocblas_complex_numIfES1_PKS1_PS1_Ev13rocblas_fill_18rocblas_operation_17rocblas_diagonal_iiT3_T4_lilT5_lili
	.p2align	8
	.type	_ZL38rocblas_trsm_small_left_device_sharedBILi12ELi12ELb1E19rocblas_complex_numIfES1_PKS1_PS1_Ev13rocblas_fill_18rocblas_operation_17rocblas_diagonal_iiT3_T4_lilT5_lili,@function
_ZL38rocblas_trsm_small_left_device_sharedBILi12ELi12ELb1E19rocblas_complex_numIfES1_PKS1_PS1_Ev13rocblas_fill_18rocblas_operation_17rocblas_diagonal_iiT3_T4_lilT5_lili: ; @_ZL38rocblas_trsm_small_left_device_sharedBILi12ELi12ELb1E19rocblas_complex_numIfES1_PKS1_PS1_Ev13rocblas_fill_18rocblas_operation_17rocblas_diagonal_iiT3_T4_lilT5_lili
; %bb.0:
	s_add_u32 s0, s0, s8
	s_load_dwordx4 s[12:15], s[4:5], 0x4
	s_load_dwordx2 s[18:19], s[4:5], 0x14
	s_load_dwordx4 s[8:11], s[4:5], 0x38
	s_load_dwordx2 s[16:17], s[4:5], 0x48
	s_load_dword s27, s[4:5], 0x68
	s_addc_u32 s1, s1, 0
	s_waitcnt lgkmcnt(0)
	s_min_i32 s26, s14, 12
	v_cmp_gt_i32_e32 vcc, s26, v0
	s_and_saveexec_b64 s[20:21], vcc
	s_cbranch_execz .LBB145_15
; %bb.1:
	s_load_dword s24, s[4:5], 0x30
	s_load_dwordx4 s[28:31], s[4:5], 0x20
	s_mul_i32 s9, s9, s7
	s_mul_hi_u32 s33, s8, s7
	s_mul_i32 s8, s8, s7
	s_waitcnt lgkmcnt(0)
	s_ashr_i32 s25, s24, 31
	s_cmpk_lg_i32 s12, 0x71
	s_cselect_b64 s[22:23], -1, 0
	s_add_i32 s9, s33, s9
	s_lshl_b64 s[8:9], s[8:9], 3
	s_lshl_b64 s[30:31], s[30:31], 3
	s_add_u32 s8, s8, s30
	s_addc_u32 s9, s9, s31
	s_add_u32 s8, s28, s8
	v_lshlrev_b32_e32 v5, 3, v0
	s_addc_u32 s9, s29, s9
	v_mov_b32_e32 v1, s9
	v_add_co_u32_e32 v2, vcc, s8, v5
	v_addc_co_u32_e32 v3, vcc, 0, v1, vcc
	v_add_co_u32_e32 v1, vcc, 4, v2
	s_lshl_b64 s[8:9], s[24:25], 3
	v_addc_co_u32_e32 v2, vcc, 0, v3, vcc
	v_mov_b32_e32 v6, s9
	v_mov_b32_e32 v7, v5
	s_mov_b32 s9, s26
	s_branch .LBB145_3
.LBB145_2:                              ;   in Loop: Header=BB145_3 Depth=1
	global_load_dword v3, v[1:2], off offset:-4
	s_add_i32 s9, s9, -1
	v_add_co_u32_e32 v1, vcc, s8, v1
	v_addc_co_u32_e32 v2, vcc, v2, v6, vcc
	s_cmp_eq_u32 s9, 0
	s_waitcnt vmcnt(0)
	ds_write_b64 v7, v[3:4]
	v_add_u32_e32 v7, 0x60, v7
	s_cbranch_scc1 .LBB145_7
.LBB145_3:                              ; =>This Inner Loop Header: Depth=1
	s_mov_b64 s[24:25], -1
	s_and_b64 vcc, exec, s[22:23]
                                        ; implicit-def: $vgpr4
	s_cbranch_vccz .LBB145_5
; %bb.4:                                ;   in Loop: Header=BB145_3 Depth=1
	global_load_dword v4, v[1:2], off
	s_mov_b64 s[24:25], 0
.LBB145_5:                              ;   in Loop: Header=BB145_3 Depth=1
	s_andn2_b64 vcc, exec, s[24:25]
	s_cbranch_vccnz .LBB145_2
; %bb.6:                                ;   in Loop: Header=BB145_3 Depth=1
	global_load_dword v3, v[1:2], off
	s_waitcnt vmcnt(0)
	v_xor_b32_e32 v4, 0x80000000, v3
	s_branch .LBB145_2
.LBB145_7:
	v_mul_u32_u24_e32 v1, 0x60, v0
	s_cmpk_lg_i32 s13, 0x84
	s_mov_b64 s[8:9], -1
	v_add_u32_e32 v5, v5, v1
	s_cbranch_scc0 .LBB145_13
; %bb.8:
	ds_read_b64 v[1:2], v5
                                        ; implicit-def: $vgpr3
	s_waitcnt lgkmcnt(0)
	v_cmp_ngt_f32_e64 s[8:9], |v1|, |v2|
	s_and_saveexec_b64 s[22:23], s[8:9]
	s_xor_b64 s[8:9], exec, s[22:23]
	s_cbranch_execz .LBB145_10
; %bb.9:
	v_div_scale_f32 v3, s[22:23], v2, v2, v1
	v_div_scale_f32 v4, vcc, v1, v2, v1
	v_rcp_f32_e32 v6, v3
	v_fma_f32 v7, -v3, v6, 1.0
	v_fmac_f32_e32 v6, v7, v6
	v_mul_f32_e32 v7, v4, v6
	v_fma_f32 v8, -v3, v7, v4
	v_fmac_f32_e32 v7, v8, v6
	v_fma_f32 v3, -v3, v7, v4
	v_div_fmas_f32 v3, v3, v6, v7
	v_div_fixup_f32 v3, v3, v2, v1
	v_fmac_f32_e32 v2, v1, v3
	v_div_scale_f32 v1, s[22:23], v2, v2, 1.0
	v_div_scale_f32 v4, vcc, 1.0, v2, 1.0
	v_rcp_f32_e32 v6, v1
	v_fma_f32 v7, -v1, v6, 1.0
	v_fmac_f32_e32 v6, v7, v6
	v_mul_f32_e32 v7, v4, v6
	v_fma_f32 v8, -v1, v7, v4
	v_fmac_f32_e32 v7, v8, v6
	v_fma_f32 v1, -v1, v7, v4
	v_div_fmas_f32 v1, v1, v6, v7
	v_add_f32_e32 v4, 0, v3
	v_fma_f32 v6, v3, 0, -1.0
	v_div_fixup_f32 v1, v1, v2, 1.0
	v_mul_f32_e32 v3, v4, v1
	v_mul_f32_e32 v4, v6, v1
                                        ; implicit-def: $vgpr1_vgpr2
.LBB145_10:
	s_andn2_saveexec_b64 s[8:9], s[8:9]
	s_cbranch_execz .LBB145_12
; %bb.11:
	v_div_scale_f32 v3, s[22:23], v1, v1, v2
	v_div_scale_f32 v4, vcc, v2, v1, v2
	v_rcp_f32_e32 v6, v3
	v_fma_f32 v7, -v3, v6, 1.0
	v_fmac_f32_e32 v6, v7, v6
	v_mul_f32_e32 v7, v4, v6
	v_fma_f32 v8, -v3, v7, v4
	v_fmac_f32_e32 v7, v8, v6
	v_fma_f32 v3, -v3, v7, v4
	v_div_fmas_f32 v3, v3, v6, v7
	v_div_fixup_f32 v4, v3, v1, v2
	v_fmac_f32_e32 v1, v2, v4
	v_div_scale_f32 v2, s[22:23], v1, v1, 1.0
	v_div_scale_f32 v3, vcc, 1.0, v1, 1.0
	v_rcp_f32_e32 v6, v2
	v_fma_f32 v7, -v2, v6, 1.0
	v_fmac_f32_e32 v6, v7, v6
	v_mul_f32_e32 v7, v3, v6
	v_fma_f32 v8, -v2, v7, v3
	v_fmac_f32_e32 v7, v8, v6
	v_fma_f32 v2, -v2, v7, v3
	v_div_fmas_f32 v2, v2, v6, v7
	v_fma_f32 v3, v4, 0, 1.0
	v_div_fixup_f32 v1, v2, v1, 1.0
	v_mul_f32_e32 v3, v3, v1
	v_mul_f32_e64 v4, -v4, v1
.LBB145_12:
	s_or_b64 exec, exec, s[8:9]
	s_mov_b64 s[8:9], 0
	ds_write_b64 v5, v[3:4]
.LBB145_13:
	s_and_b64 vcc, exec, s[8:9]
	s_cbranch_vccz .LBB145_15
; %bb.14:
	v_mov_b32_e32 v1, 1.0
	v_mov_b32_e32 v2, 0
	ds_write_b64 v5, v[1:2]
.LBB145_15:
	s_or_b64 exec, exec, s[20:21]
	s_load_dword s22, s[4:5], 0x50
	s_load_dwordx2 s[8:9], s[4:5], 0x58
	s_add_i32 s27, s27, -1
	s_waitcnt lgkmcnt(0)
	s_ashr_i32 s13, s22, 31
	s_mul_i32 s4, s9, s7
	s_mul_hi_u32 s5, s8, s7
	s_add_i32 s9, s5, s4
	s_mul_i32 s4, s6, -12
	s_add_i32 s4, s15, s4
	s_cmp_ge_u32 s6, s27
	s_mul_i32 s6, s6, 12
	s_mul_i32 s8, s8, s7
	s_cselect_b32 s4, s4, 12
	s_ashr_i32 s7, s6, 31
	s_cmp_gt_i32 s14, 0
	v_cmp_gt_i32_e64 s[4:5], s4, v0
	s_cselect_b64 s[14:15], -1, 0
	s_and_b64 s[24:25], s[4:5], s[14:15]
	s_and_saveexec_b64 s[20:21], s[24:25]
	s_cbranch_execz .LBB145_18
; %bb.16:
	v_lshlrev_b32_e32 v3, 3, v0
	s_lshl_b64 s[28:29], s[6:7], 3
	s_lshl_b64 s[24:25], s[8:9], 3
	v_mov_b32_e32 v1, s29
	v_add_co_u32_e32 v4, vcc, s28, v3
	s_lshl_b64 s[28:29], s[16:17], 3
	s_add_u32 s7, s10, s28
	s_addc_u32 s23, s11, s29
	s_add_u32 s24, s7, s24
	v_addc_co_u32_e32 v5, vcc, 0, v1, vcc
	s_addc_u32 s25, s23, s25
	v_mov_b32_e32 v1, s24
	v_mov_b32_e32 v2, s25
	v_mad_u64_u32 v[1:2], s[24:25], v4, s22, v[1:2]
	v_mul_lo_u32 v4, v4, s13
	v_mul_lo_u32 v5, v5, s22
	v_add_co_u32_e32 v1, vcc, 4, v1
	v_or_b32_e32 v3, 0x480, v3
	v_add3_u32 v2, v5, v2, v4
	v_addc_co_u32_e32 v2, vcc, 0, v2, vcc
	s_mov_b32 s7, s26
.LBB145_17:                             ; =>This Inner Loop Header: Depth=1
	global_load_dwordx2 v[4:5], v[1:2], off offset:-4
	s_add_i32 s7, s7, -1
	v_add_co_u32_e32 v1, vcc, 8, v1
	v_addc_co_u32_e32 v2, vcc, 0, v2, vcc
	s_cmp_lg_u32 s7, 0
	s_waitcnt vmcnt(0)
	v_mul_f32_e32 v7, s19, v5
	v_mul_f32_e32 v6, s18, v5
	v_fma_f32 v5, s18, v4, -v7
	v_fmac_f32_e32 v6, s19, v4
	ds_write_b64 v3, v[5:6]
	v_add_u32_e32 v3, 0x60, v3
	s_cbranch_scc1 .LBB145_17
.LBB145_18:
	s_or_b64 exec, exec, s[20:21]
	v_mov_b32_e32 v1, 0x480
	s_cmpk_eq_i32 s12, 0x6f
	v_lshl_or_b32 v3, v0, 3, v1
	s_mov_b64 s[12:13], -1
	s_waitcnt lgkmcnt(0)
	; wave barrier
	s_cbranch_scc1 .LBB145_39
; %bb.19:
	s_add_i32 s7, s26, -1
	s_lshl_b32 s20, s26, 3
	s_mov_b32 s13, 0
	s_add_i32 s20, s20, -8
	s_mov_b32 s12, s13
	s_mov_b32 s21, s7
	s_branch .LBB145_21
.LBB145_20:                             ;   in Loop: Header=BB145_21 Depth=1
	s_cmp_lt_i32 s21, 0
	s_cselect_b64 s[18:19], -1, 0
	s_add_i32 s12, s12, 1
	s_cmp_eq_u32 s12, 3
	s_cselect_b64 s[24:25], -1, 0
	s_or_b64 s[18:19], s[18:19], s[24:25]
	s_andn2_b64 vcc, exec, s[18:19]
	s_cbranch_vccz .LBB145_38
.LBB145_21:                             ; =>This Loop Header: Depth=1
                                        ;     Child Loop BB145_24 Depth 2
                                        ;       Child Loop BB145_25 Depth 3
                                        ;       Child Loop BB145_27 Depth 3
                                        ;         Child Loop BB145_28 Depth 4
                                        ;       Child Loop BB145_32 Depth 3
                                        ;         Child Loop BB145_34 Depth 4
	s_lshl_b64 s[18:19], s[12:13], 2
	s_getpc_b64 s[24:25]
	s_add_u32 s24, s24, __const._ZL38rocblas_trsm_small_left_device_sharedBILi12ELi12ELb1E19rocblas_complex_numIfES1_PKS1_PS1_Ev13rocblas_fill_18rocblas_operation_17rocblas_diagonal_iiT3_T4_lilT5_lili.step_sizes@rel32@lo+4
	s_addc_u32 s25, s25, __const._ZL38rocblas_trsm_small_left_device_sharedBILi12ELi12ELb1E19rocblas_complex_numIfES1_PKS1_PS1_Ev13rocblas_fill_18rocblas_operation_17rocblas_diagonal_iiT3_T4_lilT5_lili.step_sizes@rel32@hi+12
	s_add_u32 s18, s24, s18
	s_addc_u32 s19, s25, s19
	s_load_dword s23, s[18:19], 0x0
	s_waitcnt lgkmcnt(0)
	s_add_i32 s24, s23, -1
	s_cmp_lt_i32 s21, s24
	s_cbranch_scc1 .LBB145_20
; %bb.22:                               ;   in Loop: Header=BB145_21 Depth=1
	s_mul_i32 s18, s21, 0x60
	s_max_i32 s25, s23, 1
	v_add_u32_e32 v4, s18, v3
	s_mul_i32 s27, s23, 0xffffffa0
	s_add_i32 s28, s20, s18
	s_mul_i32 s29, s21, 0x68
	s_mul_i32 s30, s23, 0xffffff98
	s_branch .LBB145_24
.LBB145_23:                             ;   in Loop: Header=BB145_24 Depth=2
	s_sub_i32 s21, s21, s23
	s_add_i32 s28, s28, s27
	s_add_i32 s29, s29, s30
	s_cmp_lt_i32 s21, s24
	v_add_u32_e32 v4, s27, v4
	s_cbranch_scc1 .LBB145_20
.LBB145_24:                             ;   Parent Loop BB145_21 Depth=1
                                        ; =>  This Loop Header: Depth=2
                                        ;       Child Loop BB145_25 Depth 3
                                        ;       Child Loop BB145_27 Depth 3
                                        ;         Child Loop BB145_28 Depth 4
                                        ;       Child Loop BB145_32 Depth 3
                                        ;         Child Loop BB145_34 Depth 4
	s_mov_b32 s18, 0
	v_mov_b32_e32 v1, v4
	s_mov_b32 s19, s25
.LBB145_25:                             ;   Parent Loop BB145_21 Depth=1
                                        ;     Parent Loop BB145_24 Depth=2
                                        ; =>    This Inner Loop Header: Depth=3
	ds_read_b64 v[5:6], v1
	v_mov_b32_e32 v2, s18
	s_add_i32 s19, s19, -1
	s_add_i32 s18, s18, 8
	v_add_u32_e32 v1, 0xffffffa0, v1
	s_cmp_eq_u32 s19, 0
	s_waitcnt lgkmcnt(0)
	buffer_store_dword v6, v2, s[0:3], 0 offen offset:4
	buffer_store_dword v5, v2, s[0:3], 0 offen
	s_cbranch_scc0 .LBB145_25
; %bb.26:                               ;   in Loop: Header=BB145_24 Depth=2
	s_cmp_le_i32 s7, s21
	s_mov_b32 s18, s28
	s_mov_b32 s19, s7
	s_cbranch_scc1 .LBB145_30
.LBB145_27:                             ;   Parent Loop BB145_21 Depth=1
                                        ;     Parent Loop BB145_24 Depth=2
                                        ; =>    This Loop Header: Depth=3
                                        ;         Child Loop BB145_28 Depth 4
	s_mul_i32 s31, s19, 0x60
	v_add_u32_e32 v1, s31, v3
	ds_read_b64 v[1:2], v1
	s_mov_b32 s31, 0
	s_mov_b32 s33, s18
	s_mov_b32 s34, s25
.LBB145_28:                             ;   Parent Loop BB145_21 Depth=1
                                        ;     Parent Loop BB145_24 Depth=2
                                        ;       Parent Loop BB145_27 Depth=3
                                        ; =>      This Inner Loop Header: Depth=4
	v_mov_b32_e32 v7, s31
	buffer_load_dword v8, v7, s[0:3], 0 offen
	buffer_load_dword v9, v7, s[0:3], 0 offen offset:4
	v_mov_b32_e32 v5, s33
	ds_read_b64 v[5:6], v5
	s_add_i32 s34, s34, -1
	s_addk_i32 s33, 0xffa0
	s_add_i32 s31, s31, 8
	s_cmp_eq_u32 s34, 0
	s_waitcnt lgkmcnt(0)
	v_mul_f32_e32 v10, v6, v2
	v_mul_f32_e32 v6, v6, v1
	v_fma_f32 v10, v5, v1, -v10
	v_fmac_f32_e32 v6, v5, v2
	s_waitcnt vmcnt(1)
	v_sub_f32_e32 v5, v8, v10
	s_waitcnt vmcnt(0)
	v_sub_f32_e32 v6, v9, v6
	buffer_store_dword v5, v7, s[0:3], 0 offen
	buffer_store_dword v6, v7, s[0:3], 0 offen offset:4
	s_cbranch_scc0 .LBB145_28
; %bb.29:                               ;   in Loop: Header=BB145_27 Depth=3
	s_add_i32 s19, s19, -1
	s_add_i32 s18, s18, -8
	s_cmp_le_i32 s19, s21
	s_cbranch_scc0 .LBB145_27
.LBB145_30:                             ;   in Loop: Header=BB145_24 Depth=2
	s_mul_i32 s31, s21, 0x60
	s_mov_b32 s33, 0
	s_mov_b32 s34, s29
	s_branch .LBB145_32
.LBB145_31:                             ;   in Loop: Header=BB145_32 Depth=3
	s_mul_i32 s18, s36, 0x68
	v_mov_b32_e32 v5, s18
	ds_read_b64 v[5:6], v5
	s_lshl_b32 s18, s33, 3
	s_add_i32 s33, s33, 1
	s_addk_i32 s34, 0xffa0
	v_mov_b32_e32 v9, s18
	s_waitcnt vmcnt(0) lgkmcnt(0)
	v_mul_f32_e32 v7, v6, v2
	v_mul_f32_e32 v8, v5, v2
	v_fma_f32 v7, v5, v1, -v7
	v_fmac_f32_e32 v8, v6, v1
	v_add_u32_e32 v1, s35, v3
	s_cmp_eq_u32 s33, s25
	buffer_store_dword v7, v9, s[0:3], 0 offen
	buffer_store_dword v8, v9, s[0:3], 0 offen offset:4
	ds_write_b64 v1, v[7:8]
	s_cbranch_scc1 .LBB145_23
.LBB145_32:                             ;   Parent Loop BB145_21 Depth=1
                                        ;     Parent Loop BB145_24 Depth=2
                                        ; =>    This Loop Header: Depth=3
                                        ;         Child Loop BB145_34 Depth 4
	s_cmp_lg_u32 s33, 0
	s_cbranch_scc0 .LBB145_36
; %bb.33:                               ;   in Loop: Header=BB145_32 Depth=3
	s_lshl_b32 s18, s33, 3
	v_mov_b32_e32 v5, s18
	buffer_load_dword v1, v5, s[0:3], 0 offen
	buffer_load_dword v2, v5, s[0:3], 0 offen offset:4
	s_sub_i32 s36, s21, s33
	s_mul_i32 s35, s36, 0x60
	s_mov_b32 s18, 0
	s_mov_b32 s19, s34
	;; [unrolled: 1-line block ×3, first 2 shown]
.LBB145_34:                             ;   Parent Loop BB145_21 Depth=1
                                        ;     Parent Loop BB145_24 Depth=2
                                        ;       Parent Loop BB145_32 Depth=3
                                        ; =>      This Inner Loop Header: Depth=4
	v_mov_b32_e32 v6, s18
	buffer_load_dword v8, v6, s[0:3], 0 offen offset:4
	buffer_load_dword v9, v6, s[0:3], 0 offen
	v_mov_b32_e32 v6, s19
	ds_read_b64 v[6:7], v6
	s_add_i32 s37, s37, -1
	s_add_i32 s19, s19, -8
	s_add_i32 s18, s18, 8
	s_cmp_eq_u32 s37, 0
	s_waitcnt vmcnt(1) lgkmcnt(0)
	v_mul_f32_e32 v10, v7, v8
	v_mul_f32_e32 v8, v6, v8
	s_waitcnt vmcnt(0)
	v_fma_f32 v6, v6, v9, -v10
	v_fmac_f32_e32 v8, v7, v9
	v_sub_f32_e32 v1, v1, v6
	v_sub_f32_e32 v2, v2, v8
	buffer_store_dword v1, v5, s[0:3], 0 offen
	buffer_store_dword v2, v5, s[0:3], 0 offen offset:4
	s_cbranch_scc0 .LBB145_34
; %bb.35:                               ;   in Loop: Header=BB145_32 Depth=3
	s_branch .LBB145_31
.LBB145_36:                             ;   in Loop: Header=BB145_32 Depth=3
                                        ; implicit-def: $vgpr1
                                        ; implicit-def: $vgpr2
                                        ; implicit-def: $sgpr36
                                        ; implicit-def: $sgpr35
	s_cbranch_execz .LBB145_31
; %bb.37:                               ;   in Loop: Header=BB145_32 Depth=3
	buffer_load_dword v1, off, s[0:3], 0
	buffer_load_dword v2, off, s[0:3], 0 offset:4
	s_mov_b32 s35, s31
	s_mov_b32 s36, s21
	s_branch .LBB145_31
.LBB145_38:
	s_mov_b64 s[12:13], 0
.LBB145_39:
	s_and_b64 vcc, exec, s[12:13]
	s_cbranch_vccz .LBB145_60
; %bb.40:
	v_mov_b32_e32 v1, 0x480
	s_mov_b32 s13, 0
	v_lshl_or_b32 v4, v0, 3, v1
	s_mov_b32 s12, s13
	s_mov_b32 s7, s13
	s_branch .LBB145_42
.LBB145_41:                             ;   in Loop: Header=BB145_42 Depth=1
	s_cmp_ge_i32 s7, s26
	s_cselect_b64 s[18:19], -1, 0
	s_add_i32 s12, s12, 1
	s_cmp_eq_u32 s12, 3
	s_cselect_b64 s[20:21], -1, 0
	s_or_b64 s[18:19], s[18:19], s[20:21]
	s_and_b64 vcc, exec, s[18:19]
	s_cbranch_vccnz .LBB145_60
.LBB145_42:                             ; =>This Loop Header: Depth=1
                                        ;     Child Loop BB145_45 Depth 2
                                        ;       Child Loop BB145_46 Depth 3
                                        ;       Child Loop BB145_49 Depth 3
                                        ;         Child Loop BB145_50 Depth 4
                                        ;       Child Loop BB145_54 Depth 3
                                        ;         Child Loop BB145_56 Depth 4
	s_lshl_b64 s[18:19], s[12:13], 2
	s_getpc_b64 s[20:21]
	s_add_u32 s20, s20, __const._ZL38rocblas_trsm_small_left_device_sharedBILi12ELi12ELb1E19rocblas_complex_numIfES1_PKS1_PS1_Ev13rocblas_fill_18rocblas_operation_17rocblas_diagonal_iiT3_T4_lilT5_lili.step_sizes@rel32@lo+4
	s_addc_u32 s21, s21, __const._ZL38rocblas_trsm_small_left_device_sharedBILi12ELi12ELb1E19rocblas_complex_numIfES1_PKS1_PS1_Ev13rocblas_fill_18rocblas_operation_17rocblas_diagonal_iiT3_T4_lilT5_lili.step_sizes@rel32@hi+12
	s_add_u32 s18, s20, s18
	s_addc_u32 s19, s21, s19
	s_load_dword s20, s[18:19], 0x0
	s_waitcnt lgkmcnt(0)
	s_add_i32 s21, s20, -1
	s_add_i32 s18, s21, s7
	s_cmp_ge_i32 s18, s26
	s_cbranch_scc1 .LBB145_41
; %bb.43:                               ;   in Loop: Header=BB145_42 Depth=1
	s_mul_i32 s18, s7, 0x60
	s_max_i32 s23, s20, 1
	v_add_u32_e32 v5, s18, v4
	s_mul_i32 s24, s20, 0x60
	s_lshl_b32 s25, s7, 3
	s_lshl_b32 s27, s20, 3
	s_mul_i32 s28, s7, 0x68
	s_mul_i32 s29, s20, 0x68
	s_branch .LBB145_45
.LBB145_44:                             ;   in Loop: Header=BB145_45 Depth=2
	s_add_i32 s7, s7, s20
	s_add_i32 s18, s21, s7
	;; [unrolled: 1-line block ×4, first 2 shown]
	s_cmp_ge_i32 s18, s26
	v_add_u32_e32 v5, s24, v5
	s_cbranch_scc1 .LBB145_41
.LBB145_45:                             ;   Parent Loop BB145_42 Depth=1
                                        ; =>  This Loop Header: Depth=2
                                        ;       Child Loop BB145_46 Depth 3
                                        ;       Child Loop BB145_49 Depth 3
                                        ;         Child Loop BB145_50 Depth 4
                                        ;       Child Loop BB145_54 Depth 3
                                        ;         Child Loop BB145_56 Depth 4
	s_mov_b32 s18, 0
	v_mov_b32_e32 v1, v5
	s_mov_b32 s19, s23
.LBB145_46:                             ;   Parent Loop BB145_42 Depth=1
                                        ;     Parent Loop BB145_45 Depth=2
                                        ; =>    This Inner Loop Header: Depth=3
	ds_read_b64 v[6:7], v1
	v_mov_b32_e32 v2, s18
	s_add_i32 s19, s19, -1
	s_add_i32 s18, s18, 8
	v_add_u32_e32 v1, 0x60, v1
	s_cmp_eq_u32 s19, 0
	s_waitcnt lgkmcnt(0)
	buffer_store_dword v7, v2, s[0:3], 0 offen offset:4
	buffer_store_dword v6, v2, s[0:3], 0 offen
	s_cbranch_scc0 .LBB145_46
; %bb.47:                               ;   in Loop: Header=BB145_45 Depth=2
	s_cmp_lt_i32 s7, 1
	s_cbranch_scc1 .LBB145_52
; %bb.48:                               ;   in Loop: Header=BB145_45 Depth=2
	s_mov_b32 s18, 0
	s_mov_b32 s19, s25
.LBB145_49:                             ;   Parent Loop BB145_42 Depth=1
                                        ;     Parent Loop BB145_45 Depth=2
                                        ; =>    This Loop Header: Depth=3
                                        ;         Child Loop BB145_50 Depth 4
	s_mul_i32 s30, s18, 0x60
	v_add_u32_e32 v1, s30, v3
	ds_read_b64 v[1:2], v1
	s_mov_b32 s30, 0
	s_mov_b32 s31, s19
	;; [unrolled: 1-line block ×3, first 2 shown]
.LBB145_50:                             ;   Parent Loop BB145_42 Depth=1
                                        ;     Parent Loop BB145_45 Depth=2
                                        ;       Parent Loop BB145_49 Depth=3
                                        ; =>      This Inner Loop Header: Depth=4
	v_mov_b32_e32 v8, s30
	buffer_load_dword v9, v8, s[0:3], 0 offen
	buffer_load_dword v10, v8, s[0:3], 0 offen offset:4
	v_mov_b32_e32 v6, s31
	ds_read_b64 v[6:7], v6
	s_add_i32 s33, s33, -1
	s_add_i32 s31, s31, 8
	s_add_i32 s30, s30, 8
	s_cmp_eq_u32 s33, 0
	s_waitcnt lgkmcnt(0)
	v_mul_f32_e32 v11, v7, v2
	v_mul_f32_e32 v7, v7, v1
	v_fma_f32 v11, v6, v1, -v11
	v_fmac_f32_e32 v7, v6, v2
	s_waitcnt vmcnt(1)
	v_sub_f32_e32 v6, v9, v11
	s_waitcnt vmcnt(0)
	v_sub_f32_e32 v7, v10, v7
	buffer_store_dword v6, v8, s[0:3], 0 offen
	buffer_store_dword v7, v8, s[0:3], 0 offen offset:4
	s_cbranch_scc0 .LBB145_50
; %bb.51:                               ;   in Loop: Header=BB145_49 Depth=3
	s_add_i32 s18, s18, 1
	s_addk_i32 s19, 0x60
	s_cmp_eq_u32 s18, s7
	s_cbranch_scc0 .LBB145_49
.LBB145_52:                             ;   in Loop: Header=BB145_45 Depth=2
	s_mov_b32 s30, 0
	s_mov_b32 s31, s28
	s_branch .LBB145_54
.LBB145_53:                             ;   in Loop: Header=BB145_54 Depth=3
	s_add_i32 s18, s30, s7
	s_mul_i32 s19, s18, 0x68
	v_mov_b32_e32 v6, s19
	ds_read_b64 v[6:7], v6
	s_lshl_b32 s19, s30, 3
	s_mulk_i32 s18, 0x60
	s_add_i32 s30, s30, 1
	s_add_i32 s31, s31, 8
	s_waitcnt vmcnt(0) lgkmcnt(0)
	v_mul_f32_e32 v8, v7, v2
	v_mul_f32_e32 v9, v6, v2
	v_mov_b32_e32 v10, s19
	v_fma_f32 v8, v6, v1, -v8
	v_fmac_f32_e32 v9, v7, v1
	v_add_u32_e32 v1, s18, v3
	s_cmp_eq_u32 s30, s23
	buffer_store_dword v8, v10, s[0:3], 0 offen
	buffer_store_dword v9, v10, s[0:3], 0 offen offset:4
	ds_write_b64 v1, v[8:9]
	s_cbranch_scc1 .LBB145_44
.LBB145_54:                             ;   Parent Loop BB145_42 Depth=1
                                        ;     Parent Loop BB145_45 Depth=2
                                        ; =>    This Loop Header: Depth=3
                                        ;         Child Loop BB145_56 Depth 4
	s_cmp_lg_u32 s30, 0
	s_cbranch_scc0 .LBB145_58
; %bb.55:                               ;   in Loop: Header=BB145_54 Depth=3
	s_lshl_b32 s18, s30, 3
	v_mov_b32_e32 v6, s18
	buffer_load_dword v1, v6, s[0:3], 0 offen
	buffer_load_dword v2, v6, s[0:3], 0 offen offset:4
	s_mov_b32 s18, 0
	s_mov_b32 s19, s31
	;; [unrolled: 1-line block ×3, first 2 shown]
.LBB145_56:                             ;   Parent Loop BB145_42 Depth=1
                                        ;     Parent Loop BB145_45 Depth=2
                                        ;       Parent Loop BB145_54 Depth=3
                                        ; =>      This Inner Loop Header: Depth=4
	v_mov_b32_e32 v7, s18
	buffer_load_dword v9, v7, s[0:3], 0 offen offset:4
	buffer_load_dword v10, v7, s[0:3], 0 offen
	v_mov_b32_e32 v7, s19
	ds_read_b64 v[7:8], v7
	s_add_i32 s33, s33, -1
	s_addk_i32 s19, 0x60
	s_add_i32 s18, s18, 8
	s_cmp_eq_u32 s33, 0
	s_waitcnt vmcnt(1) lgkmcnt(0)
	v_mul_f32_e32 v11, v8, v9
	v_mul_f32_e32 v9, v7, v9
	s_waitcnt vmcnt(0)
	v_fma_f32 v7, v7, v10, -v11
	v_fmac_f32_e32 v9, v8, v10
	v_sub_f32_e32 v1, v1, v7
	v_sub_f32_e32 v2, v2, v9
	buffer_store_dword v1, v6, s[0:3], 0 offen
	buffer_store_dword v2, v6, s[0:3], 0 offen offset:4
	s_cbranch_scc0 .LBB145_56
; %bb.57:                               ;   in Loop: Header=BB145_54 Depth=3
	s_branch .LBB145_53
.LBB145_58:                             ;   in Loop: Header=BB145_54 Depth=3
                                        ; implicit-def: $vgpr1
                                        ; implicit-def: $vgpr2
	s_cbranch_execz .LBB145_53
; %bb.59:                               ;   in Loop: Header=BB145_54 Depth=3
	buffer_load_dword v1, off, s[0:3], 0
	buffer_load_dword v2, off, s[0:3], 0 offset:4
	s_branch .LBB145_53
.LBB145_60:
	s_waitcnt lgkmcnt(0)
	; wave barrier
	s_and_saveexec_b64 s[12:13], s[4:5]
	s_cbranch_execz .LBB145_64
; %bb.61:
	s_andn2_b64 vcc, exec, s[14:15]
	s_cbranch_vccnz .LBB145_64
; %bb.62:
	s_lshl_b64 s[4:5], s[8:9], 3
	s_add_u32 s7, s10, s4
	s_addc_u32 s8, s11, s5
	s_lshl_b64 s[4:5], s[16:17], 3
	s_add_u32 s9, s7, s4
	s_addc_u32 s8, s8, s5
	s_mul_hi_i32 s5, s22, s6
	s_mul_i32 s4, s22, s6
	v_mad_i64_i32 v[1:2], s[6:7], s22, v0, 0
	s_lshl_b64 s[4:5], s[4:5], 3
	s_add_u32 s4, s9, s4
	v_lshlrev_b64 v[1:2], 3, v[1:2]
	s_addc_u32 s5, s8, s5
	v_mov_b32_e32 v3, s5
	v_add_co_u32_e32 v1, vcc, s4, v1
	v_addc_co_u32_e32 v2, vcc, v3, v2, vcc
	v_mov_b32_e32 v3, 0x480
	v_lshl_or_b32 v0, v0, 3, v3
.LBB145_63:                             ; =>This Inner Loop Header: Depth=1
	ds_read_b64 v[3:4], v0
	s_add_i32 s26, s26, -1
	v_add_u32_e32 v0, 0x60, v0
	s_cmp_lg_u32 s26, 0
	s_waitcnt lgkmcnt(0)
	global_store_dwordx2 v[1:2], v[3:4], off
	v_add_co_u32_e32 v1, vcc, 8, v1
	v_addc_co_u32_e32 v2, vcc, 0, v2, vcc
	s_cbranch_scc1 .LBB145_63
.LBB145_64:
	s_endpgm
	.section	.rodata,"a",@progbits
	.p2align	6, 0x0
	.amdhsa_kernel _ZL38rocblas_trsm_small_left_device_sharedBILi12ELi12ELb1E19rocblas_complex_numIfES1_PKS1_PS1_Ev13rocblas_fill_18rocblas_operation_17rocblas_diagonal_iiT3_T4_lilT5_lili
		.amdhsa_group_segment_fixed_size 2304
		.amdhsa_private_segment_fixed_size 112
		.amdhsa_kernarg_size 360
		.amdhsa_user_sgpr_count 6
		.amdhsa_user_sgpr_private_segment_buffer 1
		.amdhsa_user_sgpr_dispatch_ptr 0
		.amdhsa_user_sgpr_queue_ptr 0
		.amdhsa_user_sgpr_kernarg_segment_ptr 1
		.amdhsa_user_sgpr_dispatch_id 0
		.amdhsa_user_sgpr_flat_scratch_init 0
		.amdhsa_user_sgpr_private_segment_size 0
		.amdhsa_uses_dynamic_stack 0
		.amdhsa_system_sgpr_private_segment_wavefront_offset 1
		.amdhsa_system_sgpr_workgroup_id_x 1
		.amdhsa_system_sgpr_workgroup_id_y 0
		.amdhsa_system_sgpr_workgroup_id_z 1
		.amdhsa_system_sgpr_workgroup_info 0
		.amdhsa_system_vgpr_workitem_id 0
		.amdhsa_next_free_vgpr 33
		.amdhsa_next_free_sgpr 77
		.amdhsa_reserve_vcc 1
		.amdhsa_reserve_flat_scratch 0
		.amdhsa_float_round_mode_32 0
		.amdhsa_float_round_mode_16_64 0
		.amdhsa_float_denorm_mode_32 3
		.amdhsa_float_denorm_mode_16_64 3
		.amdhsa_dx10_clamp 1
		.amdhsa_ieee_mode 1
		.amdhsa_fp16_overflow 0
		.amdhsa_exception_fp_ieee_invalid_op 0
		.amdhsa_exception_fp_denorm_src 0
		.amdhsa_exception_fp_ieee_div_zero 0
		.amdhsa_exception_fp_ieee_overflow 0
		.amdhsa_exception_fp_ieee_underflow 0
		.amdhsa_exception_fp_ieee_inexact 0
		.amdhsa_exception_int_div_zero 0
	.end_amdhsa_kernel
	.section	.text._ZL38rocblas_trsm_small_left_device_sharedBILi12ELi12ELb1E19rocblas_complex_numIfES1_PKS1_PS1_Ev13rocblas_fill_18rocblas_operation_17rocblas_diagonal_iiT3_T4_lilT5_lili,"axG",@progbits,_ZL38rocblas_trsm_small_left_device_sharedBILi12ELi12ELb1E19rocblas_complex_numIfES1_PKS1_PS1_Ev13rocblas_fill_18rocblas_operation_17rocblas_diagonal_iiT3_T4_lilT5_lili,comdat
.Lfunc_end145:
	.size	_ZL38rocblas_trsm_small_left_device_sharedBILi12ELi12ELb1E19rocblas_complex_numIfES1_PKS1_PS1_Ev13rocblas_fill_18rocblas_operation_17rocblas_diagonal_iiT3_T4_lilT5_lili, .Lfunc_end145-_ZL38rocblas_trsm_small_left_device_sharedBILi12ELi12ELb1E19rocblas_complex_numIfES1_PKS1_PS1_Ev13rocblas_fill_18rocblas_operation_17rocblas_diagonal_iiT3_T4_lilT5_lili
                                        ; -- End function
	.set _ZL38rocblas_trsm_small_left_device_sharedBILi12ELi12ELb1E19rocblas_complex_numIfES1_PKS1_PS1_Ev13rocblas_fill_18rocblas_operation_17rocblas_diagonal_iiT3_T4_lilT5_lili.num_vgpr, 12
	.set _ZL38rocblas_trsm_small_left_device_sharedBILi12ELi12ELb1E19rocblas_complex_numIfES1_PKS1_PS1_Ev13rocblas_fill_18rocblas_operation_17rocblas_diagonal_iiT3_T4_lilT5_lili.num_agpr, 0
	.set _ZL38rocblas_trsm_small_left_device_sharedBILi12ELi12ELb1E19rocblas_complex_numIfES1_PKS1_PS1_Ev13rocblas_fill_18rocblas_operation_17rocblas_diagonal_iiT3_T4_lilT5_lili.numbered_sgpr, 38
	.set _ZL38rocblas_trsm_small_left_device_sharedBILi12ELi12ELb1E19rocblas_complex_numIfES1_PKS1_PS1_Ev13rocblas_fill_18rocblas_operation_17rocblas_diagonal_iiT3_T4_lilT5_lili.num_named_barrier, 0
	.set _ZL38rocblas_trsm_small_left_device_sharedBILi12ELi12ELb1E19rocblas_complex_numIfES1_PKS1_PS1_Ev13rocblas_fill_18rocblas_operation_17rocblas_diagonal_iiT3_T4_lilT5_lili.private_seg_size, 112
	.set _ZL38rocblas_trsm_small_left_device_sharedBILi12ELi12ELb1E19rocblas_complex_numIfES1_PKS1_PS1_Ev13rocblas_fill_18rocblas_operation_17rocblas_diagonal_iiT3_T4_lilT5_lili.uses_vcc, 1
	.set _ZL38rocblas_trsm_small_left_device_sharedBILi12ELi12ELb1E19rocblas_complex_numIfES1_PKS1_PS1_Ev13rocblas_fill_18rocblas_operation_17rocblas_diagonal_iiT3_T4_lilT5_lili.uses_flat_scratch, 0
	.set _ZL38rocblas_trsm_small_left_device_sharedBILi12ELi12ELb1E19rocblas_complex_numIfES1_PKS1_PS1_Ev13rocblas_fill_18rocblas_operation_17rocblas_diagonal_iiT3_T4_lilT5_lili.has_dyn_sized_stack, 0
	.set _ZL38rocblas_trsm_small_left_device_sharedBILi12ELi12ELb1E19rocblas_complex_numIfES1_PKS1_PS1_Ev13rocblas_fill_18rocblas_operation_17rocblas_diagonal_iiT3_T4_lilT5_lili.has_recursion, 0
	.set _ZL38rocblas_trsm_small_left_device_sharedBILi12ELi12ELb1E19rocblas_complex_numIfES1_PKS1_PS1_Ev13rocblas_fill_18rocblas_operation_17rocblas_diagonal_iiT3_T4_lilT5_lili.has_indirect_call, 0
	.section	.AMDGPU.csdata,"",@progbits
; Kernel info:
; codeLenInByte = 2684
; TotalNumSgprs: 42
; NumVgprs: 12
; ScratchSize: 112
; MemoryBound: 0
; FloatMode: 240
; IeeeMode: 1
; LDSByteSize: 2304 bytes/workgroup (compile time only)
; SGPRBlocks: 10
; VGPRBlocks: 8
; NumSGPRsForWavesPerEU: 81
; NumVGPRsForWavesPerEU: 33
; Occupancy: 7
; WaveLimiterHint : 0
; COMPUTE_PGM_RSRC2:SCRATCH_EN: 1
; COMPUTE_PGM_RSRC2:USER_SGPR: 6
; COMPUTE_PGM_RSRC2:TRAP_HANDLER: 0
; COMPUTE_PGM_RSRC2:TGID_X_EN: 1
; COMPUTE_PGM_RSRC2:TGID_Y_EN: 0
; COMPUTE_PGM_RSRC2:TGID_Z_EN: 1
; COMPUTE_PGM_RSRC2:TIDIG_COMP_CNT: 0
	.section	.text._ZL30rocblas_trsm_small_left_deviceILi12ELi12ELb1E19rocblas_complex_numIfES1_PKS1_PS1_Ev13rocblas_fill_18rocblas_operation_17rocblas_diagonal_iiT3_T4_lilT5_lili,"axG",@progbits,_ZL30rocblas_trsm_small_left_deviceILi12ELi12ELb1E19rocblas_complex_numIfES1_PKS1_PS1_Ev13rocblas_fill_18rocblas_operation_17rocblas_diagonal_iiT3_T4_lilT5_lili,comdat
	.globl	_ZL30rocblas_trsm_small_left_deviceILi12ELi12ELb1E19rocblas_complex_numIfES1_PKS1_PS1_Ev13rocblas_fill_18rocblas_operation_17rocblas_diagonal_iiT3_T4_lilT5_lili ; -- Begin function _ZL30rocblas_trsm_small_left_deviceILi12ELi12ELb1E19rocblas_complex_numIfES1_PKS1_PS1_Ev13rocblas_fill_18rocblas_operation_17rocblas_diagonal_iiT3_T4_lilT5_lili
	.p2align	8
	.type	_ZL30rocblas_trsm_small_left_deviceILi12ELi12ELb1E19rocblas_complex_numIfES1_PKS1_PS1_Ev13rocblas_fill_18rocblas_operation_17rocblas_diagonal_iiT3_T4_lilT5_lili,@function
_ZL30rocblas_trsm_small_left_deviceILi12ELi12ELb1E19rocblas_complex_numIfES1_PKS1_PS1_Ev13rocblas_fill_18rocblas_operation_17rocblas_diagonal_iiT3_T4_lilT5_lili: ; @_ZL30rocblas_trsm_small_left_deviceILi12ELi12ELb1E19rocblas_complex_numIfES1_PKS1_PS1_Ev13rocblas_fill_18rocblas_operation_17rocblas_diagonal_iiT3_T4_lilT5_lili
; %bb.0:
	s_add_u32 s0, s0, s8
	s_load_dwordx4 s[12:15], s[4:5], 0x4
	s_load_dwordx2 s[16:17], s[4:5], 0x14
	s_load_dwordx4 s[8:11], s[4:5], 0x38
	s_load_dwordx2 s[18:19], s[4:5], 0x48
	s_load_dword s27, s[4:5], 0x68
	s_addc_u32 s1, s1, 0
	s_waitcnt lgkmcnt(0)
	s_min_i32 s26, s14, 12
	v_cmp_gt_i32_e32 vcc, s26, v0
	s_and_saveexec_b64 s[20:21], vcc
	s_cbranch_execz .LBB146_15
; %bb.1:
	s_load_dword s24, s[4:5], 0x30
	s_load_dwordx4 s[28:31], s[4:5], 0x20
	s_mul_i32 s9, s9, s7
	s_mul_hi_u32 s14, s8, s7
	s_mul_i32 s8, s8, s7
	s_waitcnt lgkmcnt(0)
	s_ashr_i32 s25, s24, 31
	s_cmpk_lg_i32 s12, 0x71
	s_cselect_b64 s[22:23], -1, 0
	s_add_i32 s9, s14, s9
	s_lshl_b64 s[8:9], s[8:9], 3
	s_lshl_b64 s[30:31], s[30:31], 3
	s_add_u32 s8, s8, s30
	s_addc_u32 s9, s9, s31
	s_add_u32 s8, s28, s8
	v_lshlrev_b32_e32 v5, 3, v0
	s_addc_u32 s9, s29, s9
	v_mov_b32_e32 v1, s9
	v_add_co_u32_e32 v2, vcc, s8, v5
	v_addc_co_u32_e32 v3, vcc, 0, v1, vcc
	v_add_co_u32_e32 v1, vcc, 4, v2
	s_lshl_b64 s[8:9], s[24:25], 3
	v_addc_co_u32_e32 v2, vcc, 0, v3, vcc
	v_mov_b32_e32 v6, s9
	v_mov_b32_e32 v7, v5
	s_mov_b32 s9, s26
	s_branch .LBB146_3
.LBB146_2:                              ;   in Loop: Header=BB146_3 Depth=1
	global_load_dword v3, v[1:2], off offset:-4
	s_add_i32 s9, s9, -1
	v_add_co_u32_e32 v1, vcc, s8, v1
	v_addc_co_u32_e32 v2, vcc, v2, v6, vcc
	s_cmp_eq_u32 s9, 0
	s_waitcnt vmcnt(0)
	ds_write_b64 v7, v[3:4]
	v_add_u32_e32 v7, 0x60, v7
	s_cbranch_scc1 .LBB146_7
.LBB146_3:                              ; =>This Inner Loop Header: Depth=1
	s_mov_b64 s[24:25], -1
	s_and_b64 vcc, exec, s[22:23]
                                        ; implicit-def: $vgpr4
	s_cbranch_vccz .LBB146_5
; %bb.4:                                ;   in Loop: Header=BB146_3 Depth=1
	global_load_dword v4, v[1:2], off
	s_mov_b64 s[24:25], 0
.LBB146_5:                              ;   in Loop: Header=BB146_3 Depth=1
	s_andn2_b64 vcc, exec, s[24:25]
	s_cbranch_vccnz .LBB146_2
; %bb.6:                                ;   in Loop: Header=BB146_3 Depth=1
	global_load_dword v3, v[1:2], off
	s_waitcnt vmcnt(0)
	v_xor_b32_e32 v4, 0x80000000, v3
	s_branch .LBB146_2
.LBB146_7:
	s_cmpk_lg_i32 s13, 0x84
	v_mul_u32_u24_e32 v6, 0x60, v0
	s_mov_b64 s[8:9], -1
	s_cbranch_scc0 .LBB146_13
; %bb.8:
	v_add_u32_e32 v7, v5, v6
	ds_read_b64 v[1:2], v7
                                        ; implicit-def: $vgpr3
	s_waitcnt lgkmcnt(0)
	v_cmp_ngt_f32_e64 s[8:9], |v1|, |v2|
	s_and_saveexec_b64 s[22:23], s[8:9]
	s_xor_b64 s[8:9], exec, s[22:23]
	s_cbranch_execz .LBB146_10
; %bb.9:
	v_div_scale_f32 v3, s[22:23], v2, v2, v1
	v_div_scale_f32 v4, vcc, v1, v2, v1
	v_rcp_f32_e32 v8, v3
	v_fma_f32 v9, -v3, v8, 1.0
	v_fmac_f32_e32 v8, v9, v8
	v_mul_f32_e32 v9, v4, v8
	v_fma_f32 v10, -v3, v9, v4
	v_fmac_f32_e32 v9, v10, v8
	v_fma_f32 v3, -v3, v9, v4
	v_div_fmas_f32 v3, v3, v8, v9
	v_div_fixup_f32 v3, v3, v2, v1
	v_fmac_f32_e32 v2, v1, v3
	v_div_scale_f32 v1, s[22:23], v2, v2, 1.0
	v_div_scale_f32 v4, vcc, 1.0, v2, 1.0
	v_rcp_f32_e32 v8, v1
	v_fma_f32 v9, -v1, v8, 1.0
	v_fmac_f32_e32 v8, v9, v8
	v_mul_f32_e32 v9, v4, v8
	v_fma_f32 v10, -v1, v9, v4
	v_fmac_f32_e32 v9, v10, v8
	v_fma_f32 v1, -v1, v9, v4
	v_div_fmas_f32 v1, v1, v8, v9
	v_add_f32_e32 v4, 0, v3
	v_fma_f32 v8, v3, 0, -1.0
	v_div_fixup_f32 v1, v1, v2, 1.0
	v_mul_f32_e32 v3, v4, v1
	v_mul_f32_e32 v4, v8, v1
                                        ; implicit-def: $vgpr1_vgpr2
.LBB146_10:
	s_andn2_saveexec_b64 s[8:9], s[8:9]
	s_cbranch_execz .LBB146_12
; %bb.11:
	v_div_scale_f32 v3, s[22:23], v1, v1, v2
	v_div_scale_f32 v4, vcc, v2, v1, v2
	v_rcp_f32_e32 v8, v3
	v_fma_f32 v9, -v3, v8, 1.0
	v_fmac_f32_e32 v8, v9, v8
	v_mul_f32_e32 v9, v4, v8
	v_fma_f32 v10, -v3, v9, v4
	v_fmac_f32_e32 v9, v10, v8
	v_fma_f32 v3, -v3, v9, v4
	v_div_fmas_f32 v3, v3, v8, v9
	v_div_fixup_f32 v4, v3, v1, v2
	v_fmac_f32_e32 v1, v2, v4
	v_div_scale_f32 v2, s[22:23], v1, v1, 1.0
	v_div_scale_f32 v3, vcc, 1.0, v1, 1.0
	v_rcp_f32_e32 v8, v2
	v_fma_f32 v9, -v2, v8, 1.0
	v_fmac_f32_e32 v8, v9, v8
	v_mul_f32_e32 v9, v3, v8
	v_fma_f32 v10, -v2, v9, v3
	v_fmac_f32_e32 v9, v10, v8
	v_fma_f32 v2, -v2, v9, v3
	v_div_fmas_f32 v2, v2, v8, v9
	v_fma_f32 v3, v4, 0, 1.0
	v_div_fixup_f32 v1, v2, v1, 1.0
	v_mul_f32_e32 v3, v3, v1
	v_mul_f32_e64 v4, -v4, v1
.LBB146_12:
	s_or_b64 exec, exec, s[8:9]
	s_mov_b64 s[8:9], 0
	ds_write_b64 v7, v[3:4]
.LBB146_13:
	s_and_b64 vcc, exec, s[8:9]
	s_cbranch_vccz .LBB146_15
; %bb.14:
	v_add_u32_e32 v3, v5, v6
	v_mov_b32_e32 v1, 1.0
	v_mov_b32_e32 v2, 0
	ds_write_b64 v3, v[1:2]
.LBB146_15:
	s_or_b64 exec, exec, s[20:21]
	s_mul_i32 s8, s6, -12
	s_add_i32 s27, s27, -1
	s_add_i32 s8, s15, s8
	s_cmp_ge_u32 s6, s27
	s_cselect_b32 s8, s8, 12
	v_cmp_gt_i32_e32 vcc, s8, v0
	s_waitcnt lgkmcnt(0)
	; wave barrier
	s_and_saveexec_b64 s[8:9], vcc
	s_cbranch_execz .LBB146_58
; %bb.16:
	s_load_dwordx2 s[8:9], s[4:5], 0x58
	s_load_dword s13, s[4:5], 0x50
	s_waitcnt lgkmcnt(0)
	s_mul_i32 s5, s9, s7
	s_mul_hi_u32 s9, s8, s7
	s_mul_i32 s4, s8, s7
	v_mad_u64_u32 v[0:1], s[6:7], s6, 12, v[0:1]
	s_add_i32 s5, s9, s5
	s_lshl_b64 s[4:5], s[4:5], 3
	v_mad_i64_i32 v[0:1], s[6:7], s13, v0, 0
	s_add_u32 s8, s10, s4
	s_addc_u32 s9, s11, s5
	s_lshl_b64 s[6:7], s[18:19], 3
	s_add_u32 s8, s8, s6
	v_lshlrev_b64 v[0:1], 3, v[0:1]
	s_addc_u32 s9, s9, s7
	v_mov_b32_e32 v2, s9
	v_add_co_u32_e32 v4, vcc, s8, v0
	v_addc_co_u32_e32 v5, vcc, v2, v1, vcc
	s_cmpk_eq_i32 s12, 0x6f
	s_mov_b64 s[8:9], -1
	s_cbranch_scc1 .LBB146_37
; %bb.17:
	s_add_i32 s22, s26, -1
	s_add_u32 s8, s10, s6
	s_addc_u32 s9, s11, s7
	s_add_u32 s8, s8, s4
	s_addc_u32 s9, s9, s5
	v_mov_b32_e32 v2, s9
	v_add_co_u32_e32 v3, vcc, s8, v0
	v_addc_co_u32_e32 v2, vcc, v2, v1, vcc
	v_add_co_u32_e32 v6, vcc, 4, v3
	s_lshl_b32 s23, s26, 3
	s_mov_b32 s9, 0
	v_addc_co_u32_e32 v7, vcc, 0, v2, vcc
	s_add_i32 s23, s23, -8
	s_mov_b32 s8, s9
	s_mov_b32 s12, s22
	s_branch .LBB146_19
.LBB146_18:                             ;   in Loop: Header=BB146_19 Depth=1
	s_cmp_lt_i32 s12, 0
	s_cselect_b64 s[14:15], -1, 0
	s_add_i32 s8, s8, 1
	s_cmp_eq_u32 s8, 3
	s_cselect_b64 s[18:19], -1, 0
	s_or_b64 s[14:15], s[14:15], s[18:19]
	s_andn2_b64 vcc, exec, s[14:15]
	s_cbranch_vccz .LBB146_36
.LBB146_19:                             ; =>This Loop Header: Depth=1
                                        ;     Child Loop BB146_22 Depth 2
                                        ;       Child Loop BB146_23 Depth 3
                                        ;       Child Loop BB146_25 Depth 3
                                        ;         Child Loop BB146_26 Depth 4
                                        ;       Child Loop BB146_30 Depth 3
                                        ;         Child Loop BB146_32 Depth 4
	s_lshl_b64 s[14:15], s[8:9], 2
	s_getpc_b64 s[18:19]
	s_add_u32 s18, s18, __const._ZL30rocblas_trsm_small_left_deviceILi12ELi12ELb1E19rocblas_complex_numIfES1_PKS1_PS1_Ev13rocblas_fill_18rocblas_operation_17rocblas_diagonal_iiT3_T4_lilT5_lili.step_sizes@rel32@lo+4
	s_addc_u32 s19, s19, __const._ZL30rocblas_trsm_small_left_deviceILi12ELi12ELb1E19rocblas_complex_numIfES1_PKS1_PS1_Ev13rocblas_fill_18rocblas_operation_17rocblas_diagonal_iiT3_T4_lilT5_lili.step_sizes@rel32@hi+12
	s_add_u32 s14, s18, s14
	s_addc_u32 s15, s19, s15
	s_load_dword s24, s[14:15], 0x0
	s_waitcnt lgkmcnt(0)
	s_add_i32 s25, s24, -1
	s_cmp_lt_i32 s12, s25
	s_cbranch_scc1 .LBB146_18
; %bb.20:                               ;   in Loop: Header=BB146_19 Depth=1
	s_mul_i32 s13, s12, 0x60
	s_max_i32 s27, s24, 1
	s_add_i32 s28, s23, s13
	s_mul_i32 s29, s24, 0xffffffa0
	s_mul_i32 s30, s12, 0x68
	;; [unrolled: 1-line block ×3, first 2 shown]
	s_branch .LBB146_22
.LBB146_21:                             ;   in Loop: Header=BB146_22 Depth=2
	s_sub_i32 s12, s12, s24
	s_add_i32 s28, s28, s29
	s_add_i32 s30, s30, s31
	s_cmp_lt_i32 s12, s25
	s_cbranch_scc1 .LBB146_18
.LBB146_22:                             ;   Parent Loop BB146_19 Depth=1
                                        ; =>  This Loop Header: Depth=2
                                        ;       Child Loop BB146_23 Depth 3
                                        ;       Child Loop BB146_25 Depth 3
                                        ;         Child Loop BB146_26 Depth 4
                                        ;       Child Loop BB146_30 Depth 3
                                        ;         Child Loop BB146_32 Depth 4
	s_ashr_i32 s13, s12, 31
	s_lshl_b64 s[14:15], s[12:13], 3
	v_mov_b32_e32 v3, s15
	v_add_co_u32_e32 v2, vcc, s14, v6
	v_addc_co_u32_e32 v3, vcc, v7, v3, vcc
	s_mov_b32 s14, 0
	s_mov_b32 s15, s27
.LBB146_23:                             ;   Parent Loop BB146_19 Depth=1
                                        ;     Parent Loop BB146_22 Depth=2
                                        ; =>    This Inner Loop Header: Depth=3
	global_load_dwordx2 v[8:9], v[2:3], off offset:-4
	v_mov_b32_e32 v10, s14
	s_add_i32 s15, s15, -1
	v_add_co_u32_e32 v2, vcc, -8, v2
	s_add_i32 s14, s14, 8
	v_addc_co_u32_e32 v3, vcc, -1, v3, vcc
	s_cmp_eq_u32 s15, 0
	s_waitcnt vmcnt(0)
	v_mul_f32_e32 v11, s17, v9
	v_mul_f32_e32 v9, s16, v9
	v_fma_f32 v11, v8, s16, -v11
	v_fmac_f32_e32 v9, s17, v8
	buffer_store_dword v11, v10, s[0:3], 0 offen
	buffer_store_dword v9, v10, s[0:3], 0 offen offset:4
	s_cbranch_scc0 .LBB146_23
; %bb.24:                               ;   in Loop: Header=BB146_22 Depth=2
	s_cmp_le_i32 s22, s12
	s_mov_b32 s18, s28
	s_mov_b32 s14, s22
	s_cbranch_scc1 .LBB146_28
.LBB146_25:                             ;   Parent Loop BB146_19 Depth=1
                                        ;     Parent Loop BB146_22 Depth=2
                                        ; =>    This Loop Header: Depth=3
                                        ;         Child Loop BB146_26 Depth 4
	s_ashr_i32 s15, s14, 31
	s_lshl_b64 s[20:21], s[14:15], 3
	v_mov_b32_e32 v3, s21
	v_add_co_u32_e32 v2, vcc, s20, v4
	v_addc_co_u32_e32 v3, vcc, v5, v3, vcc
	global_load_dwordx2 v[2:3], v[2:3], off
	s_mov_b32 s15, 0
	s_mov_b32 s19, s18
	;; [unrolled: 1-line block ×3, first 2 shown]
.LBB146_26:                             ;   Parent Loop BB146_19 Depth=1
                                        ;     Parent Loop BB146_22 Depth=2
                                        ;       Parent Loop BB146_25 Depth=3
                                        ; =>      This Inner Loop Header: Depth=4
	v_mov_b32_e32 v10, s15
	buffer_load_dword v11, v10, s[0:3], 0 offen
	buffer_load_dword v12, v10, s[0:3], 0 offen offset:4
	v_mov_b32_e32 v8, s19
	ds_read_b64 v[8:9], v8
	s_add_i32 s20, s20, -1
	s_addk_i32 s19, 0xffa0
	s_add_i32 s15, s15, 8
	s_cmp_eq_u32 s20, 0
	s_waitcnt vmcnt(2) lgkmcnt(0)
	v_mul_f32_e32 v13, v9, v3
	v_mul_f32_e32 v9, v9, v2
	v_fma_f32 v13, v8, v2, -v13
	v_fmac_f32_e32 v9, v8, v3
	s_waitcnt vmcnt(1)
	v_sub_f32_e32 v8, v11, v13
	s_waitcnt vmcnt(0)
	v_sub_f32_e32 v9, v12, v9
	buffer_store_dword v8, v10, s[0:3], 0 offen
	buffer_store_dword v9, v10, s[0:3], 0 offen offset:4
	s_cbranch_scc0 .LBB146_26
; %bb.27:                               ;   in Loop: Header=BB146_25 Depth=3
	s_add_i32 s14, s14, -1
	s_add_i32 s18, s18, -8
	s_cmp_le_i32 s14, s12
	s_cbranch_scc0 .LBB146_25
.LBB146_28:                             ;   in Loop: Header=BB146_22 Depth=2
	s_mov_b32 s33, 0
	s_mov_b32 s34, s30
	s_branch .LBB146_30
.LBB146_29:                             ;   in Loop: Header=BB146_30 Depth=3
	s_mulk_i32 s18, 0x68
	v_mov_b32_e32 v8, s18
	ds_read_b64 v[8:9], v8
	s_lshl_b64 s[14:15], s[14:15], 3
	s_lshl_b32 s18, s33, 3
	s_add_i32 s33, s33, 1
	s_addk_i32 s34, 0xffa0
	s_waitcnt vmcnt(0) lgkmcnt(0)
	v_mul_f32_e32 v10, v9, v3
	v_mul_f32_e32 v11, v8, v3
	v_fma_f32 v10, v8, v2, -v10
	v_fmac_f32_e32 v11, v9, v2
	v_mov_b32_e32 v3, s15
	v_add_co_u32_e32 v2, vcc, s14, v4
	v_mov_b32_e32 v12, s18
	v_addc_co_u32_e32 v3, vcc, v5, v3, vcc
	s_cmp_eq_u32 s33, s27
	buffer_store_dword v10, v12, s[0:3], 0 offen
	buffer_store_dword v11, v12, s[0:3], 0 offen offset:4
	global_store_dwordx2 v[2:3], v[10:11], off
	s_cbranch_scc1 .LBB146_21
.LBB146_30:                             ;   Parent Loop BB146_19 Depth=1
                                        ;     Parent Loop BB146_22 Depth=2
                                        ; =>    This Loop Header: Depth=3
                                        ;         Child Loop BB146_32 Depth 4
	s_cmp_lg_u32 s33, 0
	s_cbranch_scc0 .LBB146_34
; %bb.31:                               ;   in Loop: Header=BB146_30 Depth=3
	s_lshl_b32 s14, s33, 3
	v_mov_b32_e32 v8, s14
	buffer_load_dword v2, v8, s[0:3], 0 offen
	buffer_load_dword v3, v8, s[0:3], 0 offen offset:4
	s_mov_b32 s15, 0
	s_mov_b32 s18, s34
	;; [unrolled: 1-line block ×3, first 2 shown]
.LBB146_32:                             ;   Parent Loop BB146_19 Depth=1
                                        ;     Parent Loop BB146_22 Depth=2
                                        ;       Parent Loop BB146_30 Depth=3
                                        ; =>      This Inner Loop Header: Depth=4
	v_mov_b32_e32 v8, s15
	buffer_load_dword v10, v8, s[0:3], 0 offen offset:4
	buffer_load_dword v11, v8, s[0:3], 0 offen
	v_mov_b32_e32 v8, s18
	ds_read_b64 v[8:9], v8
	s_add_i32 s19, s19, -1
	s_add_i32 s18, s18, -8
	s_add_i32 s15, s15, 8
	v_mov_b32_e32 v12, s14
	s_cmp_eq_u32 s19, 0
	s_waitcnt vmcnt(1) lgkmcnt(0)
	v_mul_f32_e32 v13, v9, v10
	v_mul_f32_e32 v10, v8, v10
	s_waitcnt vmcnt(0)
	v_fma_f32 v8, v8, v11, -v13
	v_fmac_f32_e32 v10, v9, v11
	v_sub_f32_e32 v2, v2, v8
	v_sub_f32_e32 v3, v3, v10
	buffer_store_dword v2, v12, s[0:3], 0 offen
	buffer_store_dword v3, v12, s[0:3], 0 offen offset:4
	s_cbranch_scc0 .LBB146_32
; %bb.33:                               ;   in Loop: Header=BB146_30 Depth=3
	s_sub_i32 s18, s12, s33
	s_ashr_i32 s19, s18, 31
	s_mov_b64 s[14:15], s[18:19]
	s_branch .LBB146_29
.LBB146_34:                             ;   in Loop: Header=BB146_30 Depth=3
                                        ; implicit-def: $vgpr2
                                        ; implicit-def: $vgpr3
                                        ; implicit-def: $sgpr18
                                        ; implicit-def: $sgpr14_sgpr15
	s_cbranch_execz .LBB146_29
; %bb.35:                               ;   in Loop: Header=BB146_30 Depth=3
	buffer_load_dword v2, off, s[0:3], 0
	buffer_load_dword v3, off, s[0:3], 0 offset:4
	s_mov_b64 s[14:15], s[12:13]
	s_mov_b32 s18, s12
	s_branch .LBB146_29
.LBB146_36:
	s_mov_b64 s[8:9], 0
.LBB146_37:
	s_and_b64 vcc, exec, s[8:9]
	s_cbranch_vccz .LBB146_58
; %bb.38:
	s_add_u32 s6, s10, s6
	s_addc_u32 s7, s11, s7
	s_add_u32 s4, s6, s4
	s_addc_u32 s5, s7, s5
	v_mov_b32_e32 v2, s5
	v_add_co_u32_e32 v0, vcc, s4, v0
	v_addc_co_u32_e32 v1, vcc, v2, v1, vcc
	v_add_co_u32_e32 v6, vcc, 4, v0
	s_mov_b32 s5, 0
	v_addc_co_u32_e32 v7, vcc, 0, v1, vcc
	s_mov_b32 s6, s5
	s_mov_b32 s8, s5
	s_branch .LBB146_40
.LBB146_39:                             ;   in Loop: Header=BB146_40 Depth=1
	s_cmp_ge_i32 s6, s26
	s_cselect_b64 s[10:11], -1, 0
	s_add_i32 s8, s8, 1
	s_cmp_eq_u32 s8, 3
	s_cselect_b64 s[12:13], -1, 0
	s_or_b64 s[10:11], s[10:11], s[12:13]
	s_and_b64 vcc, exec, s[10:11]
	s_cbranch_vccnz .LBB146_58
.LBB146_40:                             ; =>This Loop Header: Depth=1
                                        ;     Child Loop BB146_43 Depth 2
                                        ;       Child Loop BB146_44 Depth 3
                                        ;       Child Loop BB146_47 Depth 3
                                        ;         Child Loop BB146_48 Depth 4
                                        ;       Child Loop BB146_52 Depth 3
                                        ;         Child Loop BB146_54 Depth 4
	s_mov_b32 s9, s5
	s_lshl_b64 s[10:11], s[8:9], 2
	s_getpc_b64 s[12:13]
	s_add_u32 s12, s12, __const._ZL30rocblas_trsm_small_left_deviceILi12ELi12ELb1E19rocblas_complex_numIfES1_PKS1_PS1_Ev13rocblas_fill_18rocblas_operation_17rocblas_diagonal_iiT3_T4_lilT5_lili.step_sizes@rel32@lo+4
	s_addc_u32 s13, s13, __const._ZL30rocblas_trsm_small_left_deviceILi12ELi12ELb1E19rocblas_complex_numIfES1_PKS1_PS1_Ev13rocblas_fill_18rocblas_operation_17rocblas_diagonal_iiT3_T4_lilT5_lili.step_sizes@rel32@hi+12
	s_add_u32 s10, s12, s10
	s_addc_u32 s11, s13, s11
	s_load_dword s10, s[10:11], 0x0
	s_waitcnt lgkmcnt(0)
	s_add_i32 s9, s10, -1
	s_add_i32 s4, s9, s6
	s_cmp_ge_i32 s4, s26
	s_cbranch_scc1 .LBB146_39
; %bb.41:                               ;   in Loop: Header=BB146_40 Depth=1
	s_ashr_i32 s7, s6, 31
	s_lshl_b64 s[12:13], s[6:7], 3
	v_mov_b32_e32 v1, s13
	v_add_co_u32_e32 v0, vcc, s12, v6
	s_ashr_i32 s11, s10, 31
	s_max_i32 s18, s10, 1
	v_addc_co_u32_e32 v1, vcc, v7, v1, vcc
	s_lshl_b64 s[12:13], s[10:11], 3
	s_lshl_b32 s7, s6, 3
	s_lshl_b32 s11, s10, 3
	s_mul_i32 s19, s6, 0x68
	s_mul_i32 s20, s10, 0x68
	s_branch .LBB146_43
.LBB146_42:                             ;   in Loop: Header=BB146_43 Depth=2
	s_add_i32 s6, s6, s10
	s_add_i32 s4, s9, s6
	v_mov_b32_e32 v2, s13
	s_add_i32 s7, s7, s11
	s_add_i32 s19, s19, s20
	v_add_co_u32_e32 v0, vcc, s12, v0
	s_cmp_ge_i32 s4, s26
	v_addc_co_u32_e32 v1, vcc, v1, v2, vcc
	s_cbranch_scc1 .LBB146_39
.LBB146_43:                             ;   Parent Loop BB146_40 Depth=1
                                        ; =>  This Loop Header: Depth=2
                                        ;       Child Loop BB146_44 Depth 3
                                        ;       Child Loop BB146_47 Depth 3
                                        ;         Child Loop BB146_48 Depth 4
                                        ;       Child Loop BB146_52 Depth 3
                                        ;         Child Loop BB146_54 Depth 4
	v_mov_b32_e32 v3, v1
	s_mov_b32 s4, 0
	v_mov_b32_e32 v2, v0
	s_mov_b32 s14, s18
.LBB146_44:                             ;   Parent Loop BB146_40 Depth=1
                                        ;     Parent Loop BB146_43 Depth=2
                                        ; =>    This Inner Loop Header: Depth=3
	global_load_dwordx2 v[8:9], v[2:3], off offset:-4
	v_mov_b32_e32 v10, s4
	s_add_i32 s14, s14, -1
	v_add_co_u32_e32 v2, vcc, 8, v2
	s_add_i32 s4, s4, 8
	v_addc_co_u32_e32 v3, vcc, 0, v3, vcc
	s_cmp_eq_u32 s14, 0
	s_waitcnt vmcnt(0)
	v_mul_f32_e32 v11, s17, v9
	v_mul_f32_e32 v9, s16, v9
	v_fma_f32 v11, v8, s16, -v11
	v_fmac_f32_e32 v9, s17, v8
	buffer_store_dword v11, v10, s[0:3], 0 offen
	buffer_store_dword v9, v10, s[0:3], 0 offen offset:4
	s_cbranch_scc0 .LBB146_44
; %bb.45:                               ;   in Loop: Header=BB146_43 Depth=2
	s_cmp_lt_i32 s6, 1
	s_cbranch_scc1 .LBB146_50
; %bb.46:                               ;   in Loop: Header=BB146_43 Depth=2
	s_mov_b32 s4, 0
	s_mov_b32 s14, s7
.LBB146_47:                             ;   Parent Loop BB146_40 Depth=1
                                        ;     Parent Loop BB146_43 Depth=2
                                        ; =>    This Loop Header: Depth=3
                                        ;         Child Loop BB146_48 Depth 4
	s_lshl_b64 s[22:23], s[4:5], 3
	v_mov_b32_e32 v3, s23
	v_add_co_u32_e32 v2, vcc, s22, v4
	v_addc_co_u32_e32 v3, vcc, v5, v3, vcc
	global_load_dwordx2 v[2:3], v[2:3], off
	s_mov_b32 s15, 0
	s_mov_b32 s21, s14
	;; [unrolled: 1-line block ×3, first 2 shown]
.LBB146_48:                             ;   Parent Loop BB146_40 Depth=1
                                        ;     Parent Loop BB146_43 Depth=2
                                        ;       Parent Loop BB146_47 Depth=3
                                        ; =>      This Inner Loop Header: Depth=4
	v_mov_b32_e32 v10, s15
	buffer_load_dword v11, v10, s[0:3], 0 offen
	buffer_load_dword v12, v10, s[0:3], 0 offen offset:4
	v_mov_b32_e32 v8, s21
	ds_read_b64 v[8:9], v8
	s_add_i32 s22, s22, -1
	s_add_i32 s21, s21, 8
	s_add_i32 s15, s15, 8
	s_cmp_eq_u32 s22, 0
	s_waitcnt vmcnt(2) lgkmcnt(0)
	v_mul_f32_e32 v13, v9, v3
	v_mul_f32_e32 v9, v9, v2
	v_fma_f32 v13, v8, v2, -v13
	v_fmac_f32_e32 v9, v8, v3
	s_waitcnt vmcnt(1)
	v_sub_f32_e32 v8, v11, v13
	s_waitcnt vmcnt(0)
	v_sub_f32_e32 v9, v12, v9
	buffer_store_dword v8, v10, s[0:3], 0 offen
	buffer_store_dword v9, v10, s[0:3], 0 offen offset:4
	s_cbranch_scc0 .LBB146_48
; %bb.49:                               ;   in Loop: Header=BB146_47 Depth=3
	s_add_i32 s4, s4, 1
	s_addk_i32 s14, 0x60
	s_cmp_eq_u32 s4, s6
	s_cbranch_scc0 .LBB146_47
.LBB146_50:                             ;   in Loop: Header=BB146_43 Depth=2
	s_mov_b32 s4, 0
	s_mov_b32 s21, s19
	s_branch .LBB146_52
.LBB146_51:                             ;   in Loop: Header=BB146_52 Depth=3
	s_add_i32 s14, s4, s6
	s_mul_i32 s15, s14, 0x68
	v_mov_b32_e32 v8, s15
	ds_read_b64 v[8:9], v8
	s_lshl_b32 s15, s4, 3
	v_mov_b32_e32 v12, s15
	s_ashr_i32 s15, s14, 31
	s_lshl_b64 s[14:15], s[14:15], 3
	s_waitcnt vmcnt(0) lgkmcnt(0)
	v_mul_f32_e32 v10, v9, v3
	v_mul_f32_e32 v11, v8, v3
	v_fma_f32 v10, v8, v2, -v10
	v_fmac_f32_e32 v11, v9, v2
	v_mov_b32_e32 v3, s15
	v_add_co_u32_e32 v2, vcc, s14, v4
	s_add_i32 s4, s4, 1
	s_add_i32 s21, s21, 8
	v_addc_co_u32_e32 v3, vcc, v5, v3, vcc
	s_cmp_eq_u32 s4, s18
	buffer_store_dword v10, v12, s[0:3], 0 offen
	buffer_store_dword v11, v12, s[0:3], 0 offen offset:4
	global_store_dwordx2 v[2:3], v[10:11], off
	s_cbranch_scc1 .LBB146_42
.LBB146_52:                             ;   Parent Loop BB146_40 Depth=1
                                        ;     Parent Loop BB146_43 Depth=2
                                        ; =>    This Loop Header: Depth=3
                                        ;         Child Loop BB146_54 Depth 4
	s_cmp_lg_u32 s4, 0
	s_cbranch_scc0 .LBB146_56
; %bb.53:                               ;   in Loop: Header=BB146_52 Depth=3
	s_lshl_b32 s14, s4, 3
	v_mov_b32_e32 v8, s14
	buffer_load_dword v2, v8, s[0:3], 0 offen
	buffer_load_dword v3, v8, s[0:3], 0 offen offset:4
	s_mov_b32 s15, 0
	s_mov_b32 s22, s21
	;; [unrolled: 1-line block ×3, first 2 shown]
.LBB146_54:                             ;   Parent Loop BB146_40 Depth=1
                                        ;     Parent Loop BB146_43 Depth=2
                                        ;       Parent Loop BB146_52 Depth=3
                                        ; =>      This Inner Loop Header: Depth=4
	v_mov_b32_e32 v8, s15
	buffer_load_dword v10, v8, s[0:3], 0 offen offset:4
	buffer_load_dword v11, v8, s[0:3], 0 offen
	v_mov_b32_e32 v8, s22
	ds_read_b64 v[8:9], v8
	s_add_i32 s23, s23, -1
	s_addk_i32 s22, 0x60
	s_add_i32 s15, s15, 8
	v_mov_b32_e32 v12, s14
	s_cmp_eq_u32 s23, 0
	s_waitcnt vmcnt(1) lgkmcnt(0)
	v_mul_f32_e32 v13, v9, v10
	v_mul_f32_e32 v10, v8, v10
	s_waitcnt vmcnt(0)
	v_fma_f32 v8, v8, v11, -v13
	v_fmac_f32_e32 v10, v9, v11
	v_sub_f32_e32 v2, v2, v8
	v_sub_f32_e32 v3, v3, v10
	buffer_store_dword v2, v12, s[0:3], 0 offen
	buffer_store_dword v3, v12, s[0:3], 0 offen offset:4
	s_cbranch_scc0 .LBB146_54
; %bb.55:                               ;   in Loop: Header=BB146_52 Depth=3
	s_branch .LBB146_51
.LBB146_56:                             ;   in Loop: Header=BB146_52 Depth=3
                                        ; implicit-def: $vgpr2
                                        ; implicit-def: $vgpr3
	s_cbranch_execz .LBB146_51
; %bb.57:                               ;   in Loop: Header=BB146_52 Depth=3
	buffer_load_dword v2, off, s[0:3], 0
	buffer_load_dword v3, off, s[0:3], 0 offset:4
	s_branch .LBB146_51
.LBB146_58:
	s_endpgm
	.section	.rodata,"a",@progbits
	.p2align	6, 0x0
	.amdhsa_kernel _ZL30rocblas_trsm_small_left_deviceILi12ELi12ELb1E19rocblas_complex_numIfES1_PKS1_PS1_Ev13rocblas_fill_18rocblas_operation_17rocblas_diagonal_iiT3_T4_lilT5_lili
		.amdhsa_group_segment_fixed_size 1152
		.amdhsa_private_segment_fixed_size 112
		.amdhsa_kernarg_size 360
		.amdhsa_user_sgpr_count 6
		.amdhsa_user_sgpr_private_segment_buffer 1
		.amdhsa_user_sgpr_dispatch_ptr 0
		.amdhsa_user_sgpr_queue_ptr 0
		.amdhsa_user_sgpr_kernarg_segment_ptr 1
		.amdhsa_user_sgpr_dispatch_id 0
		.amdhsa_user_sgpr_flat_scratch_init 0
		.amdhsa_user_sgpr_private_segment_size 0
		.amdhsa_uses_dynamic_stack 0
		.amdhsa_system_sgpr_private_segment_wavefront_offset 1
		.amdhsa_system_sgpr_workgroup_id_x 1
		.amdhsa_system_sgpr_workgroup_id_y 0
		.amdhsa_system_sgpr_workgroup_id_z 1
		.amdhsa_system_sgpr_workgroup_info 0
		.amdhsa_system_vgpr_workitem_id 0
		.amdhsa_next_free_vgpr 14
		.amdhsa_next_free_sgpr 35
		.amdhsa_reserve_vcc 1
		.amdhsa_reserve_flat_scratch 0
		.amdhsa_float_round_mode_32 0
		.amdhsa_float_round_mode_16_64 0
		.amdhsa_float_denorm_mode_32 3
		.amdhsa_float_denorm_mode_16_64 3
		.amdhsa_dx10_clamp 1
		.amdhsa_ieee_mode 1
		.amdhsa_fp16_overflow 0
		.amdhsa_exception_fp_ieee_invalid_op 0
		.amdhsa_exception_fp_denorm_src 0
		.amdhsa_exception_fp_ieee_div_zero 0
		.amdhsa_exception_fp_ieee_overflow 0
		.amdhsa_exception_fp_ieee_underflow 0
		.amdhsa_exception_fp_ieee_inexact 0
		.amdhsa_exception_int_div_zero 0
	.end_amdhsa_kernel
	.section	.text._ZL30rocblas_trsm_small_left_deviceILi12ELi12ELb1E19rocblas_complex_numIfES1_PKS1_PS1_Ev13rocblas_fill_18rocblas_operation_17rocblas_diagonal_iiT3_T4_lilT5_lili,"axG",@progbits,_ZL30rocblas_trsm_small_left_deviceILi12ELi12ELb1E19rocblas_complex_numIfES1_PKS1_PS1_Ev13rocblas_fill_18rocblas_operation_17rocblas_diagonal_iiT3_T4_lilT5_lili,comdat
.Lfunc_end146:
	.size	_ZL30rocblas_trsm_small_left_deviceILi12ELi12ELb1E19rocblas_complex_numIfES1_PKS1_PS1_Ev13rocblas_fill_18rocblas_operation_17rocblas_diagonal_iiT3_T4_lilT5_lili, .Lfunc_end146-_ZL30rocblas_trsm_small_left_deviceILi12ELi12ELb1E19rocblas_complex_numIfES1_PKS1_PS1_Ev13rocblas_fill_18rocblas_operation_17rocblas_diagonal_iiT3_T4_lilT5_lili
                                        ; -- End function
	.set _ZL30rocblas_trsm_small_left_deviceILi12ELi12ELb1E19rocblas_complex_numIfES1_PKS1_PS1_Ev13rocblas_fill_18rocblas_operation_17rocblas_diagonal_iiT3_T4_lilT5_lili.num_vgpr, 14
	.set _ZL30rocblas_trsm_small_left_deviceILi12ELi12ELb1E19rocblas_complex_numIfES1_PKS1_PS1_Ev13rocblas_fill_18rocblas_operation_17rocblas_diagonal_iiT3_T4_lilT5_lili.num_agpr, 0
	.set _ZL30rocblas_trsm_small_left_deviceILi12ELi12ELb1E19rocblas_complex_numIfES1_PKS1_PS1_Ev13rocblas_fill_18rocblas_operation_17rocblas_diagonal_iiT3_T4_lilT5_lili.numbered_sgpr, 35
	.set _ZL30rocblas_trsm_small_left_deviceILi12ELi12ELb1E19rocblas_complex_numIfES1_PKS1_PS1_Ev13rocblas_fill_18rocblas_operation_17rocblas_diagonal_iiT3_T4_lilT5_lili.num_named_barrier, 0
	.set _ZL30rocblas_trsm_small_left_deviceILi12ELi12ELb1E19rocblas_complex_numIfES1_PKS1_PS1_Ev13rocblas_fill_18rocblas_operation_17rocblas_diagonal_iiT3_T4_lilT5_lili.private_seg_size, 112
	.set _ZL30rocblas_trsm_small_left_deviceILi12ELi12ELb1E19rocblas_complex_numIfES1_PKS1_PS1_Ev13rocblas_fill_18rocblas_operation_17rocblas_diagonal_iiT3_T4_lilT5_lili.uses_vcc, 1
	.set _ZL30rocblas_trsm_small_left_deviceILi12ELi12ELb1E19rocblas_complex_numIfES1_PKS1_PS1_Ev13rocblas_fill_18rocblas_operation_17rocblas_diagonal_iiT3_T4_lilT5_lili.uses_flat_scratch, 0
	.set _ZL30rocblas_trsm_small_left_deviceILi12ELi12ELb1E19rocblas_complex_numIfES1_PKS1_PS1_Ev13rocblas_fill_18rocblas_operation_17rocblas_diagonal_iiT3_T4_lilT5_lili.has_dyn_sized_stack, 0
	.set _ZL30rocblas_trsm_small_left_deviceILi12ELi12ELb1E19rocblas_complex_numIfES1_PKS1_PS1_Ev13rocblas_fill_18rocblas_operation_17rocblas_diagonal_iiT3_T4_lilT5_lili.has_recursion, 0
	.set _ZL30rocblas_trsm_small_left_deviceILi12ELi12ELb1E19rocblas_complex_numIfES1_PKS1_PS1_Ev13rocblas_fill_18rocblas_operation_17rocblas_diagonal_iiT3_T4_lilT5_lili.has_indirect_call, 0
	.section	.AMDGPU.csdata,"",@progbits
; Kernel info:
; codeLenInByte = 2532
; TotalNumSgprs: 39
; NumVgprs: 14
; ScratchSize: 112
; MemoryBound: 0
; FloatMode: 240
; IeeeMode: 1
; LDSByteSize: 1152 bytes/workgroup (compile time only)
; SGPRBlocks: 4
; VGPRBlocks: 3
; NumSGPRsForWavesPerEU: 39
; NumVGPRsForWavesPerEU: 14
; Occupancy: 10
; WaveLimiterHint : 0
; COMPUTE_PGM_RSRC2:SCRATCH_EN: 1
; COMPUTE_PGM_RSRC2:USER_SGPR: 6
; COMPUTE_PGM_RSRC2:TRAP_HANDLER: 0
; COMPUTE_PGM_RSRC2:TGID_X_EN: 1
; COMPUTE_PGM_RSRC2:TGID_Y_EN: 0
; COMPUTE_PGM_RSRC2:TGID_Z_EN: 1
; COMPUTE_PGM_RSRC2:TIDIG_COMP_CNT: 0
	.section	.text._ZL31rocblas_trsm_small_right_deviceI19rocblas_complex_numIfES1_PKS1_PS1_Li12EEv13rocblas_fill_18rocblas_operation_17rocblas_diagonal_iiT0_T1_lilT2_lili,"axG",@progbits,_ZL31rocblas_trsm_small_right_deviceI19rocblas_complex_numIfES1_PKS1_PS1_Li12EEv13rocblas_fill_18rocblas_operation_17rocblas_diagonal_iiT0_T1_lilT2_lili,comdat
	.globl	_ZL31rocblas_trsm_small_right_deviceI19rocblas_complex_numIfES1_PKS1_PS1_Li12EEv13rocblas_fill_18rocblas_operation_17rocblas_diagonal_iiT0_T1_lilT2_lili ; -- Begin function _ZL31rocblas_trsm_small_right_deviceI19rocblas_complex_numIfES1_PKS1_PS1_Li12EEv13rocblas_fill_18rocblas_operation_17rocblas_diagonal_iiT0_T1_lilT2_lili
	.p2align	8
	.type	_ZL31rocblas_trsm_small_right_deviceI19rocblas_complex_numIfES1_PKS1_PS1_Li12EEv13rocblas_fill_18rocblas_operation_17rocblas_diagonal_iiT0_T1_lilT2_lili,@function
_ZL31rocblas_trsm_small_right_deviceI19rocblas_complex_numIfES1_PKS1_PS1_Li12EEv13rocblas_fill_18rocblas_operation_17rocblas_diagonal_iiT0_T1_lilT2_lili: ; @_ZL31rocblas_trsm_small_right_deviceI19rocblas_complex_numIfES1_PKS1_PS1_Li12EEv13rocblas_fill_18rocblas_operation_17rocblas_diagonal_iiT0_T1_lilT2_lili
; %bb.0:
	s_load_dwordx8 s[8:15], s[4:5], 0x0
	s_load_dwordx4 s[0:3], s[4:5], 0x38
	s_load_dwordx2 s[16:17], s[4:5], 0x48
	s_waitcnt lgkmcnt(0)
	s_min_i32 s24, s12, 12
	v_cmp_gt_i32_e32 vcc, s24, v0
	s_and_saveexec_b64 s[18:19], vcc
	s_cbranch_execz .LBB147_9
; %bb.1:
	s_load_dword s22, s[4:5], 0x30
	s_load_dwordx4 s[28:31], s[4:5], 0x20
	s_mul_i32 s1, s1, s7
	s_mul_hi_u32 s15, s0, s7
	s_mul_i32 s0, s0, s7
	s_waitcnt lgkmcnt(0)
	s_ashr_i32 s23, s22, 31
	s_cmpk_lg_i32 s9, 0x71
	s_cselect_b64 s[20:21], -1, 0
	s_add_i32 s1, s15, s1
	s_lshl_b64 s[0:1], s[0:1], 3
	s_lshl_b64 s[26:27], s[30:31], 3
	s_add_u32 s0, s0, s26
	s_addc_u32 s1, s1, s27
	s_add_u32 s0, s28, s0
	v_lshlrev_b32_e32 v5, 3, v0
	s_addc_u32 s1, s29, s1
	v_mov_b32_e32 v1, s1
	v_add_co_u32_e32 v2, vcc, s0, v5
	v_addc_co_u32_e32 v3, vcc, 0, v1, vcc
	v_add_co_u32_e32 v1, vcc, 4, v2
	s_lshl_b64 s[0:1], s[22:23], 3
	v_addc_co_u32_e32 v2, vcc, 0, v3, vcc
	v_mov_b32_e32 v6, s1
	v_mov_b32_e32 v7, v5
	s_mov_b32 s1, s24
	s_branch .LBB147_3
.LBB147_2:                              ;   in Loop: Header=BB147_3 Depth=1
	global_load_dword v3, v[1:2], off offset:-4
	s_add_i32 s1, s1, -1
	v_add_co_u32_e32 v1, vcc, s0, v1
	v_addc_co_u32_e32 v2, vcc, v2, v6, vcc
	s_cmp_eq_u32 s1, 0
	s_waitcnt vmcnt(0)
	ds_write_b64 v7, v[3:4]
	v_add_u32_e32 v7, 0x60, v7
	s_cbranch_scc1 .LBB147_7
.LBB147_3:                              ; =>This Inner Loop Header: Depth=1
	s_mov_b64 s[22:23], -1
	s_and_b64 vcc, exec, s[20:21]
                                        ; implicit-def: $vgpr4
	s_cbranch_vccz .LBB147_5
; %bb.4:                                ;   in Loop: Header=BB147_3 Depth=1
	global_load_dword v4, v[1:2], off
	s_mov_b64 s[22:23], 0
.LBB147_5:                              ;   in Loop: Header=BB147_3 Depth=1
	s_andn2_b64 vcc, exec, s[22:23]
	s_cbranch_vccnz .LBB147_2
; %bb.6:                                ;   in Loop: Header=BB147_3 Depth=1
	global_load_dword v3, v[1:2], off
	s_waitcnt vmcnt(0)
	v_xor_b32_e32 v4, 0x80000000, v3
	s_branch .LBB147_2
.LBB147_7:
	s_cmpk_eq_i32 s10, 0x84
	s_cbranch_scc0 .LBB147_9
; %bb.8:
	s_movk_i32 s0, 0x60
	v_mad_u32_u24 v3, v0, s0, v5
	v_mov_b32_e32 v1, 1.0
	v_mov_b32_e32 v2, 0
	ds_write_b64 v3, v[1:2]
.LBB147_9:
	s_or_b64 exec, exec, s[18:19]
	s_load_dword s0, s[4:5], 0x68
	s_load_dwordx2 s[18:19], s[4:5], 0x58
	s_load_dword s10, s[4:5], 0x50
	s_mul_hi_i32 s20, s6, 0x60
	s_mul_i32 s21, s6, 0x60
	s_waitcnt lgkmcnt(0)
	s_add_i32 s0, s0, -1
	s_mul_i32 s1, s19, s7
	s_mul_hi_u32 s5, s18, s7
	s_add_i32 s5, s5, s1
	s_mul_i32 s1, s6, -12
	s_add_i32 s1, s11, s1
	s_cmp_ge_u32 s6, s0
	s_cselect_b32 s0, s1, 12
	s_mul_i32 s4, s18, s7
	v_cmp_gt_i32_e64 s[0:1], s0, v0
	s_and_saveexec_b64 s[6:7], s[0:1]
	s_cbranch_execz .LBB147_13
; %bb.10:
	s_cmp_lt_i32 s12, 1
	s_cbranch_scc1 .LBB147_13
; %bb.11:
	s_ashr_i32 s11, s10, 31
	s_lshl_b64 s[18:19], s[4:5], 3
	s_add_u32 s15, s18, s21
	s_addc_u32 s22, s19, s20
	s_lshl_b64 s[18:19], s[16:17], 3
	s_add_u32 s15, s15, s18
	s_addc_u32 s18, s22, s19
	s_add_u32 s15, s2, s15
	v_lshlrev_b32_e32 v3, 3, v0
	s_addc_u32 s18, s3, s18
	v_mov_b32_e32 v1, s18
	v_add_co_u32_e32 v2, vcc, s15, v3
	v_addc_co_u32_e32 v4, vcc, 0, v1, vcc
	v_add_co_u32_e32 v1, vcc, 4, v2
	s_lshl_b64 s[18:19], s[10:11], 3
	v_addc_co_u32_e32 v2, vcc, 0, v4, vcc
	v_or_b32_e32 v3, 0x480, v3
	v_mov_b32_e32 v4, s19
	s_mov_b32 s11, s12
.LBB147_12:                             ; =>This Inner Loop Header: Depth=1
	global_load_dwordx2 v[5:6], v[1:2], off offset:-4
	s_add_i32 s11, s11, -1
	v_add_co_u32_e32 v1, vcc, s18, v1
	v_addc_co_u32_e32 v2, vcc, v2, v4, vcc
	s_cmp_lg_u32 s11, 0
	s_waitcnt vmcnt(0)
	v_mul_f32_e32 v8, s14, v6
	v_mul_f32_e32 v7, s13, v6
	v_fma_f32 v6, s13, v5, -v8
	v_fmac_f32_e32 v7, s14, v5
	ds_write_b64 v3, v[6:7]
	v_add_u32_e32 v3, 0x60, v3
	s_cbranch_scc1 .LBB147_12
.LBB147_13:
	s_or_b64 exec, exec, s[6:7]
	s_cmpk_eq_i32 s9, 0x6f
	s_cselect_b64 s[6:7], -1, 0
	s_cmpk_lg_i32 s8, 0x79
	s_cselect_b64 s[14:15], -1, 0
	s_cmpk_eq_i32 s8, 0x79
	s_cselect_b64 s[18:19], -1, 0
	s_and_b64 s[18:19], s[18:19], s[6:7]
	s_andn2_b64 vcc, exec, s[18:19]
	s_mov_b64 s[18:19], -1
	s_waitcnt lgkmcnt(0)
	; wave barrier
	s_cbranch_vccz .LBB147_114
; %bb.14:
	s_cmpk_lg_i32 s8, 0x7a
	s_cselect_b64 s[18:19], -1, 0
	s_xor_b64 s[6:7], s[6:7], -1
	s_add_i32 s11, s24, -1
	s_or_b64 s[18:19], s[18:19], s[6:7]
	v_mov_b32_e32 v1, 0x480
	s_cmp_gt_i32 s12, 3
	s_mov_b64 s[8:9], -1
	v_lshl_or_b32 v15, v0, 3, v1
	s_cselect_b64 s[6:7], -1, 0
	s_and_b64 vcc, exec, s[18:19]
	s_cbranch_vccz .LBB147_81
; %bb.15:
	s_andn2_b64 vcc, exec, s[14:15]
	s_cbranch_vccnz .LBB147_48
; %bb.16:
	s_andn2_b64 vcc, exec, s[6:7]
	s_mov_b32 s15, 0
	s_cbranch_vccnz .LBB147_38
; %bb.17:
	v_mov_b32_e32 v1, 0x480
	v_lshl_or_b32 v16, v0, 3, v1
	s_mov_b32 s13, 0
	s_mov_b32 s14, 0
.LBB147_18:                             ; =>This Loop Header: Depth=1
                                        ;     Child Loop BB147_19 Depth 2
	s_or_b32 s9, s14, 3
	s_mul_i32 s8, s14, 0x60
	v_add_u32_e32 v18, s8, v15
	s_mulk_i32 s9, 0x60
	ds_read2_b64 v[1:4], v18 offset1:12
	v_add_u32_e32 v17, s9, v15
	ds_read_b64 v[11:12], v18 offset:192
	ds_read_b64 v[9:10], v17
	s_cmp_eq_u32 s14, 0
	v_mov_b32_e32 v5, v16
	s_mov_b32 s9, s13
	s_mov_b32 s15, s14
	s_cbranch_scc1 .LBB147_20
.LBB147_19:                             ;   Parent Loop BB147_18 Depth=1
                                        ; =>  This Inner Loop Header: Depth=2
	v_mov_b32_e32 v8, s9
	ds_read_b64 v[6:7], v5
	ds_read_b128 v[19:22], v8
	ds_read_b128 v[23:26], v8 offset:16
	s_add_i32 s15, s15, -1
	s_addk_i32 s9, 0x60
	v_add_u32_e32 v5, 0x60, v5
	s_waitcnt lgkmcnt(1)
	v_mul_f32_e32 v8, v20, v7
	v_mul_f32_e32 v13, v19, v7
	;; [unrolled: 1-line block ×4, first 2 shown]
	s_waitcnt lgkmcnt(0)
	v_mul_f32_e32 v27, v24, v7
	v_mul_f32_e32 v24, v24, v6
	v_mul_f32_e32 v28, v26, v7
	v_mul_f32_e32 v26, v26, v6
	v_fma_f32 v8, v19, v6, -v8
	v_fmac_f32_e32 v13, v20, v6
	v_fma_f32 v14, v21, v6, -v14
	v_fmac_f32_e32 v22, v21, v7
	v_fma_f32 v19, v23, v6, -v27
	v_fmac_f32_e32 v24, v23, v7
	v_fma_f32 v6, v25, v6, -v28
	v_fmac_f32_e32 v26, v25, v7
	s_cmp_eq_u32 s15, 0
	v_sub_f32_e32 v1, v1, v8
	v_sub_f32_e32 v2, v2, v13
	;; [unrolled: 1-line block ×8, first 2 shown]
	s_cbranch_scc0 .LBB147_19
.LBB147_20:                             ;   in Loop: Header=BB147_18 Depth=1
	s_lshl_b32 s15, s14, 3
	s_add_i32 s18, s15, s8
	v_mov_b32_e32 v5, s18
	ds_read_b64 v[5:6], v5
	s_mov_b64 s[8:9], -1
                                        ; implicit-def: $vgpr14
	s_waitcnt lgkmcnt(0)
	v_cmp_ngt_f32_e64 s[22:23], |v5|, |v6|
	s_and_b64 vcc, exec, s[22:23]
	s_cbranch_vccz .LBB147_22
; %bb.21:                               ;   in Loop: Header=BB147_18 Depth=1
	v_div_scale_f32 v7, s[8:9], v6, v6, v5
	v_div_scale_f32 v8, vcc, v5, v6, v5
	v_rcp_f32_e32 v13, v7
	v_fma_f32 v14, -v7, v13, 1.0
	v_fmac_f32_e32 v13, v14, v13
	v_mul_f32_e32 v14, v8, v13
	v_fma_f32 v19, -v7, v14, v8
	v_fmac_f32_e32 v14, v19, v13
	v_fma_f32 v7, -v7, v14, v8
	v_div_fmas_f32 v7, v7, v13, v14
	v_div_fixup_f32 v7, v7, v6, v5
	v_fma_f32 v8, v5, v7, v6
	v_div_scale_f32 v13, s[8:9], v8, v8, 1.0
	v_div_scale_f32 v14, vcc, 1.0, v8, 1.0
	s_mov_b64 s[8:9], 0
	v_rcp_f32_e32 v19, v13
	v_fma_f32 v20, -v13, v19, 1.0
	v_fmac_f32_e32 v19, v20, v19
	v_mul_f32_e32 v20, v14, v19
	v_fma_f32 v21, -v13, v20, v14
	v_fmac_f32_e32 v20, v21, v19
	v_fma_f32 v13, -v13, v20, v14
	v_div_fmas_f32 v13, v13, v19, v20
	v_fma_f32 v14, v1, v7, v2
	v_fma_f32 v7, v2, v7, -v1
	v_div_fixup_f32 v8, v13, v8, 1.0
	v_mul_f32_e32 v13, v14, v8
	v_mul_f32_e32 v14, v7, v8
.LBB147_22:                             ;   in Loop: Header=BB147_18 Depth=1
	s_andn2_b64 vcc, exec, s[8:9]
	s_cbranch_vccnz .LBB147_24
; %bb.23:                               ;   in Loop: Header=BB147_18 Depth=1
	v_div_scale_f32 v7, s[8:9], v5, v5, v6
	v_div_scale_f32 v8, vcc, v6, v5, v6
	v_rcp_f32_e32 v13, v7
	v_fma_f32 v14, -v7, v13, 1.0
	v_fmac_f32_e32 v13, v14, v13
	v_mul_f32_e32 v14, v8, v13
	v_fma_f32 v19, -v7, v14, v8
	v_fmac_f32_e32 v14, v19, v13
	v_fma_f32 v7, -v7, v14, v8
	v_div_fmas_f32 v7, v7, v13, v14
	v_div_fixup_f32 v7, v7, v5, v6
	v_fmac_f32_e32 v5, v6, v7
	v_div_scale_f32 v6, s[8:9], v5, v5, 1.0
	v_div_scale_f32 v8, vcc, 1.0, v5, 1.0
	v_rcp_f32_e32 v13, v6
	v_fma_f32 v14, -v6, v13, 1.0
	v_fmac_f32_e32 v13, v14, v13
	v_mul_f32_e32 v14, v8, v13
	v_fma_f32 v19, -v6, v14, v8
	v_fmac_f32_e32 v14, v19, v13
	v_fma_f32 v6, -v6, v14, v8
	v_div_fmas_f32 v6, v6, v13, v14
	v_fma_f32 v8, v2, v7, v1
	v_fma_f32 v1, -v1, v7, v2
	v_div_fixup_f32 v2, v6, v5, 1.0
	v_mul_f32_e32 v13, v8, v2
	v_mul_f32_e32 v14, v1, v2
.LBB147_24:                             ;   in Loop: Header=BB147_18 Depth=1
	v_mov_b32_e32 v1, s18
	ds_read2_b64 v[5:8], v1 offset0:1 offset1:13
	s_mov_b64 s[8:9], -1
	ds_write_b64 v18, v[13:14]
	s_waitcnt lgkmcnt(1)
	v_mul_f32_e32 v1, v14, v6
	v_mul_f32_e32 v2, v13, v6
	v_fma_f32 v1, v13, v5, -v1
	v_fmac_f32_e32 v2, v14, v5
	v_cmp_ngt_f32_e64 s[22:23], |v7|, |v8|
	v_sub_f32_e32 v1, v3, v1
	v_sub_f32_e32 v2, v4, v2
	s_and_b64 vcc, exec, s[22:23]
                                        ; implicit-def: $vgpr6
	s_cbranch_vccz .LBB147_26
; %bb.25:                               ;   in Loop: Header=BB147_18 Depth=1
	v_div_scale_f32 v3, s[8:9], v8, v8, v7
	v_div_scale_f32 v4, vcc, v7, v8, v7
	v_rcp_f32_e32 v5, v3
	v_fma_f32 v6, -v3, v5, 1.0
	v_fmac_f32_e32 v5, v6, v5
	v_mul_f32_e32 v6, v4, v5
	v_fma_f32 v19, -v3, v6, v4
	v_fmac_f32_e32 v6, v19, v5
	v_fma_f32 v3, -v3, v6, v4
	v_div_fmas_f32 v3, v3, v5, v6
	v_div_fixup_f32 v3, v3, v8, v7
	v_fma_f32 v4, v7, v3, v8
	v_div_scale_f32 v5, s[8:9], v4, v4, 1.0
	v_div_scale_f32 v6, vcc, 1.0, v4, 1.0
	s_mov_b64 s[8:9], 0
	v_rcp_f32_e32 v19, v5
	v_fma_f32 v20, -v5, v19, 1.0
	v_fmac_f32_e32 v19, v20, v19
	v_mul_f32_e32 v20, v6, v19
	v_fma_f32 v21, -v5, v20, v6
	v_fmac_f32_e32 v20, v21, v19
	v_fma_f32 v5, -v5, v20, v6
	v_div_fmas_f32 v5, v5, v19, v20
	v_fma_f32 v6, v3, v1, v2
	v_fma_f32 v3, v3, v2, -v1
	v_div_fixup_f32 v4, v5, v4, 1.0
	v_mul_f32_e32 v5, v6, v4
	v_mul_f32_e32 v6, v3, v4
.LBB147_26:                             ;   in Loop: Header=BB147_18 Depth=1
	s_andn2_b64 vcc, exec, s[8:9]
	s_cbranch_vccnz .LBB147_28
; %bb.27:                               ;   in Loop: Header=BB147_18 Depth=1
	v_div_scale_f32 v3, s[8:9], v7, v7, v8
	v_div_scale_f32 v4, vcc, v8, v7, v8
	v_rcp_f32_e32 v5, v3
	v_fma_f32 v6, -v3, v5, 1.0
	v_fmac_f32_e32 v5, v6, v5
	v_mul_f32_e32 v6, v4, v5
	v_fma_f32 v19, -v3, v6, v4
	v_fmac_f32_e32 v6, v19, v5
	v_fma_f32 v3, -v3, v6, v4
	v_div_fmas_f32 v3, v3, v5, v6
	v_div_fixup_f32 v3, v3, v7, v8
	v_fmac_f32_e32 v7, v8, v3
	v_div_scale_f32 v4, s[8:9], v7, v7, 1.0
	v_div_scale_f32 v5, vcc, 1.0, v7, 1.0
	v_rcp_f32_e32 v6, v4
	v_fma_f32 v8, -v4, v6, 1.0
	v_fmac_f32_e32 v6, v8, v6
	v_mul_f32_e32 v8, v5, v6
	v_fma_f32 v19, -v4, v8, v5
	v_fmac_f32_e32 v8, v19, v6
	v_fma_f32 v4, -v4, v8, v5
	v_div_fmas_f32 v4, v4, v6, v8
	v_fma_f32 v5, v3, v2, v1
	v_fma_f32 v1, -v3, v1, v2
	v_div_fixup_f32 v2, v4, v7, 1.0
	v_mul_f32_e32 v5, v5, v2
	v_mul_f32_e32 v6, v1, v2
.LBB147_28:                             ;   in Loop: Header=BB147_18 Depth=1
	v_mov_b32_e32 v1, s18
	ds_read2_b64 v[1:4], v1 offset0:2 offset1:26
	s_add_i32 s19, s18, 0x68
	s_or_b32 s8, s15, 8
	s_sub_i32 s22, s19, s8
	s_add_i32 s22, s22, s15
	s_waitcnt lgkmcnt(0)
	v_mul_f32_e32 v7, v14, v2
	v_fma_f32 v19, v13, v1, -v7
	v_mov_b32_e32 v7, s22
	ds_read_b64 v[7:8], v7 offset:16
	v_mul_f32_e32 v2, v13, v2
	v_fmac_f32_e32 v2, v14, v1
	v_sub_f32_e32 v1, v11, v19
	v_sub_f32_e32 v2, v12, v2
	s_waitcnt lgkmcnt(0)
	v_mul_f32_e32 v11, v6, v8
	v_mul_f32_e32 v8, v5, v8
	v_fma_f32 v11, v5, v7, -v11
	v_fmac_f32_e32 v8, v6, v7
	v_cmp_ngt_f32_e64 s[26:27], |v3|, |v4|
	v_sub_f32_e32 v1, v1, v11
	v_sub_f32_e32 v2, v2, v8
	s_mov_b64 s[8:9], -1
	s_and_b64 vcc, exec, s[26:27]
	ds_write_b64 v18, v[5:6] offset:96
                                        ; implicit-def: $vgpr8
	s_cbranch_vccz .LBB147_30
; %bb.29:                               ;   in Loop: Header=BB147_18 Depth=1
	v_div_scale_f32 v7, s[8:9], v4, v4, v3
	v_div_scale_f32 v8, vcc, v3, v4, v3
	v_rcp_f32_e32 v11, v7
	v_fma_f32 v12, -v7, v11, 1.0
	v_fmac_f32_e32 v11, v12, v11
	v_mul_f32_e32 v12, v8, v11
	v_fma_f32 v19, -v7, v12, v8
	v_fmac_f32_e32 v12, v19, v11
	v_fma_f32 v7, -v7, v12, v8
	v_div_fmas_f32 v7, v7, v11, v12
	v_div_fixup_f32 v7, v7, v4, v3
	v_fma_f32 v8, v3, v7, v4
	v_div_scale_f32 v11, s[8:9], v8, v8, 1.0
	v_div_scale_f32 v12, vcc, 1.0, v8, 1.0
	s_mov_b64 s[8:9], 0
	v_rcp_f32_e32 v19, v11
	v_fma_f32 v20, -v11, v19, 1.0
	v_fmac_f32_e32 v19, v20, v19
	v_mul_f32_e32 v20, v12, v19
	v_fma_f32 v21, -v11, v20, v12
	v_fmac_f32_e32 v20, v21, v19
	v_fma_f32 v11, -v11, v20, v12
	v_div_fmas_f32 v11, v11, v19, v20
	v_fma_f32 v12, v7, v1, v2
	v_fma_f32 v19, v7, v2, -v1
	v_div_fixup_f32 v8, v11, v8, 1.0
	v_mul_f32_e32 v7, v12, v8
	v_mul_f32_e32 v8, v19, v8
.LBB147_30:                             ;   in Loop: Header=BB147_18 Depth=1
	s_andn2_b64 vcc, exec, s[8:9]
	s_cbranch_vccnz .LBB147_32
; %bb.31:                               ;   in Loop: Header=BB147_18 Depth=1
	v_div_scale_f32 v7, s[8:9], v3, v3, v4
	v_div_scale_f32 v8, vcc, v4, v3, v4
	v_rcp_f32_e32 v11, v7
	v_fma_f32 v12, -v7, v11, 1.0
	v_fmac_f32_e32 v11, v12, v11
	v_mul_f32_e32 v12, v8, v11
	v_fma_f32 v19, -v7, v12, v8
	v_fmac_f32_e32 v12, v19, v11
	v_fma_f32 v7, -v7, v12, v8
	v_div_fmas_f32 v7, v7, v11, v12
	v_div_fixup_f32 v7, v7, v3, v4
	v_fmac_f32_e32 v3, v4, v7
	v_div_scale_f32 v4, s[8:9], v3, v3, 1.0
	v_div_scale_f32 v8, vcc, 1.0, v3, 1.0
	v_rcp_f32_e32 v11, v4
	v_fma_f32 v12, -v4, v11, 1.0
	v_fmac_f32_e32 v11, v12, v11
	v_mul_f32_e32 v12, v8, v11
	v_fma_f32 v19, -v4, v12, v8
	v_fmac_f32_e32 v12, v19, v11
	v_fma_f32 v4, -v4, v12, v8
	v_div_fmas_f32 v4, v4, v11, v12
	v_fma_f32 v8, v7, v2, v1
	v_fma_f32 v1, -v7, v1, v2
	v_div_fixup_f32 v2, v4, v3, 1.0
	v_mul_f32_e32 v7, v8, v2
	v_mul_f32_e32 v8, v1, v2
.LBB147_32:                             ;   in Loop: Header=BB147_18 Depth=1
	v_mov_b32_e32 v1, s18
	ds_read2_b64 v[1:4], v1 offset0:3 offset1:39
	s_or_b32 s8, s15, 16
	s_sub_i32 s8, s19, s8
	s_add_i32 s8, s8, s15
	ds_write_b64 v18, v[7:8] offset:192
	s_waitcnt lgkmcnt(1)
	v_mul_f32_e32 v11, v14, v2
	v_mul_f32_e32 v12, v13, v2
	v_fma_f32 v2, v13, v1, -v11
	v_fmac_f32_e32 v12, v14, v1
	v_mov_b32_e32 v1, s22
	v_sub_f32_e32 v11, v9, v2
	ds_read_b64 v[1:2], v1 offset:24
	v_mov_b32_e32 v9, s8
	v_sub_f32_e32 v12, v10, v12
	ds_read_b64 v[9:10], v9 offset:128
	v_cmp_ngt_f32_e64 s[18:19], |v3|, |v4|
	s_waitcnt lgkmcnt(1)
	v_mul_f32_e32 v13, v6, v2
	v_mul_f32_e32 v2, v5, v2
	v_fma_f32 v13, v5, v1, -v13
	v_fmac_f32_e32 v2, v6, v1
	s_waitcnt lgkmcnt(0)
	v_mul_f32_e32 v5, v8, v10
	v_mul_f32_e32 v6, v7, v10
	v_sub_f32_e32 v1, v11, v13
	v_sub_f32_e32 v2, v12, v2
	v_fma_f32 v5, v7, v9, -v5
	v_fmac_f32_e32 v6, v8, v9
	v_sub_f32_e32 v5, v1, v5
	v_sub_f32_e32 v6, v2, v6
	s_mov_b64 s[8:9], -1
	s_and_b64 vcc, exec, s[18:19]
                                        ; implicit-def: $vgpr2
	s_cbranch_vccz .LBB147_34
; %bb.33:                               ;   in Loop: Header=BB147_18 Depth=1
	v_div_scale_f32 v1, s[8:9], v4, v4, v3
	v_div_scale_f32 v2, vcc, v3, v4, v3
	v_rcp_f32_e32 v7, v1
	v_fma_f32 v8, -v1, v7, 1.0
	v_fmac_f32_e32 v7, v8, v7
	v_mul_f32_e32 v8, v2, v7
	v_fma_f32 v9, -v1, v8, v2
	v_fmac_f32_e32 v8, v9, v7
	v_fma_f32 v1, -v1, v8, v2
	v_div_fmas_f32 v1, v1, v7, v8
	v_div_fixup_f32 v1, v1, v4, v3
	v_fma_f32 v2, v3, v1, v4
	v_div_scale_f32 v7, s[8:9], v2, v2, 1.0
	v_div_scale_f32 v8, vcc, 1.0, v2, 1.0
	s_mov_b64 s[8:9], 0
	v_rcp_f32_e32 v9, v7
	v_fma_f32 v10, -v7, v9, 1.0
	v_fmac_f32_e32 v9, v10, v9
	v_mul_f32_e32 v10, v8, v9
	v_fma_f32 v11, -v7, v10, v8
	v_fmac_f32_e32 v10, v11, v9
	v_fma_f32 v7, -v7, v10, v8
	v_div_fmas_f32 v7, v7, v9, v10
	v_fma_f32 v8, v1, v5, v6
	v_fma_f32 v9, v1, v6, -v5
	v_div_fixup_f32 v2, v7, v2, 1.0
	v_mul_f32_e32 v1, v8, v2
	v_mul_f32_e32 v2, v9, v2
.LBB147_34:                             ;   in Loop: Header=BB147_18 Depth=1
	s_andn2_b64 vcc, exec, s[8:9]
	s_cbranch_vccnz .LBB147_36
; %bb.35:                               ;   in Loop: Header=BB147_18 Depth=1
	v_div_scale_f32 v1, s[8:9], v3, v3, v4
	v_div_scale_f32 v2, vcc, v4, v3, v4
	v_rcp_f32_e32 v7, v1
	v_fma_f32 v8, -v1, v7, 1.0
	v_fmac_f32_e32 v7, v8, v7
	v_mul_f32_e32 v8, v2, v7
	v_fma_f32 v9, -v1, v8, v2
	v_fmac_f32_e32 v8, v9, v7
	v_fma_f32 v1, -v1, v8, v2
	v_div_fmas_f32 v1, v1, v7, v8
	v_div_fixup_f32 v1, v1, v3, v4
	v_fmac_f32_e32 v3, v4, v1
	v_div_scale_f32 v2, s[8:9], v3, v3, 1.0
	v_div_scale_f32 v4, vcc, 1.0, v3, 1.0
	v_rcp_f32_e32 v7, v2
	v_fma_f32 v8, -v2, v7, 1.0
	v_fmac_f32_e32 v7, v8, v7
	v_mul_f32_e32 v8, v4, v7
	v_fma_f32 v9, -v2, v8, v4
	v_fmac_f32_e32 v8, v9, v7
	v_fma_f32 v2, -v2, v8, v4
	v_div_fmas_f32 v2, v2, v7, v8
	v_fma_f32 v4, v1, v6, v5
	v_fma_f32 v5, -v1, v5, v6
	v_div_fixup_f32 v2, v2, v3, 1.0
	v_mul_f32_e32 v1, v4, v2
	v_mul_f32_e32 v2, v5, v2
.LBB147_36:                             ;   in Loop: Header=BB147_18 Depth=1
	s_add_i32 s15, s14, 4
	s_add_i32 s8, s14, 7
	;; [unrolled: 1-line block ×3, first 2 shown]
	s_cmp_ge_i32 s8, s24
	ds_write_b64 v17, v[1:2]
	s_cbranch_scc1 .LBB147_38
; %bb.37:                               ;   in Loop: Header=BB147_18 Depth=1
	s_mov_b32 s14, s15
	s_branch .LBB147_18
.LBB147_38:
	s_cmp_ge_i32 s15, s24
	s_cbranch_scc1 .LBB147_47
; %bb.39:
	v_mov_b32_e32 v1, 0x480
	s_lshl_b32 s13, s15, 3
	v_lshl_or_b32 v7, v0, 3, v1
	s_branch .LBB147_41
.LBB147_40:                             ;   in Loop: Header=BB147_41 Depth=1
	s_add_i32 s15, s15, 1
	s_add_i32 s13, s13, 8
	s_cmp_ge_i32 s15, s24
	ds_write_b64 v8, v[5:6]
	s_cbranch_scc1 .LBB147_47
.LBB147_41:                             ; =>This Loop Header: Depth=1
                                        ;     Child Loop BB147_42 Depth 2
	s_mul_i32 s8, s15, 0x60
	v_add_u32_e32 v8, s8, v15
	ds_read_b64 v[1:2], v8
	s_cmp_eq_u32 s15, 0
	v_mov_b32_e32 v3, v7
	s_mov_b32 s9, s13
	s_mov_b32 s14, s15
	s_cbranch_scc1 .LBB147_43
.LBB147_42:                             ;   Parent Loop BB147_41 Depth=1
                                        ; =>  This Inner Loop Header: Depth=2
	v_mov_b32_e32 v6, s9
	ds_read_b64 v[4:5], v3
	ds_read_b64 v[9:10], v6
	s_add_i32 s14, s14, -1
	s_addk_i32 s9, 0x60
	v_add_u32_e32 v3, 0x60, v3
	s_cmp_eq_u32 s14, 0
	s_waitcnt lgkmcnt(0)
	v_mul_f32_e32 v6, v10, v5
	v_mul_f32_e32 v5, v9, v5
	v_fma_f32 v6, v9, v4, -v6
	v_fmac_f32_e32 v5, v10, v4
	v_sub_f32_e32 v1, v1, v6
	v_sub_f32_e32 v2, v2, v5
	s_cbranch_scc0 .LBB147_42
.LBB147_43:                             ;   in Loop: Header=BB147_41 Depth=1
	s_lshl_b32 s9, s15, 3
	s_add_i32 s8, s9, s8
	v_mov_b32_e32 v3, s8
	ds_read_b64 v[3:4], v3
	s_mov_b64 s[8:9], -1
                                        ; implicit-def: $vgpr5
	s_waitcnt lgkmcnt(0)
	v_cmp_ngt_f32_e64 s[18:19], |v3|, |v4|
	s_and_b64 vcc, exec, s[18:19]
	s_cbranch_vccz .LBB147_45
; %bb.44:                               ;   in Loop: Header=BB147_41 Depth=1
	v_div_scale_f32 v5, s[8:9], v4, v4, v3
	v_div_scale_f32 v6, vcc, v3, v4, v3
	v_rcp_f32_e32 v9, v5
	v_fma_f32 v10, -v5, v9, 1.0
	v_fmac_f32_e32 v9, v10, v9
	v_mul_f32_e32 v10, v6, v9
	v_fma_f32 v11, -v5, v10, v6
	v_fmac_f32_e32 v10, v11, v9
	v_fma_f32 v5, -v5, v10, v6
	v_div_fmas_f32 v5, v5, v9, v10
	v_div_fixup_f32 v5, v5, v4, v3
	v_fma_f32 v6, v3, v5, v4
	v_div_scale_f32 v9, s[8:9], v6, v6, 1.0
	v_div_scale_f32 v10, vcc, 1.0, v6, 1.0
	s_mov_b64 s[8:9], 0
	v_rcp_f32_e32 v11, v9
	v_fma_f32 v12, -v9, v11, 1.0
	v_fmac_f32_e32 v11, v12, v11
	v_mul_f32_e32 v12, v10, v11
	v_fma_f32 v13, -v9, v12, v10
	v_fmac_f32_e32 v12, v13, v11
	v_fma_f32 v9, -v9, v12, v10
	v_div_fmas_f32 v9, v9, v11, v12
	v_fma_f32 v10, v1, v5, v2
	v_fma_f32 v11, v2, v5, -v1
	v_div_fixup_f32 v6, v9, v6, 1.0
	v_mul_f32_e32 v5, v10, v6
	v_mul_f32_e32 v6, v11, v6
.LBB147_45:                             ;   in Loop: Header=BB147_41 Depth=1
	s_andn2_b64 vcc, exec, s[8:9]
	s_cbranch_vccnz .LBB147_40
; %bb.46:                               ;   in Loop: Header=BB147_41 Depth=1
	v_div_scale_f32 v5, s[8:9], v3, v3, v4
	v_div_scale_f32 v6, vcc, v4, v3, v4
	v_rcp_f32_e32 v9, v5
	v_fma_f32 v10, -v5, v9, 1.0
	v_fmac_f32_e32 v9, v10, v9
	v_mul_f32_e32 v10, v6, v9
	v_fma_f32 v11, -v5, v10, v6
	v_fmac_f32_e32 v10, v11, v9
	v_fma_f32 v5, -v5, v10, v6
	v_div_fmas_f32 v5, v5, v9, v10
	v_div_fixup_f32 v5, v5, v3, v4
	v_fmac_f32_e32 v3, v4, v5
	v_div_scale_f32 v4, s[8:9], v3, v3, 1.0
	v_div_scale_f32 v6, vcc, 1.0, v3, 1.0
	v_rcp_f32_e32 v9, v4
	v_fma_f32 v10, -v4, v9, 1.0
	v_fmac_f32_e32 v9, v10, v9
	v_mul_f32_e32 v10, v6, v9
	v_fma_f32 v11, -v4, v10, v6
	v_fmac_f32_e32 v10, v11, v9
	v_fma_f32 v4, -v4, v10, v6
	v_div_fmas_f32 v4, v4, v9, v10
	v_fma_f32 v6, v2, v5, v1
	v_fma_f32 v1, -v1, v5, v2
	v_div_fixup_f32 v2, v4, v3, 1.0
	v_mul_f32_e32 v5, v6, v2
	v_mul_f32_e32 v6, v1, v2
	s_branch .LBB147_40
.LBB147_47:
	s_mov_b64 s[8:9], 0
.LBB147_48:
	s_and_b64 vcc, exec, s[8:9]
	s_cbranch_vccz .LBB147_80
; %bb.49:
	s_andn2_b64 vcc, exec, s[6:7]
	s_mov_b32 s15, s11
	s_cbranch_vccnz .LBB147_71
; %bb.50:
	s_mul_i32 s8, s24, 0x68
	s_add_i32 s13, s8, 0xffffff80
	s_mul_i32 s8, s24, 0x60
	v_lshl_add_u32 v1, v0, 3, s8
	v_add_u32_e32 v13, 0x420, v1
	s_mov_b32 s14, s11
.LBB147_51:                             ; =>This Loop Header: Depth=1
                                        ;     Child Loop BB147_52 Depth 2
	s_mul_i32 s8, s14, 0x60
	v_add_u32_e32 v18, s8, v15
	s_add_i32 s9, s8, 0xfffffee0
	v_add_u32_e32 v17, 0xffffffa0, v18
	v_add_u32_e32 v16, 0xffffff40, v18
	;; [unrolled: 1-line block ×3, first 2 shown]
	ds_read_b64 v[9:10], v18
	ds_read_b64 v[7:8], v17
	;; [unrolled: 1-line block ×4, first 2 shown]
	s_cmp_le_i32 s11, s14
	v_mov_b32_e32 v5, v13
	s_mov_b32 s9, s13
	s_mov_b32 s15, s11
	s_cbranch_scc1 .LBB147_53
.LBB147_52:                             ;   Parent Loop BB147_51 Depth=1
                                        ; =>  This Inner Loop Header: Depth=2
	v_mov_b32_e32 v6, s9
	ds_read_b64 v[11:12], v5
	ds_read2_b64 v[19:22], v6 offset0:2 offset1:3
	ds_read2_b64 v[23:26], v6 offset1:1
	s_add_i32 s15, s15, -1
	s_addk_i32 s9, 0xffa0
	v_add_u32_e32 v5, 0xffffffa0, v5
	s_waitcnt lgkmcnt(1)
	v_mul_f32_e32 v6, v22, v12
	v_mul_f32_e32 v27, v21, v12
	;; [unrolled: 1-line block ×4, first 2 shown]
	s_waitcnt lgkmcnt(0)
	v_mul_f32_e32 v29, v26, v12
	v_mul_f32_e32 v26, v26, v11
	;; [unrolled: 1-line block ×4, first 2 shown]
	v_fma_f32 v6, v21, v11, -v6
	v_fmac_f32_e32 v27, v22, v11
	v_fma_f32 v21, v19, v11, -v28
	v_fmac_f32_e32 v20, v19, v12
	;; [unrolled: 2-line block ×4, first 2 shown]
	s_cmp_le_i32 s15, s14
	v_sub_f32_e32 v9, v9, v6
	v_sub_f32_e32 v10, v10, v27
	;; [unrolled: 1-line block ×8, first 2 shown]
	s_cbranch_scc0 .LBB147_52
.LBB147_53:                             ;   in Loop: Header=BB147_51 Depth=1
	s_lshl_b32 s18, s14, 3
	s_add_i32 s18, s18, s8
	v_mov_b32_e32 v5, s18
	ds_read_b64 v[11:12], v5
	s_add_i32 s15, s14, -3
	s_mov_b64 s[8:9], -1
                                        ; implicit-def: $vgpr6
	s_waitcnt lgkmcnt(0)
	v_cmp_ngt_f32_e64 s[22:23], |v11|, |v12|
	s_and_b64 vcc, exec, s[22:23]
	s_cbranch_vccz .LBB147_55
; %bb.54:                               ;   in Loop: Header=BB147_51 Depth=1
	v_div_scale_f32 v5, s[8:9], v12, v12, v11
	v_div_scale_f32 v6, vcc, v11, v12, v11
	v_rcp_f32_e32 v19, v5
	v_fma_f32 v20, -v5, v19, 1.0
	v_fmac_f32_e32 v19, v20, v19
	v_mul_f32_e32 v20, v6, v19
	v_fma_f32 v21, -v5, v20, v6
	v_fmac_f32_e32 v20, v21, v19
	v_fma_f32 v5, -v5, v20, v6
	v_div_fmas_f32 v5, v5, v19, v20
	v_div_fixup_f32 v5, v5, v12, v11
	v_fma_f32 v6, v11, v5, v12
	v_div_scale_f32 v19, s[8:9], v6, v6, 1.0
	v_div_scale_f32 v20, vcc, 1.0, v6, 1.0
	s_mov_b64 s[8:9], 0
	v_rcp_f32_e32 v21, v19
	v_fma_f32 v22, -v19, v21, 1.0
	v_fmac_f32_e32 v21, v22, v21
	v_mul_f32_e32 v22, v20, v21
	v_fma_f32 v23, -v19, v22, v20
	v_fmac_f32_e32 v22, v23, v21
	v_fma_f32 v19, -v19, v22, v20
	v_div_fmas_f32 v19, v19, v21, v22
	v_fma_f32 v20, v9, v5, v10
	v_fma_f32 v21, v10, v5, -v9
	v_div_fixup_f32 v6, v19, v6, 1.0
	v_mul_f32_e32 v5, v20, v6
	v_mul_f32_e32 v6, v21, v6
.LBB147_55:                             ;   in Loop: Header=BB147_51 Depth=1
	s_andn2_b64 vcc, exec, s[8:9]
	s_cbranch_vccnz .LBB147_57
; %bb.56:                               ;   in Loop: Header=BB147_51 Depth=1
	v_div_scale_f32 v5, s[8:9], v11, v11, v12
	v_div_scale_f32 v6, vcc, v12, v11, v12
	v_rcp_f32_e32 v19, v5
	v_fma_f32 v20, -v5, v19, 1.0
	v_fmac_f32_e32 v19, v20, v19
	v_mul_f32_e32 v20, v6, v19
	v_fma_f32 v21, -v5, v20, v6
	v_fmac_f32_e32 v20, v21, v19
	v_fma_f32 v5, -v5, v20, v6
	v_div_fmas_f32 v5, v5, v19, v20
	v_div_fixup_f32 v5, v5, v11, v12
	v_fmac_f32_e32 v11, v12, v5
	v_div_scale_f32 v6, s[8:9], v11, v11, 1.0
	v_div_scale_f32 v12, vcc, 1.0, v11, 1.0
	v_rcp_f32_e32 v19, v6
	v_fma_f32 v20, -v6, v19, 1.0
	v_fmac_f32_e32 v19, v20, v19
	v_mul_f32_e32 v20, v12, v19
	v_fma_f32 v21, -v6, v20, v12
	v_fmac_f32_e32 v20, v21, v19
	v_fma_f32 v6, -v6, v20, v12
	v_div_fmas_f32 v6, v6, v19, v20
	v_fma_f32 v12, v10, v5, v9
	v_fma_f32 v9, -v9, v5, v10
	v_div_fixup_f32 v6, v6, v11, 1.0
	v_mul_f32_e32 v5, v12, v6
	v_mul_f32_e32 v6, v9, v6
.LBB147_57:                             ;   in Loop: Header=BB147_51 Depth=1
	s_add_i32 s8, s18, -8
	v_mov_b32_e32 v9, s8
	s_add_i32 s19, s18, 0xffffff98
	ds_read_b64 v[11:12], v9
	v_mov_b32_e32 v9, s19
	ds_read_b64 v[9:10], v9
	ds_write_b64 v18, v[5:6]
	s_mov_b64 s[8:9], -1
	s_waitcnt lgkmcnt(2)
	v_mul_f32_e32 v18, v6, v12
	v_mul_f32_e32 v12, v5, v12
	v_fma_f32 v18, v5, v11, -v18
	v_fmac_f32_e32 v12, v6, v11
	s_waitcnt lgkmcnt(1)
	v_cmp_ngt_f32_e64 s[22:23], |v9|, |v10|
	v_sub_f32_e32 v11, v7, v18
	v_sub_f32_e32 v12, v8, v12
	s_and_b64 vcc, exec, s[22:23]
                                        ; implicit-def: $vgpr8
	s_cbranch_vccz .LBB147_59
; %bb.58:                               ;   in Loop: Header=BB147_51 Depth=1
	v_div_scale_f32 v7, s[8:9], v10, v10, v9
	v_div_scale_f32 v8, vcc, v9, v10, v9
	v_rcp_f32_e32 v18, v7
	v_fma_f32 v19, -v7, v18, 1.0
	v_fmac_f32_e32 v18, v19, v18
	v_mul_f32_e32 v19, v8, v18
	v_fma_f32 v20, -v7, v19, v8
	v_fmac_f32_e32 v19, v20, v18
	v_fma_f32 v7, -v7, v19, v8
	v_div_fmas_f32 v7, v7, v18, v19
	v_div_fixup_f32 v7, v7, v10, v9
	v_fma_f32 v8, v9, v7, v10
	v_div_scale_f32 v18, s[8:9], v8, v8, 1.0
	v_div_scale_f32 v19, vcc, 1.0, v8, 1.0
	s_mov_b64 s[8:9], 0
	v_rcp_f32_e32 v20, v18
	v_fma_f32 v21, -v18, v20, 1.0
	v_fmac_f32_e32 v20, v21, v20
	v_mul_f32_e32 v21, v19, v20
	v_fma_f32 v22, -v18, v21, v19
	v_fmac_f32_e32 v21, v22, v20
	v_fma_f32 v18, -v18, v21, v19
	v_div_fmas_f32 v18, v18, v20, v21
	v_fma_f32 v19, v7, v11, v12
	v_fma_f32 v20, v7, v12, -v11
	v_div_fixup_f32 v8, v18, v8, 1.0
	v_mul_f32_e32 v7, v19, v8
	v_mul_f32_e32 v8, v20, v8
.LBB147_59:                             ;   in Loop: Header=BB147_51 Depth=1
	s_andn2_b64 vcc, exec, s[8:9]
	s_cbranch_vccnz .LBB147_61
; %bb.60:                               ;   in Loop: Header=BB147_51 Depth=1
	v_div_scale_f32 v7, s[8:9], v9, v9, v10
	v_div_scale_f32 v8, vcc, v10, v9, v10
	v_rcp_f32_e32 v18, v7
	v_fma_f32 v19, -v7, v18, 1.0
	v_fmac_f32_e32 v18, v19, v18
	v_mul_f32_e32 v19, v8, v18
	v_fma_f32 v20, -v7, v19, v8
	v_fmac_f32_e32 v19, v20, v18
	v_fma_f32 v7, -v7, v19, v8
	v_div_fmas_f32 v7, v7, v18, v19
	v_div_fixup_f32 v7, v7, v9, v10
	v_fmac_f32_e32 v9, v10, v7
	v_div_scale_f32 v8, s[8:9], v9, v9, 1.0
	v_div_scale_f32 v10, vcc, 1.0, v9, 1.0
	v_rcp_f32_e32 v18, v8
	v_fma_f32 v19, -v8, v18, 1.0
	v_fmac_f32_e32 v18, v19, v18
	v_mul_f32_e32 v19, v10, v18
	v_fma_f32 v20, -v8, v19, v10
	v_fmac_f32_e32 v19, v20, v18
	v_fma_f32 v8, -v8, v19, v10
	v_div_fmas_f32 v8, v8, v18, v19
	v_fma_f32 v10, v7, v12, v11
	v_fma_f32 v11, -v7, v11, v12
	v_div_fixup_f32 v8, v8, v9, 1.0
	v_mul_f32_e32 v7, v10, v8
	v_mul_f32_e32 v8, v11, v8
.LBB147_61:                             ;   in Loop: Header=BB147_51 Depth=1
	s_add_i32 s8, s14, -1
	s_add_i32 s22, s18, -16
	;; [unrolled: 1-line block ×3, first 2 shown]
	v_mov_b32_e32 v9, s22
	s_lshl_b32 s8, s8, 3
	ds_read_b64 v[11:12], v9
	s_sub_i32 s23, s19, s8
	s_lshl_b32 s22, s9, 3
	s_add_i32 s8, s23, s22
	s_add_i32 s19, s18, 0xffffff30
	ds_write_b64 v17, v[7:8]
	v_mov_b32_e32 v9, s8
	v_mov_b32_e32 v10, s19
	ds_read_b64 v[17:18], v9
	ds_read_b64 v[9:10], v10
	s_waitcnt lgkmcnt(3)
	v_mul_f32_e32 v19, v6, v12
	v_mul_f32_e32 v12, v5, v12
	v_fmac_f32_e32 v12, v6, v11
	v_fma_f32 v19, v5, v11, -v19
	v_sub_f32_e32 v4, v4, v12
	s_waitcnt lgkmcnt(1)
	v_mul_f32_e32 v11, v8, v18
	v_mul_f32_e32 v12, v7, v18
	v_sub_f32_e32 v3, v3, v19
	v_fma_f32 v11, v7, v17, -v11
	v_fmac_f32_e32 v12, v8, v17
	s_waitcnt lgkmcnt(0)
	v_cmp_ngt_f32_e64 s[26:27], |v9|, |v10|
	v_sub_f32_e32 v3, v3, v11
	v_sub_f32_e32 v4, v4, v12
	s_mov_b64 s[8:9], -1
	s_and_b64 vcc, exec, s[26:27]
                                        ; implicit-def: $vgpr12
	s_cbranch_vccz .LBB147_63
; %bb.62:                               ;   in Loop: Header=BB147_51 Depth=1
	v_div_scale_f32 v11, s[8:9], v10, v10, v9
	v_div_scale_f32 v12, vcc, v9, v10, v9
	v_rcp_f32_e32 v17, v11
	v_fma_f32 v18, -v11, v17, 1.0
	v_fmac_f32_e32 v17, v18, v17
	v_mul_f32_e32 v18, v12, v17
	v_fma_f32 v19, -v11, v18, v12
	v_fmac_f32_e32 v18, v19, v17
	v_fma_f32 v11, -v11, v18, v12
	v_div_fmas_f32 v11, v11, v17, v18
	v_div_fixup_f32 v11, v11, v10, v9
	v_fma_f32 v12, v9, v11, v10
	v_div_scale_f32 v17, s[8:9], v12, v12, 1.0
	v_div_scale_f32 v18, vcc, 1.0, v12, 1.0
	s_mov_b64 s[8:9], 0
	v_rcp_f32_e32 v19, v17
	v_fma_f32 v20, -v17, v19, 1.0
	v_fmac_f32_e32 v19, v20, v19
	v_mul_f32_e32 v20, v18, v19
	v_fma_f32 v21, -v17, v20, v18
	v_fmac_f32_e32 v20, v21, v19
	v_fma_f32 v17, -v17, v20, v18
	v_div_fmas_f32 v17, v17, v19, v20
	v_fma_f32 v18, v11, v3, v4
	v_fma_f32 v19, v11, v4, -v3
	v_div_fixup_f32 v12, v17, v12, 1.0
	v_mul_f32_e32 v11, v18, v12
	v_mul_f32_e32 v12, v19, v12
.LBB147_63:                             ;   in Loop: Header=BB147_51 Depth=1
	s_andn2_b64 vcc, exec, s[8:9]
	s_cbranch_vccnz .LBB147_65
; %bb.64:                               ;   in Loop: Header=BB147_51 Depth=1
	v_div_scale_f32 v11, s[8:9], v9, v9, v10
	v_div_scale_f32 v12, vcc, v10, v9, v10
	v_rcp_f32_e32 v17, v11
	v_fma_f32 v18, -v11, v17, 1.0
	v_fmac_f32_e32 v17, v18, v17
	v_mul_f32_e32 v18, v12, v17
	v_fma_f32 v19, -v11, v18, v12
	v_fmac_f32_e32 v18, v19, v17
	v_fma_f32 v11, -v11, v18, v12
	v_div_fmas_f32 v11, v11, v17, v18
	v_div_fixup_f32 v11, v11, v9, v10
	v_fmac_f32_e32 v9, v10, v11
	v_div_scale_f32 v10, s[8:9], v9, v9, 1.0
	v_div_scale_f32 v12, vcc, 1.0, v9, 1.0
	v_rcp_f32_e32 v17, v10
	v_fma_f32 v18, -v10, v17, 1.0
	v_fmac_f32_e32 v17, v18, v17
	v_mul_f32_e32 v18, v12, v17
	v_fma_f32 v19, -v10, v18, v12
	v_fmac_f32_e32 v18, v19, v17
	v_fma_f32 v10, -v10, v18, v12
	v_div_fmas_f32 v10, v10, v17, v18
	v_fma_f32 v12, v11, v4, v3
	v_fma_f32 v3, -v11, v3, v4
	v_div_fixup_f32 v4, v10, v9, 1.0
	v_mul_f32_e32 v11, v12, v4
	v_mul_f32_e32 v12, v3, v4
.LBB147_65:                             ;   in Loop: Header=BB147_51 Depth=1
	s_sub_i32 s8, s18, 24
	v_mov_b32_e32 v3, s8
	s_lshl_b32 s8, s15, 3
	ds_read_b64 v[9:10], v3
	s_add_i32 s9, s23, s8
	v_mov_b32_e32 v3, s9
	s_sub_i32 s9, s19, s22
	s_add_i32 s8, s9, s8
	v_mov_b32_e32 v4, s8
	s_add_i32 s8, s19, 0xffffff98
	ds_write_b64 v16, v[11:12]
	v_mov_b32_e32 v20, s8
	ds_read_b64 v[16:17], v3
	ds_read_b64 v[18:19], v4
	;; [unrolled: 1-line block ×3, first 2 shown]
	s_waitcnt lgkmcnt(4)
	v_mul_f32_e32 v20, v6, v10
	v_fma_f32 v20, v5, v9, -v20
	v_mul_f32_e32 v5, v5, v10
	v_fmac_f32_e32 v5, v6, v9
	v_sub_f32_e32 v2, v2, v5
	s_waitcnt lgkmcnt(2)
	v_mul_f32_e32 v5, v8, v17
	v_mul_f32_e32 v6, v7, v17
	v_sub_f32_e32 v1, v1, v20
	v_fma_f32 v5, v7, v16, -v5
	v_fmac_f32_e32 v6, v8, v16
	v_sub_f32_e32 v1, v1, v5
	v_sub_f32_e32 v2, v2, v6
	s_waitcnt lgkmcnt(1)
	v_mul_f32_e32 v5, v12, v19
	v_mul_f32_e32 v6, v11, v19
	v_fma_f32 v5, v11, v18, -v5
	v_fmac_f32_e32 v6, v12, v18
	s_waitcnt lgkmcnt(0)
	v_cmp_ngt_f32_e64 s[18:19], |v3|, |v4|
	v_sub_f32_e32 v5, v1, v5
	v_sub_f32_e32 v6, v2, v6
	s_mov_b64 s[8:9], -1
	s_and_b64 vcc, exec, s[18:19]
                                        ; implicit-def: $vgpr2
	s_cbranch_vccz .LBB147_67
; %bb.66:                               ;   in Loop: Header=BB147_51 Depth=1
	v_div_scale_f32 v1, s[8:9], v4, v4, v3
	v_div_scale_f32 v2, vcc, v3, v4, v3
	v_rcp_f32_e32 v7, v1
	v_fma_f32 v8, -v1, v7, 1.0
	v_fmac_f32_e32 v7, v8, v7
	v_mul_f32_e32 v8, v2, v7
	v_fma_f32 v9, -v1, v8, v2
	v_fmac_f32_e32 v8, v9, v7
	v_fma_f32 v1, -v1, v8, v2
	v_div_fmas_f32 v1, v1, v7, v8
	v_div_fixup_f32 v1, v1, v4, v3
	v_fma_f32 v2, v3, v1, v4
	v_div_scale_f32 v7, s[8:9], v2, v2, 1.0
	v_div_scale_f32 v8, vcc, 1.0, v2, 1.0
	s_mov_b64 s[8:9], 0
	v_rcp_f32_e32 v9, v7
	v_fma_f32 v10, -v7, v9, 1.0
	v_fmac_f32_e32 v9, v10, v9
	v_mul_f32_e32 v10, v8, v9
	v_fma_f32 v11, -v7, v10, v8
	v_fmac_f32_e32 v10, v11, v9
	v_fma_f32 v7, -v7, v10, v8
	v_div_fmas_f32 v7, v7, v9, v10
	v_fma_f32 v8, v1, v5, v6
	v_fma_f32 v9, v1, v6, -v5
	v_div_fixup_f32 v2, v7, v2, 1.0
	v_mul_f32_e32 v1, v8, v2
	v_mul_f32_e32 v2, v9, v2
.LBB147_67:                             ;   in Loop: Header=BB147_51 Depth=1
	s_andn2_b64 vcc, exec, s[8:9]
	s_cbranch_vccnz .LBB147_69
; %bb.68:                               ;   in Loop: Header=BB147_51 Depth=1
	v_div_scale_f32 v1, s[8:9], v3, v3, v4
	v_div_scale_f32 v2, vcc, v4, v3, v4
	v_rcp_f32_e32 v7, v1
	v_fma_f32 v8, -v1, v7, 1.0
	v_fmac_f32_e32 v7, v8, v7
	v_mul_f32_e32 v8, v2, v7
	v_fma_f32 v9, -v1, v8, v2
	v_fmac_f32_e32 v8, v9, v7
	v_fma_f32 v1, -v1, v8, v2
	v_div_fmas_f32 v1, v1, v7, v8
	v_div_fixup_f32 v1, v1, v3, v4
	v_fmac_f32_e32 v3, v4, v1
	v_div_scale_f32 v2, s[8:9], v3, v3, 1.0
	v_div_scale_f32 v4, vcc, 1.0, v3, 1.0
	v_rcp_f32_e32 v7, v2
	v_fma_f32 v8, -v2, v7, 1.0
	v_fmac_f32_e32 v7, v8, v7
	v_mul_f32_e32 v8, v4, v7
	v_fma_f32 v9, -v2, v8, v4
	v_fmac_f32_e32 v8, v9, v7
	v_fma_f32 v2, -v2, v8, v4
	v_div_fmas_f32 v2, v2, v7, v8
	v_fma_f32 v4, v1, v6, v5
	v_fma_f32 v5, -v1, v5, v6
	v_div_fixup_f32 v2, v2, v3, 1.0
	v_mul_f32_e32 v1, v4, v2
	v_mul_f32_e32 v2, v5, v2
.LBB147_69:                             ;   in Loop: Header=BB147_51 Depth=1
	s_add_i32 s15, s14, -4
	s_sub_i32 s13, s13, 32
	s_cmp_lt_i32 s14, 7
	ds_write_b64 v14, v[1:2]
	s_cbranch_scc1 .LBB147_71
; %bb.70:                               ;   in Loop: Header=BB147_51 Depth=1
	s_mov_b32 s14, s15
	s_branch .LBB147_51
.LBB147_71:
	s_cmp_lt_i32 s15, 0
	s_cbranch_scc1 .LBB147_80
; %bb.72:
	s_mul_i32 s8, s24, 0x60
	s_lshl_b32 s9, s15, 3
	s_add_i32 s9, s8, s9
	v_lshl_add_u32 v1, v0, 3, s8
	s_add_i32 s13, s9, 0xffffffa0
	v_add_u32_e32 v7, 0x420, v1
	s_branch .LBB147_74
.LBB147_73:                             ;   in Loop: Header=BB147_74 Depth=1
	v_sub_co_u32_e64 v1, s[8:9], s15, 1
	v_readfirstlane_b32 s15, v1
	s_add_i32 s13, s13, -8
	s_and_b64 vcc, exec, s[8:9]
	ds_write_b64 v8, v[5:6]
	s_cbranch_vccnz .LBB147_80
.LBB147_74:                             ; =>This Loop Header: Depth=1
                                        ;     Child Loop BB147_75 Depth 2
	s_mul_i32 s8, s15, 0x60
	v_add_u32_e32 v8, s8, v15
	ds_read_b64 v[1:2], v8
	s_cmp_le_i32 s11, s15
	v_mov_b32_e32 v3, v7
	s_mov_b32 s9, s13
	s_mov_b32 s14, s11
	s_cbranch_scc1 .LBB147_76
.LBB147_75:                             ;   Parent Loop BB147_74 Depth=1
                                        ; =>  This Inner Loop Header: Depth=2
	v_mov_b32_e32 v6, s9
	ds_read_b64 v[4:5], v3
	ds_read_b64 v[9:10], v6
	s_add_i32 s14, s14, -1
	s_addk_i32 s9, 0xffa0
	v_add_u32_e32 v3, 0xffffffa0, v3
	s_cmp_le_u32 s14, s15
	s_waitcnt lgkmcnt(0)
	v_mul_f32_e32 v6, v10, v5
	v_mul_f32_e32 v5, v9, v5
	v_fma_f32 v6, v9, v4, -v6
	v_fmac_f32_e32 v5, v10, v4
	v_sub_f32_e32 v1, v1, v6
	v_sub_f32_e32 v2, v2, v5
	s_cbranch_scc0 .LBB147_75
.LBB147_76:                             ;   in Loop: Header=BB147_74 Depth=1
	s_lshl_b32 s9, s15, 3
	s_add_i32 s8, s9, s8
	v_mov_b32_e32 v3, s8
	ds_read_b64 v[3:4], v3
	s_mov_b64 s[8:9], -1
                                        ; implicit-def: $vgpr5
	s_waitcnt lgkmcnt(0)
	v_cmp_ngt_f32_e64 s[18:19], |v3|, |v4|
	s_and_b64 vcc, exec, s[18:19]
	s_cbranch_vccz .LBB147_78
; %bb.77:                               ;   in Loop: Header=BB147_74 Depth=1
	v_div_scale_f32 v5, s[8:9], v4, v4, v3
	v_div_scale_f32 v6, vcc, v3, v4, v3
	v_rcp_f32_e32 v9, v5
	v_fma_f32 v10, -v5, v9, 1.0
	v_fmac_f32_e32 v9, v10, v9
	v_mul_f32_e32 v10, v6, v9
	v_fma_f32 v11, -v5, v10, v6
	v_fmac_f32_e32 v10, v11, v9
	v_fma_f32 v5, -v5, v10, v6
	v_div_fmas_f32 v5, v5, v9, v10
	v_div_fixup_f32 v5, v5, v4, v3
	v_fma_f32 v6, v3, v5, v4
	v_div_scale_f32 v9, s[8:9], v6, v6, 1.0
	v_div_scale_f32 v10, vcc, 1.0, v6, 1.0
	s_mov_b64 s[8:9], 0
	v_rcp_f32_e32 v11, v9
	v_fma_f32 v12, -v9, v11, 1.0
	v_fmac_f32_e32 v11, v12, v11
	v_mul_f32_e32 v12, v10, v11
	v_fma_f32 v13, -v9, v12, v10
	v_fmac_f32_e32 v12, v13, v11
	v_fma_f32 v9, -v9, v12, v10
	v_div_fmas_f32 v9, v9, v11, v12
	v_fma_f32 v10, v1, v5, v2
	v_fma_f32 v11, v2, v5, -v1
	v_div_fixup_f32 v6, v9, v6, 1.0
	v_mul_f32_e32 v5, v10, v6
	v_mul_f32_e32 v6, v11, v6
.LBB147_78:                             ;   in Loop: Header=BB147_74 Depth=1
	s_andn2_b64 vcc, exec, s[8:9]
	s_cbranch_vccnz .LBB147_73
; %bb.79:                               ;   in Loop: Header=BB147_74 Depth=1
	v_div_scale_f32 v5, s[8:9], v3, v3, v4
	v_div_scale_f32 v6, vcc, v4, v3, v4
	v_rcp_f32_e32 v9, v5
	v_fma_f32 v10, -v5, v9, 1.0
	v_fmac_f32_e32 v9, v10, v9
	v_mul_f32_e32 v10, v6, v9
	v_fma_f32 v11, -v5, v10, v6
	v_fmac_f32_e32 v10, v11, v9
	v_fma_f32 v5, -v5, v10, v6
	v_div_fmas_f32 v5, v5, v9, v10
	v_div_fixup_f32 v5, v5, v3, v4
	v_fmac_f32_e32 v3, v4, v5
	v_div_scale_f32 v4, s[8:9], v3, v3, 1.0
	v_div_scale_f32 v6, vcc, 1.0, v3, 1.0
	v_rcp_f32_e32 v9, v4
	v_fma_f32 v10, -v4, v9, 1.0
	v_fmac_f32_e32 v9, v10, v9
	v_mul_f32_e32 v10, v6, v9
	v_fma_f32 v11, -v4, v10, v6
	v_fmac_f32_e32 v10, v11, v9
	v_fma_f32 v4, -v4, v10, v6
	v_div_fmas_f32 v4, v4, v9, v10
	v_fma_f32 v6, v2, v5, v1
	v_fma_f32 v1, -v1, v5, v2
	v_div_fixup_f32 v2, v4, v3, 1.0
	v_mul_f32_e32 v5, v6, v2
	v_mul_f32_e32 v6, v1, v2
	s_branch .LBB147_73
.LBB147_80:
	s_mov_b64 s[8:9], 0
.LBB147_81:
	s_andn2_b64 vcc, exec, s[8:9]
	s_cbranch_vccnz .LBB147_113
; %bb.82:
	s_andn2_b64 vcc, exec, s[6:7]
	s_mul_i32 s8, s24, 0x60
	s_mov_b32 s14, s11
	s_cbranch_vccnz .LBB147_104
; %bb.83:
	v_lshl_add_u32 v1, v0, 3, s8
	s_mul_i32 s6, s24, 0x68
	v_add_u32_e32 v13, 0x420, v1
	s_add_i32 s9, s6, 0xfffffe78
	s_mov_b32 s13, s11
.LBB147_84:                             ; =>This Loop Header: Depth=1
                                        ;     Child Loop BB147_85 Depth 2
	s_mul_i32 s14, s13, 12
	v_lshl_add_u32 v18, s14, 3, v15
	v_add_u32_e32 v17, 0xffffffa0, v18
	v_add_u32_e32 v16, 0xffffff40, v18
	;; [unrolled: 1-line block ×3, first 2 shown]
	ds_read_b64 v[1:2], v18
	ds_read_b64 v[11:12], v17
	;; [unrolled: 1-line block ×4, first 2 shown]
	s_cmp_le_i32 s11, s13
	s_mov_b32 s6, s9
	v_mov_b32_e32 v3, v13
	s_mov_b32 s7, s11
	s_cbranch_scc1 .LBB147_86
.LBB147_85:                             ;   Parent Loop BB147_84 Depth=1
                                        ; =>  This Inner Loop Header: Depth=2
	v_mov_b32_e32 v4, s6
	ds_read_b64 v[9:10], v3
	ds_read2_b64 v[19:22], v4 offset0:24 offset1:36
	ds_read2_b64 v[23:26], v4 offset1:12
	s_add_i32 s7, s7, -1
	s_add_i32 s6, s6, -8
	v_add_u32_e32 v3, 0xffffffa0, v3
	s_waitcnt lgkmcnt(1)
	v_mul_f32_e32 v4, v22, v10
	v_mul_f32_e32 v27, v21, v10
	v_mul_f32_e32 v28, v20, v10
	v_mul_f32_e32 v20, v20, v9
	s_waitcnt lgkmcnt(0)
	v_mul_f32_e32 v29, v26, v10
	v_mul_f32_e32 v26, v26, v9
	;; [unrolled: 1-line block ×4, first 2 shown]
	v_fma_f32 v4, v21, v9, -v4
	v_fmac_f32_e32 v27, v22, v9
	v_fma_f32 v21, v19, v9, -v28
	v_fmac_f32_e32 v20, v19, v10
	;; [unrolled: 2-line block ×4, first 2 shown]
	s_cmp_le_i32 s7, s13
	v_sub_f32_e32 v1, v1, v4
	v_sub_f32_e32 v2, v2, v27
	v_sub_f32_e32 v11, v11, v21
	v_sub_f32_e32 v12, v12, v20
	v_sub_f32_e32 v7, v7, v19
	v_sub_f32_e32 v8, v8, v26
	v_sub_f32_e32 v5, v5, v9
	v_sub_f32_e32 v6, v6, v24
	s_cbranch_scc0 .LBB147_85
.LBB147_86:                             ;   in Loop: Header=BB147_84 Depth=1
	s_mul_i32 s6, s13, 0x68
	v_mov_b32_e32 v3, s6
	ds_read_b64 v[3:4], v3
	s_mov_b64 s[6:7], -1
                                        ; implicit-def: $vgpr10
	s_waitcnt lgkmcnt(0)
	v_cmp_ngt_f32_e64 s[18:19], |v3|, |v4|
	s_and_b64 vcc, exec, s[18:19]
	s_cbranch_vccz .LBB147_88
; %bb.87:                               ;   in Loop: Header=BB147_84 Depth=1
	v_div_scale_f32 v9, s[6:7], v4, v4, v3
	v_div_scale_f32 v10, vcc, v3, v4, v3
	v_rcp_f32_e32 v19, v9
	v_fma_f32 v20, -v9, v19, 1.0
	v_fmac_f32_e32 v19, v20, v19
	v_mul_f32_e32 v20, v10, v19
	v_fma_f32 v21, -v9, v20, v10
	v_fmac_f32_e32 v20, v21, v19
	v_fma_f32 v9, -v9, v20, v10
	v_div_fmas_f32 v9, v9, v19, v20
	v_div_fixup_f32 v9, v9, v4, v3
	v_fma_f32 v10, v3, v9, v4
	v_div_scale_f32 v19, s[6:7], v10, v10, 1.0
	v_div_scale_f32 v20, vcc, 1.0, v10, 1.0
	s_mov_b64 s[6:7], 0
	v_rcp_f32_e32 v21, v19
	v_fma_f32 v22, -v19, v21, 1.0
	v_fmac_f32_e32 v21, v22, v21
	v_mul_f32_e32 v22, v20, v21
	v_fma_f32 v23, -v19, v22, v20
	v_fmac_f32_e32 v22, v23, v21
	v_fma_f32 v19, -v19, v22, v20
	v_div_fmas_f32 v19, v19, v21, v22
	v_fma_f32 v20, v1, v9, v2
	v_fma_f32 v21, v2, v9, -v1
	v_div_fixup_f32 v10, v19, v10, 1.0
	v_mul_f32_e32 v9, v20, v10
	v_mul_f32_e32 v10, v21, v10
.LBB147_88:                             ;   in Loop: Header=BB147_84 Depth=1
	s_andn2_b64 vcc, exec, s[6:7]
	s_cbranch_vccnz .LBB147_90
; %bb.89:                               ;   in Loop: Header=BB147_84 Depth=1
	v_div_scale_f32 v9, s[6:7], v3, v3, v4
	v_div_scale_f32 v10, vcc, v4, v3, v4
	v_rcp_f32_e32 v19, v9
	v_fma_f32 v20, -v9, v19, 1.0
	v_fmac_f32_e32 v19, v20, v19
	v_mul_f32_e32 v20, v10, v19
	v_fma_f32 v21, -v9, v20, v10
	v_fmac_f32_e32 v20, v21, v19
	v_fma_f32 v9, -v9, v20, v10
	v_div_fmas_f32 v9, v9, v19, v20
	v_div_fixup_f32 v9, v9, v3, v4
	v_fmac_f32_e32 v3, v4, v9
	v_div_scale_f32 v4, s[6:7], v3, v3, 1.0
	v_div_scale_f32 v10, vcc, 1.0, v3, 1.0
	v_rcp_f32_e32 v19, v4
	v_fma_f32 v20, -v4, v19, 1.0
	v_fmac_f32_e32 v19, v20, v19
	v_mul_f32_e32 v20, v10, v19
	v_fma_f32 v21, -v4, v20, v10
	v_fmac_f32_e32 v20, v21, v19
	v_fma_f32 v4, -v4, v20, v10
	v_div_fmas_f32 v4, v4, v19, v20
	v_fma_f32 v10, v2, v9, v1
	v_fma_f32 v1, -v1, v9, v2
	v_div_fixup_f32 v2, v4, v3, 1.0
	v_mul_f32_e32 v9, v10, v2
	v_mul_f32_e32 v10, v1, v2
.LBB147_90:                             ;   in Loop: Header=BB147_84 Depth=1
	s_lshl_b32 s14, s14, 3
	s_lshl_b32 s15, s13, 3
	s_addk_i32 s14, 0xffa0
	s_add_i32 s6, s15, s14
	s_add_i32 s6, s6, -8
	v_mov_b32_e32 v1, s6
	ds_read2_b64 v[1:4], v1 offset1:1
	ds_write_b64 v18, v[9:10]
	s_mov_b64 s[6:7], -1
	s_waitcnt lgkmcnt(1)
	v_mul_f32_e32 v18, v10, v4
	v_mul_f32_e32 v4, v9, v4
	v_fma_f32 v18, v9, v3, -v18
	v_fmac_f32_e32 v4, v10, v3
	v_cmp_ngt_f32_e64 s[18:19], |v1|, |v2|
	v_sub_f32_e32 v3, v11, v18
	v_sub_f32_e32 v4, v12, v4
	s_and_b64 vcc, exec, s[18:19]
                                        ; implicit-def: $vgpr12
	s_cbranch_vccz .LBB147_92
; %bb.91:                               ;   in Loop: Header=BB147_84 Depth=1
	v_div_scale_f32 v11, s[6:7], v2, v2, v1
	v_div_scale_f32 v12, vcc, v1, v2, v1
	v_rcp_f32_e32 v18, v11
	v_fma_f32 v19, -v11, v18, 1.0
	v_fmac_f32_e32 v18, v19, v18
	v_mul_f32_e32 v19, v12, v18
	v_fma_f32 v20, -v11, v19, v12
	v_fmac_f32_e32 v19, v20, v18
	v_fma_f32 v11, -v11, v19, v12
	v_div_fmas_f32 v11, v11, v18, v19
	v_div_fixup_f32 v11, v11, v2, v1
	v_fma_f32 v12, v1, v11, v2
	v_div_scale_f32 v18, s[6:7], v12, v12, 1.0
	v_div_scale_f32 v19, vcc, 1.0, v12, 1.0
	s_mov_b64 s[6:7], 0
	v_rcp_f32_e32 v20, v18
	v_fma_f32 v21, -v18, v20, 1.0
	v_fmac_f32_e32 v20, v21, v20
	v_mul_f32_e32 v21, v19, v20
	v_fma_f32 v22, -v18, v21, v19
	v_fmac_f32_e32 v21, v22, v20
	v_fma_f32 v18, -v18, v21, v19
	v_div_fmas_f32 v18, v18, v20, v21
	v_fma_f32 v19, v11, v3, v4
	v_fma_f32 v20, v11, v4, -v3
	v_div_fixup_f32 v12, v18, v12, 1.0
	v_mul_f32_e32 v11, v19, v12
	v_mul_f32_e32 v12, v20, v12
.LBB147_92:                             ;   in Loop: Header=BB147_84 Depth=1
	s_andn2_b64 vcc, exec, s[6:7]
	s_cbranch_vccnz .LBB147_94
; %bb.93:                               ;   in Loop: Header=BB147_84 Depth=1
	v_div_scale_f32 v11, s[6:7], v1, v1, v2
	v_div_scale_f32 v12, vcc, v2, v1, v2
	v_rcp_f32_e32 v18, v11
	v_fma_f32 v19, -v11, v18, 1.0
	v_fmac_f32_e32 v18, v19, v18
	v_mul_f32_e32 v19, v12, v18
	v_fma_f32 v20, -v11, v19, v12
	v_fmac_f32_e32 v19, v20, v18
	v_fma_f32 v11, -v11, v19, v12
	v_div_fmas_f32 v11, v11, v18, v19
	v_div_fixup_f32 v11, v11, v1, v2
	v_fmac_f32_e32 v1, v2, v11
	v_div_scale_f32 v2, s[6:7], v1, v1, 1.0
	v_div_scale_f32 v12, vcc, 1.0, v1, 1.0
	v_rcp_f32_e32 v18, v2
	v_fma_f32 v19, -v2, v18, 1.0
	v_fmac_f32_e32 v18, v19, v18
	v_mul_f32_e32 v19, v12, v18
	v_fma_f32 v20, -v2, v19, v12
	v_fmac_f32_e32 v19, v20, v18
	v_fma_f32 v2, -v2, v19, v12
	v_div_fmas_f32 v2, v2, v18, v19
	v_fma_f32 v12, v11, v4, v3
	v_fma_f32 v3, -v11, v3, v4
	v_div_fixup_f32 v1, v2, v1, 1.0
	v_mul_f32_e32 v11, v12, v1
	v_mul_f32_e32 v12, v3, v1
.LBB147_94:                             ;   in Loop: Header=BB147_84 Depth=1
	s_addk_i32 s14, 0xffa0
	s_add_i32 s14, s14, s15
	v_mov_b32_e32 v1, s14
	ds_read_b64 v[18:19], v1
	s_add_i32 s6, s14, -16
	v_mov_b32_e32 v1, s6
	ds_read2_b64 v[1:4], v1 offset1:1
	ds_write_b64 v17, v[11:12]
	s_waitcnt lgkmcnt(2)
	v_mul_f32_e32 v17, v10, v19
	v_fma_f32 v17, v9, v18, -v17
	v_mul_f32_e32 v19, v9, v19
	v_fmac_f32_e32 v19, v10, v18
	v_sub_f32_e32 v7, v7, v17
	s_waitcnt lgkmcnt(1)
	v_mul_f32_e32 v17, v12, v4
	v_mul_f32_e32 v4, v11, v4
	v_sub_f32_e32 v8, v8, v19
	v_fma_f32 v17, v11, v3, -v17
	v_fmac_f32_e32 v4, v12, v3
	v_cmp_ngt_f32_e64 s[18:19], |v1|, |v2|
	v_sub_f32_e32 v3, v7, v17
	v_sub_f32_e32 v4, v8, v4
	s_mov_b64 s[6:7], -1
	s_and_b64 vcc, exec, s[18:19]
                                        ; implicit-def: $vgpr8
	s_cbranch_vccz .LBB147_96
; %bb.95:                               ;   in Loop: Header=BB147_84 Depth=1
	v_div_scale_f32 v7, s[6:7], v2, v2, v1
	v_div_scale_f32 v8, vcc, v1, v2, v1
	v_rcp_f32_e32 v17, v7
	v_fma_f32 v18, -v7, v17, 1.0
	v_fmac_f32_e32 v17, v18, v17
	v_mul_f32_e32 v18, v8, v17
	v_fma_f32 v19, -v7, v18, v8
	v_fmac_f32_e32 v18, v19, v17
	v_fma_f32 v7, -v7, v18, v8
	v_div_fmas_f32 v7, v7, v17, v18
	v_div_fixup_f32 v7, v7, v2, v1
	v_fma_f32 v8, v1, v7, v2
	v_div_scale_f32 v17, s[6:7], v8, v8, 1.0
	v_div_scale_f32 v18, vcc, 1.0, v8, 1.0
	s_mov_b64 s[6:7], 0
	v_rcp_f32_e32 v19, v17
	v_fma_f32 v20, -v17, v19, 1.0
	v_fmac_f32_e32 v19, v20, v19
	v_mul_f32_e32 v20, v18, v19
	v_fma_f32 v21, -v17, v20, v18
	v_fmac_f32_e32 v20, v21, v19
	v_fma_f32 v17, -v17, v20, v18
	v_div_fmas_f32 v17, v17, v19, v20
	v_fma_f32 v18, v7, v3, v4
	v_fma_f32 v19, v7, v4, -v3
	v_div_fixup_f32 v8, v17, v8, 1.0
	v_mul_f32_e32 v7, v18, v8
	v_mul_f32_e32 v8, v19, v8
.LBB147_96:                             ;   in Loop: Header=BB147_84 Depth=1
	s_andn2_b64 vcc, exec, s[6:7]
	s_cbranch_vccnz .LBB147_98
; %bb.97:                               ;   in Loop: Header=BB147_84 Depth=1
	v_div_scale_f32 v7, s[6:7], v1, v1, v2
	v_div_scale_f32 v8, vcc, v2, v1, v2
	v_rcp_f32_e32 v17, v7
	v_fma_f32 v18, -v7, v17, 1.0
	v_fmac_f32_e32 v17, v18, v17
	v_mul_f32_e32 v18, v8, v17
	v_fma_f32 v19, -v7, v18, v8
	v_fmac_f32_e32 v18, v19, v17
	v_fma_f32 v7, -v7, v18, v8
	v_div_fmas_f32 v7, v7, v17, v18
	v_div_fixup_f32 v7, v7, v1, v2
	v_fmac_f32_e32 v1, v2, v7
	v_div_scale_f32 v2, s[6:7], v1, v1, 1.0
	v_div_scale_f32 v8, vcc, 1.0, v1, 1.0
	v_rcp_f32_e32 v17, v2
	v_fma_f32 v18, -v2, v17, 1.0
	v_fmac_f32_e32 v17, v18, v17
	v_mul_f32_e32 v18, v8, v17
	v_fma_f32 v19, -v2, v18, v8
	v_fmac_f32_e32 v18, v19, v17
	v_fma_f32 v2, -v2, v18, v8
	v_div_fmas_f32 v2, v2, v17, v18
	v_fma_f32 v8, v7, v4, v3
	v_fma_f32 v3, -v7, v3, v4
	v_div_fixup_f32 v1, v2, v1, 1.0
	v_mul_f32_e32 v7, v8, v1
	v_mul_f32_e32 v8, v3, v1
.LBB147_98:                             ;   in Loop: Header=BB147_84 Depth=1
	s_add_i32 s6, s14, 0xffffff98
	v_mov_b32_e32 v1, s6
	ds_read2_b64 v[17:20], v1 offset1:1
	s_add_i32 s6, s14, 0xffffff88
	v_mov_b32_e32 v1, s6
	ds_write_b64 v16, v[7:8]
	ds_read2_b64 v[1:4], v1 offset1:1
	s_waitcnt lgkmcnt(2)
	v_mul_f32_e32 v16, v10, v20
	v_fma_f32 v16, v9, v19, -v16
	v_mul_f32_e32 v9, v9, v20
	v_fmac_f32_e32 v9, v10, v19
	v_sub_f32_e32 v6, v6, v9
	v_mul_f32_e32 v9, v12, v18
	v_sub_f32_e32 v5, v5, v16
	v_fma_f32 v9, v11, v17, -v9
	v_mul_f32_e32 v10, v11, v18
	v_fmac_f32_e32 v10, v12, v17
	v_sub_f32_e32 v5, v5, v9
	s_waitcnt lgkmcnt(0)
	v_mul_f32_e32 v9, v8, v4
	v_mul_f32_e32 v4, v7, v4
	v_sub_f32_e32 v6, v6, v10
	v_fma_f32 v9, v7, v3, -v9
	v_fmac_f32_e32 v4, v8, v3
	v_cmp_ngt_f32_e64 s[14:15], |v1|, |v2|
	v_sub_f32_e32 v5, v5, v9
	v_sub_f32_e32 v6, v6, v4
	s_mov_b64 s[6:7], -1
	s_and_b64 vcc, exec, s[14:15]
                                        ; implicit-def: $vgpr4
	s_cbranch_vccz .LBB147_100
; %bb.99:                               ;   in Loop: Header=BB147_84 Depth=1
	v_div_scale_f32 v3, s[6:7], v2, v2, v1
	v_div_scale_f32 v4, vcc, v1, v2, v1
	v_rcp_f32_e32 v7, v3
	v_fma_f32 v8, -v3, v7, 1.0
	v_fmac_f32_e32 v7, v8, v7
	v_mul_f32_e32 v8, v4, v7
	v_fma_f32 v9, -v3, v8, v4
	v_fmac_f32_e32 v8, v9, v7
	v_fma_f32 v3, -v3, v8, v4
	v_div_fmas_f32 v3, v3, v7, v8
	v_div_fixup_f32 v3, v3, v2, v1
	v_fma_f32 v4, v1, v3, v2
	v_div_scale_f32 v7, s[6:7], v4, v4, 1.0
	v_div_scale_f32 v8, vcc, 1.0, v4, 1.0
	s_mov_b64 s[6:7], 0
	v_rcp_f32_e32 v9, v7
	v_fma_f32 v10, -v7, v9, 1.0
	v_fmac_f32_e32 v9, v10, v9
	v_mul_f32_e32 v10, v8, v9
	v_fma_f32 v11, -v7, v10, v8
	v_fmac_f32_e32 v10, v11, v9
	v_fma_f32 v7, -v7, v10, v8
	v_div_fmas_f32 v7, v7, v9, v10
	v_fma_f32 v8, v3, v5, v6
	v_fma_f32 v9, v3, v6, -v5
	v_div_fixup_f32 v4, v7, v4, 1.0
	v_mul_f32_e32 v3, v8, v4
	v_mul_f32_e32 v4, v9, v4
.LBB147_100:                            ;   in Loop: Header=BB147_84 Depth=1
	s_andn2_b64 vcc, exec, s[6:7]
	s_cbranch_vccnz .LBB147_102
; %bb.101:                              ;   in Loop: Header=BB147_84 Depth=1
	v_div_scale_f32 v3, s[6:7], v1, v1, v2
	v_div_scale_f32 v4, vcc, v2, v1, v2
	v_rcp_f32_e32 v7, v3
	v_fma_f32 v8, -v3, v7, 1.0
	v_fmac_f32_e32 v7, v8, v7
	v_mul_f32_e32 v8, v4, v7
	v_fma_f32 v9, -v3, v8, v4
	v_fmac_f32_e32 v8, v9, v7
	v_fma_f32 v3, -v3, v8, v4
	v_div_fmas_f32 v3, v3, v7, v8
	v_div_fixup_f32 v3, v3, v1, v2
	v_fmac_f32_e32 v1, v2, v3
	v_div_scale_f32 v2, s[6:7], v1, v1, 1.0
	v_div_scale_f32 v4, vcc, 1.0, v1, 1.0
	v_rcp_f32_e32 v7, v2
	v_fma_f32 v8, -v2, v7, 1.0
	v_fmac_f32_e32 v7, v8, v7
	v_mul_f32_e32 v8, v4, v7
	v_fma_f32 v9, -v2, v8, v4
	v_fmac_f32_e32 v8, v9, v7
	v_fma_f32 v2, -v2, v8, v4
	v_div_fmas_f32 v2, v2, v7, v8
	v_fma_f32 v4, v3, v6, v5
	v_fma_f32 v5, -v3, v5, v6
	v_div_fixup_f32 v1, v2, v1, 1.0
	v_mul_f32_e32 v3, v4, v1
	v_mul_f32_e32 v4, v5, v1
.LBB147_102:                            ;   in Loop: Header=BB147_84 Depth=1
	s_add_i32 s14, s13, -4
	s_addk_i32 s9, 0xfe80
	s_cmp_lt_i32 s13, 7
	ds_write_b64 v14, v[3:4]
	s_cbranch_scc1 .LBB147_104
; %bb.103:                              ;   in Loop: Header=BB147_84 Depth=1
	s_mov_b32 s13, s14
	s_branch .LBB147_84
.LBB147_104:
	s_cmp_lt_i32 s14, 0
	s_cbranch_scc1 .LBB147_113
; %bb.105:
	s_mul_i32 s6, s14, 0x60
	s_lshl_b32 s7, s24, 3
	v_lshl_add_u32 v1, v0, 3, s8
	s_add_i32 s6, s6, s7
	v_add_u32_e32 v7, 0x420, v1
	s_add_i32 s8, s6, -8
	s_branch .LBB147_107
.LBB147_106:                            ;   in Loop: Header=BB147_107 Depth=1
	v_sub_co_u32_e64 v1, s[6:7], s14, 1
	v_readfirstlane_b32 s14, v1
	s_addk_i32 s8, 0xffa0
	s_and_b64 vcc, exec, s[6:7]
	ds_write_b64 v8, v[5:6]
	s_cbranch_vccnz .LBB147_113
.LBB147_107:                            ; =>This Loop Header: Depth=1
                                        ;     Child Loop BB147_108 Depth 2
	s_mul_i32 s6, s14, 0x60
	v_add_u32_e32 v8, s6, v15
	ds_read_b64 v[1:2], v8
	s_cmp_le_i32 s11, s14
	s_mov_b32 s6, s8
	v_mov_b32_e32 v3, v7
	s_mov_b32 s7, s11
	s_cbranch_scc1 .LBB147_109
.LBB147_108:                            ;   Parent Loop BB147_107 Depth=1
                                        ; =>  This Inner Loop Header: Depth=2
	v_mov_b32_e32 v6, s6
	ds_read_b64 v[4:5], v3
	ds_read_b64 v[9:10], v6
	s_add_i32 s7, s7, -1
	s_add_i32 s6, s6, -8
	v_add_u32_e32 v3, 0xffffffa0, v3
	s_cmp_le_u32 s7, s14
	s_waitcnt lgkmcnt(0)
	v_mul_f32_e32 v6, v10, v5
	v_mul_f32_e32 v5, v9, v5
	v_fma_f32 v6, v9, v4, -v6
	v_fmac_f32_e32 v5, v10, v4
	v_sub_f32_e32 v1, v1, v6
	v_sub_f32_e32 v2, v2, v5
	s_cbranch_scc0 .LBB147_108
.LBB147_109:                            ;   in Loop: Header=BB147_107 Depth=1
	s_mul_i32 s6, s14, 0x68
	v_mov_b32_e32 v3, s6
	ds_read_b64 v[3:4], v3
	s_mov_b64 s[6:7], -1
                                        ; implicit-def: $vgpr5
	s_waitcnt lgkmcnt(0)
	v_cmp_ngt_f32_e64 s[18:19], |v3|, |v4|
	s_and_b64 vcc, exec, s[18:19]
	s_cbranch_vccz .LBB147_111
; %bb.110:                              ;   in Loop: Header=BB147_107 Depth=1
	v_div_scale_f32 v5, s[6:7], v4, v4, v3
	v_div_scale_f32 v6, vcc, v3, v4, v3
	v_rcp_f32_e32 v9, v5
	v_fma_f32 v10, -v5, v9, 1.0
	v_fmac_f32_e32 v9, v10, v9
	v_mul_f32_e32 v10, v6, v9
	v_fma_f32 v11, -v5, v10, v6
	v_fmac_f32_e32 v10, v11, v9
	v_fma_f32 v5, -v5, v10, v6
	v_div_fmas_f32 v5, v5, v9, v10
	v_div_fixup_f32 v5, v5, v4, v3
	v_fma_f32 v6, v3, v5, v4
	v_div_scale_f32 v9, s[6:7], v6, v6, 1.0
	v_div_scale_f32 v10, vcc, 1.0, v6, 1.0
	s_mov_b64 s[6:7], 0
	v_rcp_f32_e32 v11, v9
	v_fma_f32 v12, -v9, v11, 1.0
	v_fmac_f32_e32 v11, v12, v11
	v_mul_f32_e32 v12, v10, v11
	v_fma_f32 v13, -v9, v12, v10
	v_fmac_f32_e32 v12, v13, v11
	v_fma_f32 v9, -v9, v12, v10
	v_div_fmas_f32 v9, v9, v11, v12
	v_fma_f32 v10, v1, v5, v2
	v_fma_f32 v11, v2, v5, -v1
	v_div_fixup_f32 v6, v9, v6, 1.0
	v_mul_f32_e32 v5, v10, v6
	v_mul_f32_e32 v6, v11, v6
.LBB147_111:                            ;   in Loop: Header=BB147_107 Depth=1
	s_andn2_b64 vcc, exec, s[6:7]
	s_cbranch_vccnz .LBB147_106
; %bb.112:                              ;   in Loop: Header=BB147_107 Depth=1
	v_div_scale_f32 v5, s[6:7], v3, v3, v4
	v_div_scale_f32 v6, vcc, v4, v3, v4
	v_rcp_f32_e32 v9, v5
	v_fma_f32 v10, -v5, v9, 1.0
	v_fmac_f32_e32 v9, v10, v9
	v_mul_f32_e32 v10, v6, v9
	v_fma_f32 v11, -v5, v10, v6
	v_fmac_f32_e32 v10, v11, v9
	v_fma_f32 v5, -v5, v10, v6
	v_div_fmas_f32 v5, v5, v9, v10
	v_div_fixup_f32 v5, v5, v3, v4
	v_fmac_f32_e32 v3, v4, v5
	v_div_scale_f32 v4, s[6:7], v3, v3, 1.0
	v_div_scale_f32 v6, vcc, 1.0, v3, 1.0
	v_rcp_f32_e32 v9, v4
	v_fma_f32 v10, -v4, v9, 1.0
	v_fmac_f32_e32 v9, v10, v9
	v_mul_f32_e32 v10, v6, v9
	v_fma_f32 v11, -v4, v10, v6
	v_fmac_f32_e32 v10, v11, v9
	v_fma_f32 v4, -v4, v10, v6
	v_div_fmas_f32 v4, v4, v9, v10
	v_fma_f32 v6, v2, v5, v1
	v_fma_f32 v1, -v1, v5, v2
	v_div_fixup_f32 v2, v4, v3, 1.0
	v_mul_f32_e32 v5, v6, v2
	v_mul_f32_e32 v6, v1, v2
	s_branch .LBB147_106
.LBB147_113:
	s_mov_b64 s[18:19], 0
.LBB147_114:
	s_andn2_b64 vcc, exec, s[18:19]
	s_cbranch_vccnz .LBB147_146
; %bb.115:
	v_mov_b32_e32 v1, 0x480
	v_lshl_or_b32 v15, v0, 3, v1
	s_cmp_lt_i32 s12, 4
	s_mov_b32 s11, 0
	s_cbranch_scc1 .LBB147_137
; %bb.116:
	s_mov_b32 s8, 0
	s_mov_b32 s9, 0
.LBB147_117:                            ; =>This Loop Header: Depth=1
                                        ;     Child Loop BB147_118 Depth 2
	s_mul_i32 s11, s9, 12
	v_lshl_add_u32 v16, s11, 3, v15
	ds_read2_b64 v[5:8], v16 offset1:12
	ds_read2_b64 v[1:4], v16 offset0:24 offset1:36
	s_cmp_eq_u32 s9, 0
	s_mov_b32 s6, s8
	v_mov_b32_e32 v9, v15
	s_mov_b32 s7, s9
	s_cbranch_scc1 .LBB147_119
.LBB147_118:                            ;   Parent Loop BB147_117 Depth=1
                                        ; =>  This Inner Loop Header: Depth=2
	v_mov_b32_e32 v14, s6
	ds_read_b64 v[21:22], v9
	ds_read2_b64 v[10:13], v14 offset1:12
	ds_read2_b64 v[17:20], v14 offset0:24 offset1:36
	s_add_i32 s7, s7, -1
	s_add_i32 s6, s6, 8
	v_add_u32_e32 v9, 0x60, v9
	s_waitcnt lgkmcnt(1)
	v_mul_f32_e32 v14, v11, v22
	v_mul_f32_e32 v23, v10, v22
	;; [unrolled: 1-line block ×4, first 2 shown]
	s_waitcnt lgkmcnt(0)
	v_mul_f32_e32 v25, v18, v22
	v_mul_f32_e32 v18, v18, v21
	;; [unrolled: 1-line block ×4, first 2 shown]
	v_fma_f32 v10, v10, v21, -v14
	v_fmac_f32_e32 v23, v11, v21
	v_fma_f32 v11, v12, v21, -v24
	v_fmac_f32_e32 v13, v12, v22
	v_fma_f32 v12, v17, v21, -v25
	v_fmac_f32_e32 v18, v17, v22
	v_fma_f32 v14, v19, v21, -v26
	v_fmac_f32_e32 v20, v19, v22
	s_cmp_eq_u32 s7, 0
	v_sub_f32_e32 v5, v5, v10
	v_sub_f32_e32 v6, v6, v23
	;; [unrolled: 1-line block ×8, first 2 shown]
	s_cbranch_scc0 .LBB147_118
.LBB147_119:                            ;   in Loop: Header=BB147_117 Depth=1
	s_mul_i32 s6, s9, 0x68
	v_mov_b32_e32 v9, s6
	ds_read_b64 v[9:10], v9
	s_mov_b64 s[6:7], -1
                                        ; implicit-def: $vgpr14
	s_waitcnt lgkmcnt(0)
	v_cmp_ngt_f32_e64 s[14:15], |v9|, |v10|
	s_and_b64 vcc, exec, s[14:15]
	s_cbranch_vccz .LBB147_121
; %bb.120:                              ;   in Loop: Header=BB147_117 Depth=1
	v_div_scale_f32 v11, s[6:7], v10, v10, v9
	v_div_scale_f32 v12, vcc, v9, v10, v9
	v_rcp_f32_e32 v13, v11
	v_fma_f32 v14, -v11, v13, 1.0
	v_fmac_f32_e32 v13, v14, v13
	v_mul_f32_e32 v14, v12, v13
	v_fma_f32 v17, -v11, v14, v12
	v_fmac_f32_e32 v14, v17, v13
	v_fma_f32 v11, -v11, v14, v12
	v_div_fmas_f32 v11, v11, v13, v14
	v_div_fixup_f32 v11, v11, v10, v9
	v_fma_f32 v12, v9, v11, v10
	v_div_scale_f32 v13, s[6:7], v12, v12, 1.0
	v_div_scale_f32 v14, vcc, 1.0, v12, 1.0
	s_mov_b64 s[6:7], 0
	v_rcp_f32_e32 v17, v13
	v_fma_f32 v18, -v13, v17, 1.0
	v_fmac_f32_e32 v17, v18, v17
	v_mul_f32_e32 v18, v14, v17
	v_fma_f32 v19, -v13, v18, v14
	v_fmac_f32_e32 v18, v19, v17
	v_fma_f32 v13, -v13, v18, v14
	v_div_fmas_f32 v13, v13, v17, v18
	v_fma_f32 v14, v5, v11, v6
	v_fma_f32 v11, v6, v11, -v5
	v_div_fixup_f32 v12, v13, v12, 1.0
	v_mul_f32_e32 v13, v14, v12
	v_mul_f32_e32 v14, v11, v12
.LBB147_121:                            ;   in Loop: Header=BB147_117 Depth=1
	s_andn2_b64 vcc, exec, s[6:7]
	s_cbranch_vccnz .LBB147_123
; %bb.122:                              ;   in Loop: Header=BB147_117 Depth=1
	v_div_scale_f32 v11, s[6:7], v9, v9, v10
	v_div_scale_f32 v12, vcc, v10, v9, v10
	v_rcp_f32_e32 v13, v11
	v_fma_f32 v14, -v11, v13, 1.0
	v_fmac_f32_e32 v13, v14, v13
	v_mul_f32_e32 v14, v12, v13
	v_fma_f32 v17, -v11, v14, v12
	v_fmac_f32_e32 v14, v17, v13
	v_fma_f32 v11, -v11, v14, v12
	v_div_fmas_f32 v11, v11, v13, v14
	v_div_fixup_f32 v11, v11, v9, v10
	v_fmac_f32_e32 v9, v10, v11
	v_div_scale_f32 v10, s[6:7], v9, v9, 1.0
	v_div_scale_f32 v12, vcc, 1.0, v9, 1.0
	v_rcp_f32_e32 v13, v10
	v_fma_f32 v14, -v10, v13, 1.0
	v_fmac_f32_e32 v13, v14, v13
	v_mul_f32_e32 v14, v12, v13
	v_fma_f32 v17, -v10, v14, v12
	v_fmac_f32_e32 v14, v17, v13
	v_fma_f32 v10, -v10, v14, v12
	v_div_fmas_f32 v10, v10, v13, v14
	v_fma_f32 v12, v6, v11, v5
	v_fma_f32 v5, -v5, v11, v6
	v_div_fixup_f32 v6, v10, v9, 1.0
	v_mul_f32_e32 v13, v12, v6
	v_mul_f32_e32 v14, v5, v6
.LBB147_123:                            ;   in Loop: Header=BB147_117 Depth=1
	s_lshl_b32 s11, s11, 3
	s_addk_i32 s11, 0x60
	s_lshl_b32 s13, s9, 3
	s_add_i32 s6, s11, s13
	v_mov_b32_e32 v5, s6
	ds_read_b128 v[9:12], v5
	s_mov_b64 s[6:7], -1
	ds_write_b64 v16, v[13:14]
	s_waitcnt lgkmcnt(1)
	v_mul_f32_e32 v5, v14, v10
	v_mul_f32_e32 v6, v13, v10
	v_fma_f32 v5, v13, v9, -v5
	v_fmac_f32_e32 v6, v14, v9
	v_cmp_ngt_f32_e64 s[14:15], |v11|, |v12|
	v_sub_f32_e32 v5, v7, v5
	v_sub_f32_e32 v6, v8, v6
	s_and_b64 vcc, exec, s[14:15]
                                        ; implicit-def: $vgpr10
	s_cbranch_vccz .LBB147_125
; %bb.124:                              ;   in Loop: Header=BB147_117 Depth=1
	v_div_scale_f32 v7, s[6:7], v12, v12, v11
	v_div_scale_f32 v8, vcc, v11, v12, v11
	v_rcp_f32_e32 v9, v7
	v_fma_f32 v10, -v7, v9, 1.0
	v_fmac_f32_e32 v9, v10, v9
	v_mul_f32_e32 v10, v8, v9
	v_fma_f32 v17, -v7, v10, v8
	v_fmac_f32_e32 v10, v17, v9
	v_fma_f32 v7, -v7, v10, v8
	v_div_fmas_f32 v7, v7, v9, v10
	v_div_fixup_f32 v7, v7, v12, v11
	v_fma_f32 v8, v11, v7, v12
	v_div_scale_f32 v9, s[6:7], v8, v8, 1.0
	v_div_scale_f32 v10, vcc, 1.0, v8, 1.0
	s_mov_b64 s[6:7], 0
	v_rcp_f32_e32 v17, v9
	v_fma_f32 v18, -v9, v17, 1.0
	v_fmac_f32_e32 v17, v18, v17
	v_mul_f32_e32 v18, v10, v17
	v_fma_f32 v19, -v9, v18, v10
	v_fmac_f32_e32 v18, v19, v17
	v_fma_f32 v9, -v9, v18, v10
	v_div_fmas_f32 v9, v9, v17, v18
	v_fma_f32 v10, v7, v5, v6
	v_fma_f32 v7, v7, v6, -v5
	v_div_fixup_f32 v8, v9, v8, 1.0
	v_mul_f32_e32 v9, v10, v8
	v_mul_f32_e32 v10, v7, v8
.LBB147_125:                            ;   in Loop: Header=BB147_117 Depth=1
	s_andn2_b64 vcc, exec, s[6:7]
	s_cbranch_vccnz .LBB147_127
; %bb.126:                              ;   in Loop: Header=BB147_117 Depth=1
	v_div_scale_f32 v7, s[6:7], v11, v11, v12
	v_div_scale_f32 v8, vcc, v12, v11, v12
	v_rcp_f32_e32 v9, v7
	v_fma_f32 v10, -v7, v9, 1.0
	v_fmac_f32_e32 v9, v10, v9
	v_mul_f32_e32 v10, v8, v9
	v_fma_f32 v17, -v7, v10, v8
	v_fmac_f32_e32 v10, v17, v9
	v_fma_f32 v7, -v7, v10, v8
	v_div_fmas_f32 v7, v7, v9, v10
	v_div_fixup_f32 v7, v7, v11, v12
	v_fmac_f32_e32 v11, v12, v7
	v_div_scale_f32 v8, s[6:7], v11, v11, 1.0
	v_div_scale_f32 v9, vcc, 1.0, v11, 1.0
	v_rcp_f32_e32 v10, v8
	v_fma_f32 v12, -v8, v10, 1.0
	v_fmac_f32_e32 v10, v12, v10
	v_mul_f32_e32 v12, v9, v10
	v_fma_f32 v17, -v8, v12, v9
	v_fmac_f32_e32 v12, v17, v10
	v_fma_f32 v8, -v8, v12, v9
	v_div_fmas_f32 v8, v8, v10, v12
	v_fma_f32 v9, v7, v6, v5
	v_fma_f32 v5, -v7, v5, v6
	v_div_fixup_f32 v6, v8, v11, 1.0
	v_mul_f32_e32 v9, v9, v6
	v_mul_f32_e32 v10, v5, v6
.LBB147_127:                            ;   in Loop: Header=BB147_117 Depth=1
	s_addk_i32 s11, 0x60
	s_add_i32 s11, s11, s13
	v_mov_b32_e32 v5, s11
	ds_read_b128 v[17:20], v5
	ds_read_b64 v[5:6], v5 offset:16
	s_mov_b64 s[6:7], -1
	ds_write_b64 v16, v[9:10] offset:96
	s_waitcnt lgkmcnt(2)
	v_mul_f32_e32 v7, v14, v18
	v_mul_f32_e32 v8, v13, v18
	v_fma_f32 v7, v13, v17, -v7
	v_fmac_f32_e32 v8, v14, v17
	v_sub_f32_e32 v1, v1, v7
	v_sub_f32_e32 v2, v2, v8
	v_mul_f32_e32 v7, v10, v20
	v_mul_f32_e32 v8, v9, v20
	v_fma_f32 v7, v9, v19, -v7
	v_fmac_f32_e32 v8, v10, v19
	s_waitcnt lgkmcnt(1)
	v_cmp_ngt_f32_e64 s[14:15], |v5|, |v6|
	v_sub_f32_e32 v7, v1, v7
	v_sub_f32_e32 v8, v2, v8
	s_and_b64 vcc, exec, s[14:15]
                                        ; implicit-def: $vgpr2
	s_cbranch_vccz .LBB147_129
; %bb.128:                              ;   in Loop: Header=BB147_117 Depth=1
	v_div_scale_f32 v1, s[6:7], v6, v6, v5
	v_div_scale_f32 v2, vcc, v5, v6, v5
	v_rcp_f32_e32 v11, v1
	v_fma_f32 v12, -v1, v11, 1.0
	v_fmac_f32_e32 v11, v12, v11
	v_mul_f32_e32 v12, v2, v11
	v_fma_f32 v17, -v1, v12, v2
	v_fmac_f32_e32 v12, v17, v11
	v_fma_f32 v1, -v1, v12, v2
	v_div_fmas_f32 v1, v1, v11, v12
	v_div_fixup_f32 v1, v1, v6, v5
	v_fma_f32 v2, v5, v1, v6
	v_div_scale_f32 v11, s[6:7], v2, v2, 1.0
	v_div_scale_f32 v12, vcc, 1.0, v2, 1.0
	s_mov_b64 s[6:7], 0
	v_rcp_f32_e32 v17, v11
	v_fma_f32 v18, -v11, v17, 1.0
	v_fmac_f32_e32 v17, v18, v17
	v_mul_f32_e32 v18, v12, v17
	v_fma_f32 v19, -v11, v18, v12
	v_fmac_f32_e32 v18, v19, v17
	v_fma_f32 v11, -v11, v18, v12
	v_div_fmas_f32 v11, v11, v17, v18
	v_fma_f32 v12, v1, v7, v8
	v_fma_f32 v17, v1, v8, -v7
	v_div_fixup_f32 v2, v11, v2, 1.0
	v_mul_f32_e32 v1, v12, v2
	v_mul_f32_e32 v2, v17, v2
.LBB147_129:                            ;   in Loop: Header=BB147_117 Depth=1
	s_andn2_b64 vcc, exec, s[6:7]
	s_cbranch_vccnz .LBB147_131
; %bb.130:                              ;   in Loop: Header=BB147_117 Depth=1
	v_div_scale_f32 v1, s[6:7], v5, v5, v6
	v_div_scale_f32 v2, vcc, v6, v5, v6
	v_rcp_f32_e32 v11, v1
	v_fma_f32 v12, -v1, v11, 1.0
	v_fmac_f32_e32 v11, v12, v11
	v_mul_f32_e32 v12, v2, v11
	v_fma_f32 v17, -v1, v12, v2
	v_fmac_f32_e32 v12, v17, v11
	v_fma_f32 v1, -v1, v12, v2
	v_div_fmas_f32 v1, v1, v11, v12
	v_div_fixup_f32 v1, v1, v5, v6
	v_fmac_f32_e32 v5, v6, v1
	v_div_scale_f32 v2, s[6:7], v5, v5, 1.0
	v_div_scale_f32 v6, vcc, 1.0, v5, 1.0
	v_rcp_f32_e32 v11, v2
	v_fma_f32 v12, -v2, v11, 1.0
	v_fmac_f32_e32 v11, v12, v11
	v_mul_f32_e32 v12, v6, v11
	v_fma_f32 v17, -v2, v12, v6
	v_fmac_f32_e32 v12, v17, v11
	v_fma_f32 v2, -v2, v12, v6
	v_div_fmas_f32 v2, v2, v11, v12
	v_fma_f32 v6, v1, v8, v7
	v_fma_f32 v7, -v1, v7, v8
	v_div_fixup_f32 v2, v2, v5, 1.0
	v_mul_f32_e32 v1, v6, v2
	v_mul_f32_e32 v2, v7, v2
.LBB147_131:                            ;   in Loop: Header=BB147_117 Depth=1
	v_mov_b32_e32 v5, s11
	ds_read_b128 v[17:20], v5 offset:96
	ds_read_b128 v[5:8], v5 offset:112
	ds_write_b64 v16, v[1:2] offset:192
	s_mov_b64 s[6:7], -1
	s_waitcnt lgkmcnt(2)
	v_mul_f32_e32 v11, v14, v18
	v_fma_f32 v11, v13, v17, -v11
	v_mul_f32_e32 v12, v13, v18
	v_sub_f32_e32 v3, v3, v11
	v_mul_f32_e32 v11, v10, v20
	v_fmac_f32_e32 v12, v14, v17
	v_fma_f32 v11, v9, v19, -v11
	v_mul_f32_e32 v9, v9, v20
	v_sub_f32_e32 v4, v4, v12
	v_fmac_f32_e32 v9, v10, v19
	v_sub_f32_e32 v4, v4, v9
	s_waitcnt lgkmcnt(1)
	v_mul_f32_e32 v9, v2, v6
	v_fma_f32 v9, v1, v5, -v9
	v_mul_f32_e32 v1, v1, v6
	v_sub_f32_e32 v3, v3, v11
	v_fmac_f32_e32 v1, v2, v5
	v_cmp_ngt_f32_e64 s[14:15], |v7|, |v8|
	v_sub_f32_e32 v3, v3, v9
	v_sub_f32_e32 v4, v4, v1
	s_and_b64 vcc, exec, s[14:15]
                                        ; implicit-def: $vgpr2
	s_cbranch_vccz .LBB147_133
; %bb.132:                              ;   in Loop: Header=BB147_117 Depth=1
	v_div_scale_f32 v1, s[6:7], v8, v8, v7
	v_div_scale_f32 v2, vcc, v7, v8, v7
	v_rcp_f32_e32 v5, v1
	v_fma_f32 v6, -v1, v5, 1.0
	v_fmac_f32_e32 v5, v6, v5
	v_mul_f32_e32 v6, v2, v5
	v_fma_f32 v9, -v1, v6, v2
	v_fmac_f32_e32 v6, v9, v5
	v_fma_f32 v1, -v1, v6, v2
	v_div_fmas_f32 v1, v1, v5, v6
	v_div_fixup_f32 v1, v1, v8, v7
	v_fma_f32 v2, v7, v1, v8
	v_div_scale_f32 v5, s[6:7], v2, v2, 1.0
	v_div_scale_f32 v6, vcc, 1.0, v2, 1.0
	s_mov_b64 s[6:7], 0
	v_rcp_f32_e32 v9, v5
	v_fma_f32 v10, -v5, v9, 1.0
	v_fmac_f32_e32 v9, v10, v9
	v_mul_f32_e32 v10, v6, v9
	v_fma_f32 v11, -v5, v10, v6
	v_fmac_f32_e32 v10, v11, v9
	v_fma_f32 v5, -v5, v10, v6
	v_div_fmas_f32 v5, v5, v9, v10
	v_fma_f32 v6, v1, v3, v4
	v_fma_f32 v9, v1, v4, -v3
	v_div_fixup_f32 v2, v5, v2, 1.0
	v_mul_f32_e32 v1, v6, v2
	v_mul_f32_e32 v2, v9, v2
.LBB147_133:                            ;   in Loop: Header=BB147_117 Depth=1
	s_andn2_b64 vcc, exec, s[6:7]
	s_cbranch_vccnz .LBB147_135
; %bb.134:                              ;   in Loop: Header=BB147_117 Depth=1
	v_div_scale_f32 v1, s[6:7], v7, v7, v8
	v_div_scale_f32 v2, vcc, v8, v7, v8
	v_rcp_f32_e32 v5, v1
	v_fma_f32 v6, -v1, v5, 1.0
	v_fmac_f32_e32 v5, v6, v5
	v_mul_f32_e32 v6, v2, v5
	v_fma_f32 v9, -v1, v6, v2
	v_fmac_f32_e32 v6, v9, v5
	v_fma_f32 v1, -v1, v6, v2
	v_div_fmas_f32 v1, v1, v5, v6
	v_div_fixup_f32 v1, v1, v7, v8
	v_fmac_f32_e32 v7, v8, v1
	v_div_scale_f32 v2, s[6:7], v7, v7, 1.0
	v_div_scale_f32 v5, vcc, 1.0, v7, 1.0
	v_rcp_f32_e32 v6, v2
	v_fma_f32 v8, -v2, v6, 1.0
	v_fmac_f32_e32 v6, v8, v6
	v_mul_f32_e32 v8, v5, v6
	v_fma_f32 v9, -v2, v8, v5
	v_fmac_f32_e32 v8, v9, v6
	v_fma_f32 v2, -v2, v8, v5
	v_div_fmas_f32 v2, v2, v6, v8
	v_fma_f32 v5, v1, v4, v3
	v_fma_f32 v3, -v1, v3, v4
	v_div_fixup_f32 v2, v2, v7, 1.0
	v_mul_f32_e32 v1, v5, v2
	v_mul_f32_e32 v2, v3, v2
.LBB147_135:                            ;   in Loop: Header=BB147_117 Depth=1
	s_add_i32 s11, s9, 4
	s_add_i32 s6, s9, 7
	s_addk_i32 s8, 0x180
	s_cmp_ge_i32 s6, s24
	ds_write_b64 v16, v[1:2] offset:288
	s_cbranch_scc1 .LBB147_137
; %bb.136:                              ;   in Loop: Header=BB147_117 Depth=1
	s_mov_b32 s9, s11
	s_branch .LBB147_117
.LBB147_137:
	s_cmp_ge_i32 s11, s24
	s_cbranch_scc1 .LBB147_146
; %bb.138:
	v_mov_b32_e32 v1, 0x480
	v_lshl_or_b32 v7, v0, 3, v1
	s_mul_i32 s8, s11, 0x60
	s_branch .LBB147_140
.LBB147_139:                            ;   in Loop: Header=BB147_140 Depth=1
	s_add_i32 s11, s11, 1
	s_addk_i32 s8, 0x60
	s_cmp_ge_i32 s11, s24
	ds_write_b64 v8, v[5:6]
	s_cbranch_scc1 .LBB147_146
.LBB147_140:                            ; =>This Loop Header: Depth=1
                                        ;     Child Loop BB147_141 Depth 2
	s_mul_i32 s6, s11, 0x60
	v_add_u32_e32 v8, s6, v15
	ds_read_b64 v[1:2], v8
	s_cmp_eq_u32 s11, 0
	s_mov_b32 s6, s8
	v_mov_b32_e32 v3, v7
	s_mov_b32 s7, s11
	s_cbranch_scc1 .LBB147_142
.LBB147_141:                            ;   Parent Loop BB147_140 Depth=1
                                        ; =>  This Inner Loop Header: Depth=2
	v_mov_b32_e32 v6, s6
	ds_read_b64 v[4:5], v3
	ds_read_b64 v[9:10], v6
	s_add_i32 s7, s7, -1
	s_add_i32 s6, s6, 8
	v_add_u32_e32 v3, 0x60, v3
	s_cmp_eq_u32 s7, 0
	s_waitcnt lgkmcnt(0)
	v_mul_f32_e32 v6, v10, v5
	v_mul_f32_e32 v5, v9, v5
	v_fma_f32 v6, v9, v4, -v6
	v_fmac_f32_e32 v5, v10, v4
	v_sub_f32_e32 v1, v1, v6
	v_sub_f32_e32 v2, v2, v5
	s_cbranch_scc0 .LBB147_141
.LBB147_142:                            ;   in Loop: Header=BB147_140 Depth=1
	s_mul_i32 s6, s11, 0x68
	v_mov_b32_e32 v3, s6
	ds_read_b64 v[3:4], v3
	s_mov_b64 s[6:7], -1
                                        ; implicit-def: $vgpr5
	s_waitcnt lgkmcnt(0)
	v_cmp_ngt_f32_e64 s[14:15], |v3|, |v4|
	s_and_b64 vcc, exec, s[14:15]
	s_cbranch_vccz .LBB147_144
; %bb.143:                              ;   in Loop: Header=BB147_140 Depth=1
	v_div_scale_f32 v5, s[6:7], v4, v4, v3
	v_div_scale_f32 v6, vcc, v3, v4, v3
	v_rcp_f32_e32 v9, v5
	v_fma_f32 v10, -v5, v9, 1.0
	v_fmac_f32_e32 v9, v10, v9
	v_mul_f32_e32 v10, v6, v9
	v_fma_f32 v11, -v5, v10, v6
	v_fmac_f32_e32 v10, v11, v9
	v_fma_f32 v5, -v5, v10, v6
	v_div_fmas_f32 v5, v5, v9, v10
	v_div_fixup_f32 v5, v5, v4, v3
	v_fma_f32 v6, v3, v5, v4
	v_div_scale_f32 v9, s[6:7], v6, v6, 1.0
	v_div_scale_f32 v10, vcc, 1.0, v6, 1.0
	s_mov_b64 s[6:7], 0
	v_rcp_f32_e32 v11, v9
	v_fma_f32 v12, -v9, v11, 1.0
	v_fmac_f32_e32 v11, v12, v11
	v_mul_f32_e32 v12, v10, v11
	v_fma_f32 v13, -v9, v12, v10
	v_fmac_f32_e32 v12, v13, v11
	v_fma_f32 v9, -v9, v12, v10
	v_div_fmas_f32 v9, v9, v11, v12
	v_fma_f32 v10, v1, v5, v2
	v_fma_f32 v11, v2, v5, -v1
	v_div_fixup_f32 v6, v9, v6, 1.0
	v_mul_f32_e32 v5, v10, v6
	v_mul_f32_e32 v6, v11, v6
.LBB147_144:                            ;   in Loop: Header=BB147_140 Depth=1
	s_andn2_b64 vcc, exec, s[6:7]
	s_cbranch_vccnz .LBB147_139
; %bb.145:                              ;   in Loop: Header=BB147_140 Depth=1
	v_div_scale_f32 v5, s[6:7], v3, v3, v4
	v_div_scale_f32 v6, vcc, v4, v3, v4
	v_rcp_f32_e32 v9, v5
	v_fma_f32 v10, -v5, v9, 1.0
	v_fmac_f32_e32 v9, v10, v9
	v_mul_f32_e32 v10, v6, v9
	v_fma_f32 v11, -v5, v10, v6
	v_fmac_f32_e32 v10, v11, v9
	v_fma_f32 v5, -v5, v10, v6
	v_div_fmas_f32 v5, v5, v9, v10
	v_div_fixup_f32 v5, v5, v3, v4
	v_fmac_f32_e32 v3, v4, v5
	v_div_scale_f32 v4, s[6:7], v3, v3, 1.0
	v_div_scale_f32 v6, vcc, 1.0, v3, 1.0
	v_rcp_f32_e32 v9, v4
	v_fma_f32 v10, -v4, v9, 1.0
	v_fmac_f32_e32 v9, v10, v9
	v_mul_f32_e32 v10, v6, v9
	v_fma_f32 v11, -v4, v10, v6
	v_fmac_f32_e32 v10, v11, v9
	v_fma_f32 v4, -v4, v10, v6
	v_div_fmas_f32 v4, v4, v9, v10
	v_fma_f32 v6, v2, v5, v1
	v_fma_f32 v1, -v1, v5, v2
	v_div_fixup_f32 v2, v4, v3, 1.0
	v_mul_f32_e32 v5, v6, v2
	v_mul_f32_e32 v6, v1, v2
	s_branch .LBB147_139
.LBB147_146:
	s_and_saveexec_b64 s[6:7], s[0:1]
	s_cbranch_execz .LBB147_150
; %bb.147:
	s_cmp_lt_i32 s12, 1
	s_cbranch_scc1 .LBB147_150
; %bb.148:
	s_lshl_b64 s[0:1], s[4:5], 3
	s_add_u32 s2, s2, s0
	s_addc_u32 s3, s3, s1
	s_lshl_b64 s[0:1], s[16:17], 3
	s_add_u32 s0, s2, s0
	s_addc_u32 s1, s3, s1
	s_add_u32 s0, s0, s21
	s_addc_u32 s1, s1, s20
	s_ashr_i32 s11, s10, 31
	v_lshlrev_b32_e32 v2, 3, v0
	v_mov_b32_e32 v1, s1
	v_add_co_u32_e32 v0, vcc, s0, v2
	s_lshl_b64 s[0:1], s[10:11], 3
	v_addc_co_u32_e32 v1, vcc, 0, v1, vcc
	v_or_b32_e32 v2, 0x480, v2
	v_mov_b32_e32 v3, s1
.LBB147_149:                            ; =>This Inner Loop Header: Depth=1
	ds_read_b64 v[4:5], v2
	s_add_i32 s12, s12, -1
	v_add_u32_e32 v2, 0x60, v2
	s_cmp_lg_u32 s12, 0
	s_waitcnt lgkmcnt(0)
	global_store_dwordx2 v[0:1], v[4:5], off
	v_add_co_u32_e32 v0, vcc, s0, v0
	v_addc_co_u32_e32 v1, vcc, v1, v3, vcc
	s_cbranch_scc1 .LBB147_149
.LBB147_150:
	s_endpgm
	.section	.rodata,"a",@progbits
	.p2align	6, 0x0
	.amdhsa_kernel _ZL31rocblas_trsm_small_right_deviceI19rocblas_complex_numIfES1_PKS1_PS1_Li12EEv13rocblas_fill_18rocblas_operation_17rocblas_diagonal_iiT0_T1_lilT2_lili
		.amdhsa_group_segment_fixed_size 2304
		.amdhsa_private_segment_fixed_size 0
		.amdhsa_kernarg_size 360
		.amdhsa_user_sgpr_count 6
		.amdhsa_user_sgpr_private_segment_buffer 1
		.amdhsa_user_sgpr_dispatch_ptr 0
		.amdhsa_user_sgpr_queue_ptr 0
		.amdhsa_user_sgpr_kernarg_segment_ptr 1
		.amdhsa_user_sgpr_dispatch_id 0
		.amdhsa_user_sgpr_flat_scratch_init 0
		.amdhsa_user_sgpr_private_segment_size 0
		.amdhsa_uses_dynamic_stack 0
		.amdhsa_system_sgpr_private_segment_wavefront_offset 0
		.amdhsa_system_sgpr_workgroup_id_x 1
		.amdhsa_system_sgpr_workgroup_id_y 0
		.amdhsa_system_sgpr_workgroup_id_z 1
		.amdhsa_system_sgpr_workgroup_info 0
		.amdhsa_system_vgpr_workitem_id 0
		.amdhsa_next_free_vgpr 33
		.amdhsa_next_free_sgpr 77
		.amdhsa_reserve_vcc 1
		.amdhsa_reserve_flat_scratch 0
		.amdhsa_float_round_mode_32 0
		.amdhsa_float_round_mode_16_64 0
		.amdhsa_float_denorm_mode_32 3
		.amdhsa_float_denorm_mode_16_64 3
		.amdhsa_dx10_clamp 1
		.amdhsa_ieee_mode 1
		.amdhsa_fp16_overflow 0
		.amdhsa_exception_fp_ieee_invalid_op 0
		.amdhsa_exception_fp_denorm_src 0
		.amdhsa_exception_fp_ieee_div_zero 0
		.amdhsa_exception_fp_ieee_overflow 0
		.amdhsa_exception_fp_ieee_underflow 0
		.amdhsa_exception_fp_ieee_inexact 0
		.amdhsa_exception_int_div_zero 0
	.end_amdhsa_kernel
	.section	.text._ZL31rocblas_trsm_small_right_deviceI19rocblas_complex_numIfES1_PKS1_PS1_Li12EEv13rocblas_fill_18rocblas_operation_17rocblas_diagonal_iiT0_T1_lilT2_lili,"axG",@progbits,_ZL31rocblas_trsm_small_right_deviceI19rocblas_complex_numIfES1_PKS1_PS1_Li12EEv13rocblas_fill_18rocblas_operation_17rocblas_diagonal_iiT0_T1_lilT2_lili,comdat
.Lfunc_end147:
	.size	_ZL31rocblas_trsm_small_right_deviceI19rocblas_complex_numIfES1_PKS1_PS1_Li12EEv13rocblas_fill_18rocblas_operation_17rocblas_diagonal_iiT0_T1_lilT2_lili, .Lfunc_end147-_ZL31rocblas_trsm_small_right_deviceI19rocblas_complex_numIfES1_PKS1_PS1_Li12EEv13rocblas_fill_18rocblas_operation_17rocblas_diagonal_iiT0_T1_lilT2_lili
                                        ; -- End function
	.set _ZL31rocblas_trsm_small_right_deviceI19rocblas_complex_numIfES1_PKS1_PS1_Li12EEv13rocblas_fill_18rocblas_operation_17rocblas_diagonal_iiT0_T1_lilT2_lili.num_vgpr, 31
	.set _ZL31rocblas_trsm_small_right_deviceI19rocblas_complex_numIfES1_PKS1_PS1_Li12EEv13rocblas_fill_18rocblas_operation_17rocblas_diagonal_iiT0_T1_lilT2_lili.num_agpr, 0
	.set _ZL31rocblas_trsm_small_right_deviceI19rocblas_complex_numIfES1_PKS1_PS1_Li12EEv13rocblas_fill_18rocblas_operation_17rocblas_diagonal_iiT0_T1_lilT2_lili.numbered_sgpr, 32
	.set _ZL31rocblas_trsm_small_right_deviceI19rocblas_complex_numIfES1_PKS1_PS1_Li12EEv13rocblas_fill_18rocblas_operation_17rocblas_diagonal_iiT0_T1_lilT2_lili.num_named_barrier, 0
	.set _ZL31rocblas_trsm_small_right_deviceI19rocblas_complex_numIfES1_PKS1_PS1_Li12EEv13rocblas_fill_18rocblas_operation_17rocblas_diagonal_iiT0_T1_lilT2_lili.private_seg_size, 0
	.set _ZL31rocblas_trsm_small_right_deviceI19rocblas_complex_numIfES1_PKS1_PS1_Li12EEv13rocblas_fill_18rocblas_operation_17rocblas_diagonal_iiT0_T1_lilT2_lili.uses_vcc, 1
	.set _ZL31rocblas_trsm_small_right_deviceI19rocblas_complex_numIfES1_PKS1_PS1_Li12EEv13rocblas_fill_18rocblas_operation_17rocblas_diagonal_iiT0_T1_lilT2_lili.uses_flat_scratch, 0
	.set _ZL31rocblas_trsm_small_right_deviceI19rocblas_complex_numIfES1_PKS1_PS1_Li12EEv13rocblas_fill_18rocblas_operation_17rocblas_diagonal_iiT0_T1_lilT2_lili.has_dyn_sized_stack, 0
	.set _ZL31rocblas_trsm_small_right_deviceI19rocblas_complex_numIfES1_PKS1_PS1_Li12EEv13rocblas_fill_18rocblas_operation_17rocblas_diagonal_iiT0_T1_lilT2_lili.has_recursion, 0
	.set _ZL31rocblas_trsm_small_right_deviceI19rocblas_complex_numIfES1_PKS1_PS1_Li12EEv13rocblas_fill_18rocblas_operation_17rocblas_diagonal_iiT0_T1_lilT2_lili.has_indirect_call, 0
	.section	.AMDGPU.csdata,"",@progbits
; Kernel info:
; codeLenInByte = 12040
; TotalNumSgprs: 36
; NumVgprs: 31
; ScratchSize: 0
; MemoryBound: 0
; FloatMode: 240
; IeeeMode: 1
; LDSByteSize: 2304 bytes/workgroup (compile time only)
; SGPRBlocks: 10
; VGPRBlocks: 8
; NumSGPRsForWavesPerEU: 81
; NumVGPRsForWavesPerEU: 33
; Occupancy: 7
; WaveLimiterHint : 0
; COMPUTE_PGM_RSRC2:SCRATCH_EN: 0
; COMPUTE_PGM_RSRC2:USER_SGPR: 6
; COMPUTE_PGM_RSRC2:TRAP_HANDLER: 0
; COMPUTE_PGM_RSRC2:TGID_X_EN: 1
; COMPUTE_PGM_RSRC2:TGID_Y_EN: 0
; COMPUTE_PGM_RSRC2:TGID_Z_EN: 1
; COMPUTE_PGM_RSRC2:TIDIG_COMP_CNT: 0
	.section	.text._ZL38rocblas_trsm_small_left_device_sharedBILi16ELi16ELb0E19rocblas_complex_numIfES1_PKS1_PS1_Ev13rocblas_fill_18rocblas_operation_17rocblas_diagonal_iiT3_T4_lilT5_lili,"axG",@progbits,_ZL38rocblas_trsm_small_left_device_sharedBILi16ELi16ELb0E19rocblas_complex_numIfES1_PKS1_PS1_Ev13rocblas_fill_18rocblas_operation_17rocblas_diagonal_iiT3_T4_lilT5_lili,comdat
	.globl	_ZL38rocblas_trsm_small_left_device_sharedBILi16ELi16ELb0E19rocblas_complex_numIfES1_PKS1_PS1_Ev13rocblas_fill_18rocblas_operation_17rocblas_diagonal_iiT3_T4_lilT5_lili ; -- Begin function _ZL38rocblas_trsm_small_left_device_sharedBILi16ELi16ELb0E19rocblas_complex_numIfES1_PKS1_PS1_Ev13rocblas_fill_18rocblas_operation_17rocblas_diagonal_iiT3_T4_lilT5_lili
	.p2align	8
	.type	_ZL38rocblas_trsm_small_left_device_sharedBILi16ELi16ELb0E19rocblas_complex_numIfES1_PKS1_PS1_Ev13rocblas_fill_18rocblas_operation_17rocblas_diagonal_iiT3_T4_lilT5_lili,@function
_ZL38rocblas_trsm_small_left_device_sharedBILi16ELi16ELb0E19rocblas_complex_numIfES1_PKS1_PS1_Ev13rocblas_fill_18rocblas_operation_17rocblas_diagonal_iiT3_T4_lilT5_lili: ; @_ZL38rocblas_trsm_small_left_device_sharedBILi16ELi16ELb0E19rocblas_complex_numIfES1_PKS1_PS1_Ev13rocblas_fill_18rocblas_operation_17rocblas_diagonal_iiT3_T4_lilT5_lili
; %bb.0:
	s_add_u32 s0, s0, s8
	s_load_dwordx4 s[12:15], s[4:5], 0x4
	s_load_dwordx2 s[20:21], s[4:5], 0x14
	s_load_dwordx4 s[8:11], s[4:5], 0x38
	s_load_dwordx2 s[16:17], s[4:5], 0x48
	s_load_dword s27, s[4:5], 0x68
	s_addc_u32 s1, s1, 0
	s_waitcnt lgkmcnt(0)
	s_min_i32 s26, s14, 16
	v_cmp_gt_i32_e32 vcc, s26, v0
	s_and_saveexec_b64 s[18:19], vcc
	s_cbranch_execz .LBB148_15
; %bb.1:
	s_load_dword s24, s[4:5], 0x30
	s_load_dwordx4 s[28:31], s[4:5], 0x20
	s_mul_i32 s9, s9, s7
	s_mul_hi_u32 s33, s8, s7
	s_mul_i32 s8, s8, s7
	s_waitcnt lgkmcnt(0)
	s_ashr_i32 s25, s24, 31
	s_cmpk_lg_i32 s12, 0x71
	s_cselect_b64 s[22:23], -1, 0
	s_add_i32 s9, s33, s9
	s_lshl_b64 s[8:9], s[8:9], 3
	s_lshl_b64 s[30:31], s[30:31], 3
	s_add_u32 s8, s8, s30
	s_addc_u32 s9, s9, s31
	s_add_u32 s8, s28, s8
	v_lshlrev_b32_e32 v5, 3, v0
	s_addc_u32 s9, s29, s9
	v_mov_b32_e32 v1, s9
	v_add_co_u32_e32 v2, vcc, s8, v5
	v_addc_co_u32_e32 v3, vcc, 0, v1, vcc
	v_add_co_u32_e32 v1, vcc, 4, v2
	s_lshl_b64 s[8:9], s[24:25], 3
	v_addc_co_u32_e32 v2, vcc, 0, v3, vcc
	v_mov_b32_e32 v6, s9
	v_mov_b32_e32 v7, v5
	s_mov_b32 s9, s26
	s_branch .LBB148_3
.LBB148_2:                              ;   in Loop: Header=BB148_3 Depth=1
	global_load_dword v3, v[1:2], off offset:-4
	s_add_i32 s9, s9, -1
	v_add_co_u32_e32 v1, vcc, s8, v1
	v_addc_co_u32_e32 v2, vcc, v2, v6, vcc
	s_cmp_eq_u32 s9, 0
	s_waitcnt vmcnt(0)
	ds_write_b64 v7, v[3:4]
	v_add_u32_e32 v7, 0x80, v7
	s_cbranch_scc1 .LBB148_7
.LBB148_3:                              ; =>This Inner Loop Header: Depth=1
	s_mov_b64 s[24:25], -1
	s_and_b64 vcc, exec, s[22:23]
                                        ; implicit-def: $vgpr4
	s_cbranch_vccz .LBB148_5
; %bb.4:                                ;   in Loop: Header=BB148_3 Depth=1
	global_load_dword v4, v[1:2], off
	s_mov_b64 s[24:25], 0
.LBB148_5:                              ;   in Loop: Header=BB148_3 Depth=1
	s_andn2_b64 vcc, exec, s[24:25]
	s_cbranch_vccnz .LBB148_2
; %bb.6:                                ;   in Loop: Header=BB148_3 Depth=1
	global_load_dword v3, v[1:2], off
	s_waitcnt vmcnt(0)
	v_xor_b32_e32 v4, 0x80000000, v3
	s_branch .LBB148_2
.LBB148_7:
	v_lshlrev_b32_e32 v1, 7, v0
	s_cmpk_lg_i32 s13, 0x84
	s_mov_b64 s[8:9], -1
	v_add_u32_e32 v5, v5, v1
	s_cbranch_scc0 .LBB148_13
; %bb.8:
	ds_read_b64 v[1:2], v5
                                        ; implicit-def: $vgpr3
	s_waitcnt lgkmcnt(0)
	v_cmp_ngt_f32_e64 s[8:9], |v1|, |v2|
	s_and_saveexec_b64 s[22:23], s[8:9]
	s_xor_b64 s[8:9], exec, s[22:23]
	s_cbranch_execz .LBB148_10
; %bb.9:
	v_div_scale_f32 v3, s[22:23], v2, v2, v1
	v_div_scale_f32 v4, vcc, v1, v2, v1
	v_rcp_f32_e32 v6, v3
	v_fma_f32 v7, -v3, v6, 1.0
	v_fmac_f32_e32 v6, v7, v6
	v_mul_f32_e32 v7, v4, v6
	v_fma_f32 v8, -v3, v7, v4
	v_fmac_f32_e32 v7, v8, v6
	v_fma_f32 v3, -v3, v7, v4
	v_div_fmas_f32 v3, v3, v6, v7
	v_div_fixup_f32 v3, v3, v2, v1
	v_fmac_f32_e32 v2, v1, v3
	v_div_scale_f32 v1, s[22:23], v2, v2, 1.0
	v_div_scale_f32 v4, vcc, 1.0, v2, 1.0
	v_rcp_f32_e32 v6, v1
	v_fma_f32 v7, -v1, v6, 1.0
	v_fmac_f32_e32 v6, v7, v6
	v_mul_f32_e32 v7, v4, v6
	v_fma_f32 v8, -v1, v7, v4
	v_fmac_f32_e32 v7, v8, v6
	v_fma_f32 v1, -v1, v7, v4
	v_div_fmas_f32 v1, v1, v6, v7
	v_add_f32_e32 v4, 0, v3
	v_fma_f32 v6, v3, 0, -1.0
	v_div_fixup_f32 v1, v1, v2, 1.0
	v_mul_f32_e32 v3, v4, v1
	v_mul_f32_e32 v4, v6, v1
                                        ; implicit-def: $vgpr1_vgpr2
.LBB148_10:
	s_andn2_saveexec_b64 s[8:9], s[8:9]
	s_cbranch_execz .LBB148_12
; %bb.11:
	v_div_scale_f32 v3, s[22:23], v1, v1, v2
	v_div_scale_f32 v4, vcc, v2, v1, v2
	v_rcp_f32_e32 v6, v3
	v_fma_f32 v7, -v3, v6, 1.0
	v_fmac_f32_e32 v6, v7, v6
	v_mul_f32_e32 v7, v4, v6
	v_fma_f32 v8, -v3, v7, v4
	v_fmac_f32_e32 v7, v8, v6
	v_fma_f32 v3, -v3, v7, v4
	v_div_fmas_f32 v3, v3, v6, v7
	v_div_fixup_f32 v4, v3, v1, v2
	v_fmac_f32_e32 v1, v2, v4
	v_div_scale_f32 v2, s[22:23], v1, v1, 1.0
	v_div_scale_f32 v3, vcc, 1.0, v1, 1.0
	v_rcp_f32_e32 v6, v2
	v_fma_f32 v7, -v2, v6, 1.0
	v_fmac_f32_e32 v6, v7, v6
	v_mul_f32_e32 v7, v3, v6
	v_fma_f32 v8, -v2, v7, v3
	v_fmac_f32_e32 v7, v8, v6
	v_fma_f32 v2, -v2, v7, v3
	v_div_fmas_f32 v2, v2, v6, v7
	v_fma_f32 v3, v4, 0, 1.0
	v_div_fixup_f32 v1, v2, v1, 1.0
	v_mul_f32_e32 v3, v3, v1
	v_mul_f32_e64 v4, -v4, v1
.LBB148_12:
	s_or_b64 exec, exec, s[8:9]
	s_mov_b64 s[8:9], 0
	ds_write_b64 v5, v[3:4]
.LBB148_13:
	s_and_b64 vcc, exec, s[8:9]
	s_cbranch_vccz .LBB148_15
; %bb.14:
	v_mov_b32_e32 v1, 1.0
	v_mov_b32_e32 v2, 0
	ds_write_b64 v5, v[1:2]
.LBB148_15:
	s_or_b64 exec, exec, s[18:19]
	s_load_dword s24, s[4:5], 0x50
	s_load_dwordx2 s[8:9], s[4:5], 0x58
	s_add_i32 s27, s27, -1
	s_waitcnt lgkmcnt(0)
	s_ashr_i32 s13, s24, 31
	s_mul_i32 s4, s9, s7
	s_mul_hi_u32 s5, s8, s7
	s_mul_i32 s18, s8, s7
	s_lshl_b32 s8, s6, 4
	s_add_i32 s19, s5, s4
	s_sub_i32 s4, s15, s8
	s_cmp_ge_u32 s6, s27
	s_cselect_b32 s4, s4, 16
	s_ashr_i32 s9, s8, 31
	s_cmp_gt_i32 s14, 0
	v_cmp_gt_i32_e64 s[4:5], s4, v0
	s_cselect_b64 s[6:7], -1, 0
	s_and_b64 s[28:29], s[4:5], s[6:7]
	s_and_saveexec_b64 s[22:23], s[28:29]
	s_cbranch_execz .LBB148_18
; %bb.16:
	v_lshlrev_b32_e32 v3, 3, v0
	s_lshl_b64 s[30:31], s[8:9], 3
	s_lshl_b64 s[28:29], s[18:19], 3
	v_mov_b32_e32 v1, s31
	v_add_co_u32_e32 v4, vcc, s30, v3
	s_lshl_b64 s[30:31], s[16:17], 3
	s_add_u32 s9, s10, s30
	s_addc_u32 s15, s11, s31
	s_add_u32 s28, s9, s28
	v_addc_co_u32_e32 v5, vcc, 0, v1, vcc
	s_addc_u32 s29, s15, s29
	v_mov_b32_e32 v1, s28
	v_mov_b32_e32 v2, s29
	v_mad_u64_u32 v[1:2], s[28:29], v4, s24, v[1:2]
	v_mul_lo_u32 v4, v4, s13
	v_mul_lo_u32 v5, v5, s24
	v_add_co_u32_e32 v1, vcc, 4, v1
	v_or_b32_e32 v3, 0x800, v3
	v_add3_u32 v2, v5, v2, v4
	v_addc_co_u32_e32 v2, vcc, 0, v2, vcc
	s_mov_b32 s9, s26
.LBB148_17:                             ; =>This Inner Loop Header: Depth=1
	global_load_dwordx2 v[4:5], v[1:2], off offset:-4
	s_add_i32 s9, s9, -1
	v_add_co_u32_e32 v1, vcc, 8, v1
	v_addc_co_u32_e32 v2, vcc, 0, v2, vcc
	s_cmp_lg_u32 s9, 0
	s_waitcnt vmcnt(0)
	v_mul_f32_e32 v7, s21, v5
	v_mul_f32_e32 v6, s20, v5
	v_fma_f32 v5, s20, v4, -v7
	v_fmac_f32_e32 v6, s21, v4
	ds_write_b64 v3, v[5:6]
	v_add_u32_e32 v3, 0x80, v3
	s_cbranch_scc1 .LBB148_17
.LBB148_18:
	s_or_b64 exec, exec, s[22:23]
	v_mov_b32_e32 v1, 0x800
	s_cmpk_eq_i32 s12, 0x6f
	v_lshl_or_b32 v47, v0, 3, v1
	s_mov_b64 s[12:13], -1
	s_waitcnt lgkmcnt(0)
	; wave barrier
	s_cbranch_scc1 .LBB148_40
; %bb.19:
	s_mov_b32 s13, 0
	s_mov_b32 s12, s13
	s_mov_b32 s9, s13
	s_branch .LBB148_21
.LBB148_20:                             ;   in Loop: Header=BB148_21 Depth=1
	s_cmp_ge_i32 s9, s26
	s_cselect_b64 s[20:21], -1, 0
	s_add_i32 s12, s12, 1
	s_cmp_eq_u32 s12, 3
	s_cselect_b64 s[22:23], -1, 0
	s_or_b64 s[20:21], s[20:21], s[22:23]
	s_andn2_b64 vcc, exec, s[20:21]
	s_cbranch_vccz .LBB148_39
.LBB148_21:                             ; =>This Loop Header: Depth=1
                                        ;     Child Loop BB148_24 Depth 2
                                        ;       Child Loop BB148_25 Depth 3
                                        ;       Child Loop BB148_28 Depth 3
                                        ;         Child Loop BB148_29 Depth 4
                                        ;       Child Loop BB148_33 Depth 3
                                        ;         Child Loop BB148_35 Depth 4
	s_lshl_b64 s[20:21], s[12:13], 2
	s_getpc_b64 s[22:23]
	s_add_u32 s22, s22, __const._ZL38rocblas_trsm_small_left_device_sharedBILi16ELi16ELb0E19rocblas_complex_numIfES1_PKS1_PS1_Ev13rocblas_fill_18rocblas_operation_17rocblas_diagonal_iiT3_T4_lilT5_lili.step_sizes@rel32@lo+4
	s_addc_u32 s23, s23, __const._ZL38rocblas_trsm_small_left_device_sharedBILi16ELi16ELb0E19rocblas_complex_numIfES1_PKS1_PS1_Ev13rocblas_fill_18rocblas_operation_17rocblas_diagonal_iiT3_T4_lilT5_lili.step_sizes@rel32@hi+12
	s_add_u32 s20, s22, s20
	s_addc_u32 s21, s23, s21
	s_load_dword s15, s[20:21], 0x0
	s_waitcnt lgkmcnt(0)
	s_add_i32 s22, s15, -1
	s_add_i32 s20, s22, s9
	s_cmp_ge_i32 s20, s26
	s_cbranch_scc1 .LBB148_20
; %bb.22:                               ;   in Loop: Header=BB148_21 Depth=1
	s_lshl_b32 s25, s9, 7
	s_max_i32 s23, s15, 1
	v_add_u32_e32 v3, s25, v47
	s_lshl_b32 s27, s15, 7
	s_mul_i32 s28, s9, 0x88
	s_mul_i32 s29, s15, 0x88
	s_branch .LBB148_24
.LBB148_23:                             ;   in Loop: Header=BB148_24 Depth=2
	s_add_i32 s9, s9, s15
	s_add_i32 s20, s22, s9
	s_add_i32 s25, s25, s27
	s_add_i32 s28, s28, s29
	s_cmp_ge_i32 s20, s26
	v_add_u32_e32 v3, s27, v3
	s_cbranch_scc1 .LBB148_20
.LBB148_24:                             ;   Parent Loop BB148_21 Depth=1
                                        ; =>  This Loop Header: Depth=2
                                        ;       Child Loop BB148_25 Depth 3
                                        ;       Child Loop BB148_28 Depth 3
                                        ;         Child Loop BB148_29 Depth 4
                                        ;       Child Loop BB148_33 Depth 3
                                        ;         Child Loop BB148_35 Depth 4
	s_mov_b32 s20, 0
	v_mov_b32_e32 v1, v3
	s_mov_b32 s21, s23
.LBB148_25:                             ;   Parent Loop BB148_21 Depth=1
                                        ;     Parent Loop BB148_24 Depth=2
                                        ; =>    This Inner Loop Header: Depth=3
	ds_read_b64 v[4:5], v1
	v_mov_b32_e32 v2, s20
	s_add_i32 s21, s21, -1
	s_add_i32 s20, s20, 8
	v_add_u32_e32 v1, 0x80, v1
	s_cmp_eq_u32 s21, 0
	s_waitcnt lgkmcnt(0)
	buffer_store_dword v5, v2, s[0:3], 0 offen offset:4
	buffer_store_dword v4, v2, s[0:3], 0 offen
	s_cbranch_scc0 .LBB148_25
; %bb.26:                               ;   in Loop: Header=BB148_24 Depth=2
	s_cmp_lt_i32 s9, 1
	s_cbranch_scc1 .LBB148_31
; %bb.27:                               ;   in Loop: Header=BB148_24 Depth=2
	s_mov_b32 s20, 0
	s_mov_b32 s21, s25
.LBB148_28:                             ;   Parent Loop BB148_21 Depth=1
                                        ;     Parent Loop BB148_24 Depth=2
                                        ; =>    This Loop Header: Depth=3
                                        ;         Child Loop BB148_29 Depth 4
	v_lshl_add_u32 v1, s20, 7, v47
	ds_read_b64 v[1:2], v1
	s_mov_b32 s30, 0
	s_mov_b32 s31, s21
	s_mov_b32 s33, s23
.LBB148_29:                             ;   Parent Loop BB148_21 Depth=1
                                        ;     Parent Loop BB148_24 Depth=2
                                        ;       Parent Loop BB148_28 Depth=3
                                        ; =>      This Inner Loop Header: Depth=4
	v_mov_b32_e32 v6, s30
	buffer_load_dword v7, v6, s[0:3], 0 offen
	buffer_load_dword v8, v6, s[0:3], 0 offen offset:4
	v_mov_b32_e32 v4, s31
	ds_read_b64 v[4:5], v4
	s_add_i32 s33, s33, -1
	s_addk_i32 s31, 0x80
	s_add_i32 s30, s30, 8
	s_cmp_eq_u32 s33, 0
	s_waitcnt lgkmcnt(0)
	v_mul_f32_e32 v9, v5, v2
	v_mul_f32_e32 v5, v5, v1
	v_fma_f32 v9, v4, v1, -v9
	v_fmac_f32_e32 v5, v4, v2
	s_waitcnt vmcnt(1)
	v_sub_f32_e32 v4, v7, v9
	s_waitcnt vmcnt(0)
	v_sub_f32_e32 v5, v8, v5
	buffer_store_dword v4, v6, s[0:3], 0 offen
	buffer_store_dword v5, v6, s[0:3], 0 offen offset:4
	s_cbranch_scc0 .LBB148_29
; %bb.30:                               ;   in Loop: Header=BB148_28 Depth=3
	s_add_i32 s20, s20, 1
	s_add_i32 s21, s21, 8
	s_cmp_eq_u32 s20, s9
	s_cbranch_scc0 .LBB148_28
.LBB148_31:                             ;   in Loop: Header=BB148_24 Depth=2
	s_lshl_b32 s30, s9, 7
	s_mov_b32 s31, 0
	s_mov_b32 s33, s28
	s_branch .LBB148_33
.LBB148_32:                             ;   in Loop: Header=BB148_33 Depth=3
	s_mul_i32 s20, s35, 0x88
	v_mov_b32_e32 v4, s20
	ds_read_b64 v[4:5], v4
	s_lshl_b32 s20, s31, 3
	s_add_i32 s31, s31, 1
	s_addk_i32 s33, 0x80
	v_mov_b32_e32 v8, s20
	s_waitcnt vmcnt(0) lgkmcnt(0)
	v_mul_f32_e32 v6, v5, v2
	v_mul_f32_e32 v7, v4, v2
	v_fma_f32 v6, v4, v1, -v6
	v_fmac_f32_e32 v7, v5, v1
	v_add_u32_e32 v1, s34, v47
	s_cmp_eq_u32 s31, s23
	buffer_store_dword v6, v8, s[0:3], 0 offen
	buffer_store_dword v7, v8, s[0:3], 0 offen offset:4
	ds_write_b64 v1, v[6:7]
	s_cbranch_scc1 .LBB148_23
.LBB148_33:                             ;   Parent Loop BB148_21 Depth=1
                                        ;     Parent Loop BB148_24 Depth=2
                                        ; =>    This Loop Header: Depth=3
                                        ;         Child Loop BB148_35 Depth 4
	s_cmp_lg_u32 s31, 0
	s_cbranch_scc0 .LBB148_37
; %bb.34:                               ;   in Loop: Header=BB148_33 Depth=3
	s_lshl_b32 s20, s31, 3
	v_mov_b32_e32 v4, s20
	buffer_load_dword v1, v4, s[0:3], 0 offen
	buffer_load_dword v2, v4, s[0:3], 0 offen offset:4
	s_add_i32 s35, s31, s9
	s_lshl_b32 s34, s35, 7
	s_mov_b32 s20, 0
	s_mov_b32 s21, s33
	;; [unrolled: 1-line block ×3, first 2 shown]
.LBB148_35:                             ;   Parent Loop BB148_21 Depth=1
                                        ;     Parent Loop BB148_24 Depth=2
                                        ;       Parent Loop BB148_33 Depth=3
                                        ; =>      This Inner Loop Header: Depth=4
	v_mov_b32_e32 v5, s20
	buffer_load_dword v7, v5, s[0:3], 0 offen offset:4
	buffer_load_dword v8, v5, s[0:3], 0 offen
	v_mov_b32_e32 v5, s21
	ds_read_b64 v[5:6], v5
	s_add_i32 s36, s36, -1
	s_add_i32 s20, s20, 8
	s_add_i32 s21, s21, 8
	s_cmp_eq_u32 s36, 0
	s_waitcnt vmcnt(1) lgkmcnt(0)
	v_mul_f32_e32 v9, v6, v7
	v_mul_f32_e32 v7, v5, v7
	s_waitcnt vmcnt(0)
	v_fma_f32 v5, v5, v8, -v9
	v_fmac_f32_e32 v7, v6, v8
	v_sub_f32_e32 v1, v1, v5
	v_sub_f32_e32 v2, v2, v7
	buffer_store_dword v1, v4, s[0:3], 0 offen
	buffer_store_dword v2, v4, s[0:3], 0 offen offset:4
	s_cbranch_scc0 .LBB148_35
; %bb.36:                               ;   in Loop: Header=BB148_33 Depth=3
	s_branch .LBB148_32
.LBB148_37:                             ;   in Loop: Header=BB148_33 Depth=3
                                        ; implicit-def: $vgpr1
                                        ; implicit-def: $vgpr2
                                        ; implicit-def: $sgpr35
                                        ; implicit-def: $sgpr34
	s_cbranch_execz .LBB148_32
; %bb.38:                               ;   in Loop: Header=BB148_33 Depth=3
	buffer_load_dword v1, off, s[0:3], 0
	buffer_load_dword v2, off, s[0:3], 0 offset:4
	s_mov_b32 s34, s30
	s_mov_b32 s35, s9
	s_branch .LBB148_32
.LBB148_39:
	s_mov_b64 s[12:13], 0
.LBB148_40:
	s_and_b64 vcc, exec, s[12:13]
	s_cbranch_vccz .LBB148_68
; %bb.41:
	s_add_i32 s9, s26, -1
	s_cmp_gt_i32 s14, 15
	s_mov_b32 s14, s9
	s_cbranch_scc0 .LBB148_43
; %bb.42:
	ds_read2_b64 v[1:4], v47 offset0:224 offset1:240
	s_mov_b32 s14, -1
	s_waitcnt lgkmcnt(0)
	buffer_store_dword v4, off, s[0:3], 0 offset:4
	buffer_store_dword v3, off, s[0:3], 0
	buffer_store_dword v2, off, s[0:3], 0 offset:12
	buffer_store_dword v1, off, s[0:3], 0 offset:8
	ds_read2_b64 v[5:8], v47 offset0:192 offset1:208
	s_waitcnt lgkmcnt(0)
	buffer_store_dword v8, off, s[0:3], 0 offset:20
	buffer_store_dword v7, off, s[0:3], 0 offset:16
	buffer_store_dword v6, off, s[0:3], 0 offset:28
	buffer_store_dword v5, off, s[0:3], 0 offset:24
	ds_read2_b64 v[5:8], v47 offset0:160 offset1:176
	s_waitcnt lgkmcnt(0)
	buffer_store_dword v8, off, s[0:3], 0 offset:36
	buffer_store_dword v7, off, s[0:3], 0 offset:32
	;; [unrolled: 6-line block ×6, first 2 shown]
	buffer_store_dword v5, off, s[0:3], 0 offset:104
	buffer_store_dword v6, off, s[0:3], 0 offset:108
	ds_read2_b64 v[5:8], v47 offset1:16
	s_waitcnt lgkmcnt(0)
	buffer_store_dword v8, off, s[0:3], 0 offset:116
	buffer_store_dword v7, off, s[0:3], 0 offset:112
	buffer_store_dword v5, off, s[0:3], 0 offset:120
	buffer_store_dword v6, off, s[0:3], 0 offset:124
	v_mov_b32_e32 v7, 0
	ds_read_b128 v[8:11], v7 offset:2032
	s_waitcnt lgkmcnt(0)
	v_mul_f32_e32 v23, v10, v4
	v_mul_f32_e32 v5, v11, v4
	v_fmac_f32_e32 v23, v11, v3
	v_fma_f32 v22, v10, v3, -v5
	v_mul_f32_e32 v3, v9, v23
	v_mul_f32_e32 v4, v8, v23
	buffer_store_dword v22, off, s[0:3], 0
	buffer_store_dword v23, off, s[0:3], 0 offset:4
	v_fma_f32 v3, v8, v22, -v3
	v_fmac_f32_e32 v4, v9, v22
	v_sub_f32_e32 v5, v1, v3
	v_sub_f32_e32 v6, v2, v4
	ds_read2_b64 v[1:4], v7 offset0:204 offset1:238
	s_waitcnt lgkmcnt(0)
	v_mul_f32_e32 v8, v4, v6
	v_mul_f32_e32 v25, v3, v6
	v_fma_f32 v24, v3, v5, -v8
	v_fmac_f32_e32 v25, v4, v5
	buffer_store_dword v24, off, s[0:3], 0 offset:8
	buffer_store_dword v25, off, s[0:3], 0 offset:12
	ds_write2_b64 v47, v[24:25], v[22:23] offset0:224 offset1:240
	buffer_load_dword v8, off, s[0:3], 0 offset:16
	buffer_load_dword v9, off, s[0:3], 0 offset:20
	ds_read_b128 v[3:6], v7 offset:2016
	s_waitcnt lgkmcnt(0)
	v_mul_f32_e32 v10, v6, v23
	v_fma_f32 v10, v5, v22, -v10
	v_mul_f32_e32 v5, v5, v23
	v_fmac_f32_e32 v5, v6, v22
	s_waitcnt vmcnt(1)
	v_sub_f32_e32 v6, v8, v10
	s_waitcnt vmcnt(0)
	v_sub_f32_e32 v5, v9, v5
	ds_read_b128 v[8:11], v7 offset:1888
	s_waitcnt lgkmcnt(0)
	v_mul_f32_e32 v12, v11, v25
	v_fma_f32 v12, v10, v24, -v12
	v_mul_f32_e32 v10, v10, v25
	v_fmac_f32_e32 v10, v11, v24
	v_sub_f32_e32 v6, v6, v12
	v_sub_f32_e32 v5, v5, v10
	ds_read_b128 v[10:13], v7 offset:1760
	s_waitcnt lgkmcnt(0)
	v_mul_f32_e32 v14, v13, v5
	v_fma_f32 v14, v12, v6, -v14
	v_mul_f32_e32 v27, v12, v5
	v_mul_f32_e32 v5, v4, v23
	v_fmac_f32_e32 v27, v13, v6
	buffer_store_dword v14, off, s[0:3], 0 offset:16
	buffer_store_dword v27, off, s[0:3], 0 offset:20
	v_fma_f32 v5, v3, v22, -v5
	v_mul_f32_e32 v3, v3, v23
	buffer_load_dword v26, off, s[0:3], 0 offset:16
	v_fmac_f32_e32 v3, v4, v22
	buffer_load_dword v4, off, s[0:3], 0 offset:24
	buffer_load_dword v6, off, s[0:3], 0 offset:28
	;; [unrolled: 1-line block ×4, first 2 shown]
	s_waitcnt vmcnt(3)
	v_sub_f32_e32 v4, v4, v5
	s_waitcnt vmcnt(2)
	v_sub_f32_e32 v3, v6, v3
	v_mul_f32_e32 v6, v8, v25
	v_mul_f32_e32 v5, v9, v25
	v_fmac_f32_e32 v6, v9, v24
	v_fma_f32 v5, v8, v24, -v5
	v_sub_f32_e32 v3, v3, v6
	v_mul_f32_e32 v6, v10, v27
	v_sub_f32_e32 v4, v4, v5
	v_mul_f32_e32 v5, v11, v27
	v_fmac_f32_e32 v6, v11, v26
	v_fma_f32 v5, v10, v26, -v5
	v_sub_f32_e32 v3, v3, v6
	v_sub_f32_e32 v4, v4, v5
	v_mul_f32_e32 v5, v2, v3
	v_fma_f32 v28, v1, v4, -v5
	v_mul_f32_e32 v29, v1, v3
	v_fmac_f32_e32 v29, v2, v4
	buffer_store_dword v28, off, s[0:3], 0 offset:24
	buffer_store_dword v29, off, s[0:3], 0 offset:28
	ds_read_b128 v[1:4], v7 offset:2000
	ds_write2_b64 v47, v[28:29], v[26:27] offset0:192 offset1:208
	s_waitcnt lgkmcnt(1)
	v_mul_f32_e32 v5, v4, v23
	v_fma_f32 v5, v3, v22, -v5
	v_mul_f32_e32 v3, v3, v23
	v_fmac_f32_e32 v3, v4, v22
	s_waitcnt vmcnt(3)
	v_sub_f32_e32 v8, v12, v5
	s_waitcnt vmcnt(2)
	v_sub_f32_e32 v9, v13, v3
	ds_read_b128 v[3:6], v7 offset:1872
	s_waitcnt lgkmcnt(0)
	v_mul_f32_e32 v10, v6, v25
	v_fma_f32 v10, v5, v24, -v10
	v_mul_f32_e32 v5, v5, v25
	v_fmac_f32_e32 v5, v6, v24
	v_sub_f32_e32 v6, v8, v10
	v_sub_f32_e32 v5, v9, v5
	ds_read_b128 v[8:11], v7 offset:1744
	s_waitcnt lgkmcnt(0)
	v_mul_f32_e32 v12, v11, v27
	v_fma_f32 v12, v10, v26, -v12
	v_mul_f32_e32 v10, v10, v27
	v_fmac_f32_e32 v10, v11, v26
	v_sub_f32_e32 v6, v6, v12
	;; [unrolled: 8-line block ×3, first 2 shown]
	v_sub_f32_e32 v5, v5, v12
	ds_read_b128 v[12:15], v7 offset:1488
	s_waitcnt lgkmcnt(0)
	v_mul_f32_e32 v16, v15, v5
	v_fma_f32 v16, v14, v6, -v16
	v_mul_f32_e32 v5, v14, v5
	v_fmac_f32_e32 v5, v15, v6
	buffer_store_dword v16, off, s[0:3], 0 offset:32
	buffer_store_dword v5, off, s[0:3], 0 offset:36
	buffer_load_dword v30, off, s[0:3], 0 offset:32
	buffer_load_dword v31, off, s[0:3], 0 offset:36
	s_nop 0
	buffer_load_dword v5, off, s[0:3], 0 offset:40
	buffer_load_dword v6, off, s[0:3], 0 offset:44
	v_mul_f32_e32 v14, v2, v23
	v_fma_f32 v14, v1, v22, -v14
	v_mul_f32_e32 v1, v1, v23
	v_fmac_f32_e32 v1, v2, v22
	s_waitcnt vmcnt(1)
	v_sub_f32_e32 v2, v5, v14
	v_mul_f32_e32 v5, v4, v25
	v_fma_f32 v5, v3, v24, -v5
	v_mul_f32_e32 v3, v3, v25
	s_waitcnt vmcnt(0)
	v_sub_f32_e32 v1, v6, v1
	v_fmac_f32_e32 v3, v4, v24
	v_sub_f32_e32 v1, v1, v3
	v_mul_f32_e32 v3, v9, v27
	v_mul_f32_e32 v4, v8, v27
	v_sub_f32_e32 v2, v2, v5
	v_fma_f32 v3, v8, v26, -v3
	v_fmac_f32_e32 v4, v9, v26
	v_sub_f32_e32 v2, v2, v3
	v_sub_f32_e32 v1, v1, v4
	v_mul_f32_e32 v3, v11, v29
	v_mul_f32_e32 v4, v10, v29
	v_fma_f32 v3, v10, v28, -v3
	v_fmac_f32_e32 v4, v11, v28
	v_sub_f32_e32 v2, v2, v3
	v_sub_f32_e32 v1, v1, v4
	v_mul_f32_e32 v3, v13, v31
	v_mul_f32_e32 v4, v12, v31
	v_fma_f32 v3, v12, v30, -v3
	v_fmac_f32_e32 v4, v13, v30
	v_sub_f32_e32 v5, v2, v3
	v_sub_f32_e32 v6, v1, v4
	ds_read2_b64 v[1:4], v7 offset0:136 offset1:170
	s_waitcnt lgkmcnt(0)
	v_mul_f32_e32 v8, v4, v6
	v_fma_f32 v8, v3, v5, -v8
	v_mul_f32_e32 v3, v3, v6
	v_fmac_f32_e32 v3, v4, v5
	buffer_store_dword v8, off, s[0:3], 0 offset:40
	buffer_store_dword v3, off, s[0:3], 0 offset:44
	buffer_load_dword v32, off, s[0:3], 0 offset:40
	buffer_load_dword v33, off, s[0:3], 0 offset:44
	s_waitcnt vmcnt(0)
	ds_write2_b64 v47, v[32:33], v[30:31] offset0:160 offset1:176
	buffer_load_dword v8, off, s[0:3], 0 offset:48
	buffer_load_dword v9, off, s[0:3], 0 offset:52
	ds_read_b128 v[3:6], v7 offset:1984
	s_waitcnt lgkmcnt(0)
	v_mul_f32_e32 v10, v6, v23
	v_fma_f32 v10, v5, v22, -v10
	v_mul_f32_e32 v5, v5, v23
	v_fmac_f32_e32 v5, v6, v22
	s_waitcnt vmcnt(1)
	v_sub_f32_e32 v6, v8, v10
	s_waitcnt vmcnt(0)
	v_sub_f32_e32 v5, v9, v5
	ds_read_b128 v[8:11], v7 offset:1856
	s_waitcnt lgkmcnt(0)
	v_mul_f32_e32 v12, v11, v25
	v_fma_f32 v12, v10, v24, -v12
	v_mul_f32_e32 v10, v10, v25
	v_fmac_f32_e32 v10, v11, v24
	v_sub_f32_e32 v6, v6, v12
	v_sub_f32_e32 v5, v5, v10
	ds_read_b128 v[10:13], v7 offset:1728
	s_waitcnt lgkmcnt(0)
	v_mul_f32_e32 v14, v13, v27
	v_fma_f32 v14, v12, v26, -v14
	v_mul_f32_e32 v12, v12, v27
	v_fmac_f32_e32 v12, v13, v26
	v_sub_f32_e32 v6, v6, v14
	v_sub_f32_e32 v5, v5, v12
	ds_read_b128 v[12:15], v7 offset:1600
	s_waitcnt lgkmcnt(0)
	v_mul_f32_e32 v16, v15, v29
	v_fma_f32 v16, v14, v28, -v16
	v_mul_f32_e32 v14, v14, v29
	v_fmac_f32_e32 v14, v15, v28
	v_sub_f32_e32 v6, v6, v16
	v_sub_f32_e32 v5, v5, v14
	ds_read_b128 v[14:17], v7 offset:1472
	s_waitcnt lgkmcnt(0)
	v_mul_f32_e32 v18, v17, v31
	v_fma_f32 v18, v16, v30, -v18
	v_mul_f32_e32 v16, v16, v31
	v_fmac_f32_e32 v16, v17, v30
	v_sub_f32_e32 v6, v6, v18
	v_sub_f32_e32 v5, v5, v16
	ds_read_b128 v[16:19], v7 offset:1344
	s_waitcnt lgkmcnt(0)
	v_mul_f32_e32 v20, v19, v33
	v_fma_f32 v20, v18, v32, -v20
	v_mul_f32_e32 v18, v18, v33
	v_fmac_f32_e32 v18, v19, v32
	v_sub_f32_e32 v6, v6, v20
	v_sub_f32_e32 v5, v5, v18
	ds_read_b128 v[18:21], v7 offset:1216
	s_waitcnt lgkmcnt(0)
	v_mul_f32_e32 v34, v21, v5
	v_fma_f32 v34, v20, v6, -v34
	v_mul_f32_e32 v5, v20, v5
	v_fmac_f32_e32 v5, v21, v6
	buffer_store_dword v34, off, s[0:3], 0 offset:48
	buffer_store_dword v5, off, s[0:3], 0 offset:52
	buffer_load_dword v20, off, s[0:3], 0 offset:48
	buffer_load_dword v21, off, s[0:3], 0 offset:52
	s_nop 0
	buffer_load_dword v5, off, s[0:3], 0 offset:56
	buffer_load_dword v6, off, s[0:3], 0 offset:60
	v_mul_f32_e32 v34, v4, v23
	v_fma_f32 v34, v3, v22, -v34
	v_mul_f32_e32 v3, v3, v23
	v_fmac_f32_e32 v3, v4, v22
	s_waitcnt vmcnt(1)
	v_sub_f32_e32 v4, v5, v34
	s_waitcnt vmcnt(0)
	v_sub_f32_e32 v3, v6, v3
	v_mul_f32_e32 v6, v8, v25
	v_mul_f32_e32 v5, v9, v25
	v_fmac_f32_e32 v6, v9, v24
	v_fma_f32 v5, v8, v24, -v5
	v_sub_f32_e32 v3, v3, v6
	v_mul_f32_e32 v6, v10, v27
	v_sub_f32_e32 v4, v4, v5
	v_mul_f32_e32 v5, v11, v27
	v_fmac_f32_e32 v6, v11, v26
	v_fma_f32 v5, v10, v26, -v5
	v_sub_f32_e32 v3, v3, v6
	v_mul_f32_e32 v6, v12, v29
	v_sub_f32_e32 v4, v4, v5
	;; [unrolled: 6-line block ×5, first 2 shown]
	v_mul_f32_e32 v5, v19, v21
	v_fmac_f32_e32 v6, v19, v20
	v_fma_f32 v5, v18, v20, -v5
	v_sub_f32_e32 v3, v3, v6
	v_sub_f32_e32 v4, v4, v5
	v_mul_f32_e32 v5, v2, v3
	v_fma_f32 v5, v1, v4, -v5
	v_mul_f32_e32 v1, v1, v3
	v_fmac_f32_e32 v1, v2, v4
	buffer_store_dword v5, off, s[0:3], 0 offset:56
	buffer_store_dword v1, off, s[0:3], 0 offset:60
	buffer_load_dword v22, off, s[0:3], 0 offset:56
	buffer_load_dword v23, off, s[0:3], 0 offset:60
	s_waitcnt vmcnt(0)
	ds_write2_b64 v47, v[22:23], v[20:21] offset0:128 offset1:144
	buffer_load_dword v5, off, s[0:3], 0 offset:64
	buffer_load_dword v6, off, s[0:3], 0 offset:68
	ds_read_b128 v[1:4], v7 offset:1968
	buffer_load_dword v8, off, s[0:3], 0
	buffer_load_dword v9, off, s[0:3], 0 offset:4
	buffer_load_dword v10, off, s[0:3], 0 offset:8
	;; [unrolled: 1-line block ×11, first 2 shown]
	s_waitcnt vmcnt(10) lgkmcnt(0)
	v_mul_f32_e32 v24, v4, v9
	v_fma_f32 v24, v3, v8, -v24
	v_mul_f32_e32 v3, v3, v9
	v_fmac_f32_e32 v3, v4, v8
	v_sub_f32_e32 v8, v5, v24
	v_sub_f32_e32 v9, v6, v3
	ds_read_b128 v[3:6], v7 offset:1840
	s_waitcnt vmcnt(8) lgkmcnt(0)
	v_mul_f32_e32 v24, v6, v11
	v_fma_f32 v24, v5, v10, -v24
	v_mul_f32_e32 v5, v5, v11
	v_fmac_f32_e32 v5, v6, v10
	v_sub_f32_e32 v6, v8, v24
	v_sub_f32_e32 v5, v9, v5
	ds_read_b128 v[8:11], v7 offset:1712
	s_waitcnt vmcnt(6) lgkmcnt(0)
	v_mul_f32_e32 v24, v11, v13
	v_fma_f32 v24, v10, v12, -v24
	v_mul_f32_e32 v10, v10, v13
	v_fmac_f32_e32 v10, v11, v12
	v_sub_f32_e32 v5, v5, v10
	ds_read_b128 v[10:13], v7 offset:1584
	v_sub_f32_e32 v6, v6, v24
	s_waitcnt vmcnt(4) lgkmcnt(0)
	v_mul_f32_e32 v24, v13, v15
	v_fma_f32 v24, v12, v14, -v24
	v_mul_f32_e32 v12, v12, v15
	v_fmac_f32_e32 v12, v13, v14
	v_sub_f32_e32 v5, v5, v12
	ds_read_b128 v[12:15], v7 offset:1456
	v_sub_f32_e32 v6, v6, v24
	;; [unrolled: 8-line block ×4, first 2 shown]
	s_waitcnt lgkmcnt(0)
	v_mul_f32_e32 v24, v19, v21
	v_fma_f32 v24, v18, v20, -v24
	v_mul_f32_e32 v18, v18, v21
	v_fmac_f32_e32 v18, v19, v20
	v_sub_f32_e32 v5, v5, v18
	ds_read_b128 v[18:21], v7 offset:1072
	v_sub_f32_e32 v6, v6, v24
	s_waitcnt lgkmcnt(0)
	v_mul_f32_e32 v24, v21, v23
	v_fma_f32 v24, v20, v22, -v24
	v_mul_f32_e32 v20, v20, v23
	v_fmac_f32_e32 v20, v21, v22
	v_sub_f32_e32 v24, v6, v24
	v_sub_f32_e32 v6, v5, v20
	ds_read_b128 v[20:23], v7 offset:944
	s_waitcnt lgkmcnt(0)
	v_mul_f32_e32 v5, v23, v6
	v_fma_f32 v5, v22, v24, -v5
	v_mul_f32_e32 v6, v22, v6
	v_fmac_f32_e32 v6, v23, v24
	buffer_store_dword v5, off, s[0:3], 0 offset:64
	buffer_store_dword v6, off, s[0:3], 0 offset:68
	buffer_load_dword v22, off, s[0:3], 0 offset:72
	buffer_load_dword v23, off, s[0:3], 0 offset:76
	buffer_load_dword v24, off, s[0:3], 0
	buffer_load_dword v25, off, s[0:3], 0 offset:4
	buffer_load_dword v26, off, s[0:3], 0 offset:8
	;; [unrolled: 1-line block ×15, first 2 shown]
	s_waitcnt vmcnt(14)
	v_mul_f32_e32 v40, v2, v25
	v_fma_f32 v40, v1, v24, -v40
	v_mul_f32_e32 v1, v1, v25
	v_fmac_f32_e32 v1, v2, v24
	v_sub_f32_e32 v2, v22, v40
	s_waitcnt vmcnt(12)
	v_mul_f32_e32 v22, v4, v27
	v_fma_f32 v22, v3, v26, -v22
	v_mul_f32_e32 v3, v3, v27
	v_sub_f32_e32 v1, v23, v1
	v_fmac_f32_e32 v3, v4, v26
	v_sub_f32_e32 v1, v1, v3
	s_waitcnt vmcnt(10)
	v_mul_f32_e32 v3, v9, v29
	v_mul_f32_e32 v4, v8, v29
	v_sub_f32_e32 v2, v2, v22
	v_fma_f32 v3, v8, v28, -v3
	v_fmac_f32_e32 v4, v9, v28
	v_sub_f32_e32 v2, v2, v3
	v_sub_f32_e32 v1, v1, v4
	s_waitcnt vmcnt(8)
	v_mul_f32_e32 v3, v11, v31
	v_mul_f32_e32 v4, v10, v31
	v_fma_f32 v3, v10, v30, -v3
	v_fmac_f32_e32 v4, v11, v30
	v_sub_f32_e32 v2, v2, v3
	v_sub_f32_e32 v1, v1, v4
	s_waitcnt vmcnt(6)
	v_mul_f32_e32 v3, v13, v33
	v_mul_f32_e32 v4, v12, v33
	;; [unrolled: 7-line block ×5, first 2 shown]
	v_fma_f32 v3, v18, v38, -v3
	v_fmac_f32_e32 v4, v19, v38
	v_sub_f32_e32 v2, v2, v3
	v_sub_f32_e32 v1, v1, v4
	v_mul_f32_e32 v3, v21, v6
	v_mul_f32_e32 v4, v20, v6
	v_fma_f32 v3, v20, v5, -v3
	v_fmac_f32_e32 v4, v21, v5
	v_sub_f32_e32 v8, v2, v3
	v_sub_f32_e32 v9, v1, v4
	ds_read2_b64 v[1:4], v7 offset0:68 offset1:102
	s_waitcnt lgkmcnt(0)
	v_mul_f32_e32 v10, v4, v9
	v_mul_f32_e32 v29, v3, v9
	v_fma_f32 v28, v3, v8, -v10
	v_fmac_f32_e32 v29, v4, v8
	buffer_store_dword v28, off, s[0:3], 0 offset:72
	buffer_store_dword v29, off, s[0:3], 0 offset:76
	ds_write2_b64 v47, v[28:29], v[5:6] offset0:96 offset1:112
	buffer_load_dword v8, off, s[0:3], 0 offset:80
	buffer_load_dword v9, off, s[0:3], 0 offset:84
	ds_read_b128 v[3:6], v7 offset:1952
	buffer_load_dword v10, off, s[0:3], 0
	buffer_load_dword v11, off, s[0:3], 0 offset:4
	buffer_load_dword v12, off, s[0:3], 0 offset:8
	;; [unrolled: 1-line block ×15, first 2 shown]
	s_waitcnt vmcnt(14) lgkmcnt(0)
	v_mul_f32_e32 v26, v6, v11
	v_fma_f32 v26, v5, v10, -v26
	v_mul_f32_e32 v5, v5, v11
	v_fmac_f32_e32 v5, v6, v10
	v_sub_f32_e32 v6, v8, v26
	v_sub_f32_e32 v5, v9, v5
	ds_read_b128 v[8:11], v7 offset:1824
	buffer_store_dword v5, off, s[0:3], 0 offset:84
	s_waitcnt vmcnt(13) lgkmcnt(0)
	v_mul_f32_e32 v26, v11, v13
	v_fma_f32 v26, v10, v12, -v26
	v_mul_f32_e32 v10, v10, v13
	v_fmac_f32_e32 v10, v11, v12
	v_sub_f32_e32 v5, v5, v10
	ds_read_b128 v[10:13], v7 offset:1696
	v_sub_f32_e32 v6, v6, v26
	buffer_store_dword v6, off, s[0:3], 0 offset:80
	s_waitcnt vmcnt(12) lgkmcnt(0)
	v_mul_f32_e32 v26, v13, v15
	v_fma_f32 v26, v12, v14, -v26
	v_mul_f32_e32 v12, v12, v15
	v_fmac_f32_e32 v12, v13, v14
	v_sub_f32_e32 v5, v5, v12
	ds_read_b128 v[12:15], v7 offset:1568
	v_sub_f32_e32 v6, v6, v26
	s_waitcnt vmcnt(10) lgkmcnt(0)
	v_mul_f32_e32 v26, v15, v17
	v_fma_f32 v26, v14, v16, -v26
	v_mul_f32_e32 v14, v14, v17
	v_fmac_f32_e32 v14, v15, v16
	v_sub_f32_e32 v5, v5, v14
	ds_read_b128 v[14:17], v7 offset:1440
	v_sub_f32_e32 v6, v6, v26
	s_waitcnt vmcnt(8) lgkmcnt(0)
	v_mul_f32_e32 v26, v17, v19
	v_fma_f32 v26, v16, v18, -v26
	v_mul_f32_e32 v16, v16, v19
	v_fmac_f32_e32 v16, v17, v18
	v_sub_f32_e32 v5, v5, v16
	ds_read_b128 v[16:19], v7 offset:1312
	v_sub_f32_e32 v6, v6, v26
	s_waitcnt vmcnt(6) lgkmcnt(0)
	v_mul_f32_e32 v26, v19, v21
	v_fma_f32 v26, v18, v20, -v26
	v_mul_f32_e32 v18, v18, v21
	v_fmac_f32_e32 v18, v19, v20
	v_sub_f32_e32 v5, v5, v18
	ds_read_b128 v[18:21], v7 offset:1184
	v_sub_f32_e32 v6, v6, v26
	s_waitcnt vmcnt(4) lgkmcnt(0)
	v_mul_f32_e32 v26, v21, v23
	v_fma_f32 v26, v20, v22, -v26
	v_mul_f32_e32 v20, v20, v23
	v_fmac_f32_e32 v20, v21, v22
	v_sub_f32_e32 v5, v5, v20
	ds_read_b128 v[20:23], v7 offset:1056
	v_sub_f32_e32 v6, v6, v26
	s_waitcnt vmcnt(2) lgkmcnt(0)
	v_mul_f32_e32 v26, v23, v25
	v_fma_f32 v26, v22, v24, -v26
	v_sub_f32_e32 v6, v6, v26
	buffer_load_dword v26, off, s[0:3], 0 offset:64
	buffer_load_dword v27, off, s[0:3], 0 offset:68
	v_mul_f32_e32 v22, v22, v25
	v_fmac_f32_e32 v22, v23, v24
	v_sub_f32_e32 v5, v5, v22
	ds_read_b128 v[22:25], v7 offset:928
	s_waitcnt vmcnt(0) lgkmcnt(0)
	v_mul_f32_e32 v30, v25, v27
	v_fma_f32 v30, v24, v26, -v30
	v_mul_f32_e32 v24, v24, v27
	v_fmac_f32_e32 v24, v25, v26
	v_sub_f32_e32 v5, v5, v24
	ds_read_b128 v[24:27], v7 offset:800
	v_sub_f32_e32 v6, v6, v30
	s_waitcnt lgkmcnt(0)
	v_mul_f32_e32 v30, v27, v29
	v_fma_f32 v30, v26, v28, -v30
	v_mul_f32_e32 v26, v26, v29
	v_fmac_f32_e32 v26, v27, v28
	v_sub_f32_e32 v5, v5, v26
	ds_read_b128 v[26:29], v7 offset:672
	v_sub_f32_e32 v30, v6, v30
	s_waitcnt lgkmcnt(0)
	v_mul_f32_e32 v6, v29, v5
	v_fma_f32 v31, v28, v30, -v6
	v_mul_f32_e32 v6, v28, v5
	v_fmac_f32_e32 v6, v29, v30
	buffer_store_dword v31, off, s[0:3], 0 offset:80
	buffer_store_dword v6, off, s[0:3], 0 offset:84
	buffer_load_dword v5, off, s[0:3], 0 offset:80
	buffer_load_dword v28, off, s[0:3], 0 offset:88
	;; [unrolled: 1-line block ×3, first 2 shown]
	buffer_load_dword v30, off, s[0:3], 0
	buffer_load_dword v31, off, s[0:3], 0 offset:4
	buffer_load_dword v32, off, s[0:3], 0 offset:8
	;; [unrolled: 1-line block ×15, first 2 shown]
	s_waitcnt vmcnt(14)
	v_mul_f32_e32 v46, v4, v31
	v_fma_f32 v46, v3, v30, -v46
	v_mul_f32_e32 v3, v3, v31
	v_fmac_f32_e32 v3, v4, v30
	v_sub_f32_e32 v4, v28, v46
	s_waitcnt vmcnt(12)
	v_mul_f32_e32 v28, v9, v33
	v_fma_f32 v28, v8, v32, -v28
	v_mul_f32_e32 v8, v8, v33
	v_sub_f32_e32 v3, v29, v3
	v_fmac_f32_e32 v8, v9, v32
	v_sub_f32_e32 v3, v3, v8
	s_waitcnt vmcnt(10)
	v_mul_f32_e32 v8, v11, v35
	v_mul_f32_e32 v9, v10, v35
	v_sub_f32_e32 v4, v4, v28
	v_fma_f32 v8, v10, v34, -v8
	v_fmac_f32_e32 v9, v11, v34
	v_sub_f32_e32 v4, v4, v8
	v_sub_f32_e32 v3, v3, v9
	s_waitcnt vmcnt(8)
	v_mul_f32_e32 v8, v13, v37
	v_mul_f32_e32 v9, v12, v37
	v_fma_f32 v8, v12, v36, -v8
	v_fmac_f32_e32 v9, v13, v36
	v_sub_f32_e32 v4, v4, v8
	v_sub_f32_e32 v3, v3, v9
	s_waitcnt vmcnt(6)
	v_mul_f32_e32 v8, v15, v39
	v_mul_f32_e32 v9, v14, v39
	;; [unrolled: 7-line block ×5, first 2 shown]
	v_fma_f32 v8, v20, v44, -v8
	v_fmac_f32_e32 v9, v21, v44
	v_sub_f32_e32 v4, v4, v8
	v_sub_f32_e32 v3, v3, v9
	buffer_load_dword v8, off, s[0:3], 0 offset:64
	buffer_load_dword v9, off, s[0:3], 0 offset:68
	s_waitcnt vmcnt(0)
	v_mul_f32_e32 v10, v23, v9
	v_mul_f32_e32 v9, v22, v9
	v_fmac_f32_e32 v9, v23, v8
	v_fma_f32 v10, v22, v8, -v10
	v_sub_f32_e32 v3, v3, v9
	buffer_load_dword v8, off, s[0:3], 0 offset:72
	buffer_load_dword v9, off, s[0:3], 0 offset:76
	v_sub_f32_e32 v4, v4, v10
	s_waitcnt vmcnt(0)
	v_mul_f32_e32 v10, v25, v9
	v_mul_f32_e32 v9, v24, v9
	v_fmac_f32_e32 v9, v25, v8
	v_sub_f32_e32 v3, v3, v9
	v_mul_f32_e32 v9, v26, v6
	v_fma_f32 v10, v24, v8, -v10
	v_mul_f32_e32 v8, v27, v6
	v_fmac_f32_e32 v9, v27, v5
	v_sub_f32_e32 v4, v4, v10
	v_fma_f32 v8, v26, v5, -v8
	v_sub_f32_e32 v3, v3, v9
	v_sub_f32_e32 v4, v4, v8
	v_mul_f32_e32 v8, v2, v3
	v_mul_f32_e32 v31, v1, v3
	v_fma_f32 v30, v1, v4, -v8
	v_fmac_f32_e32 v31, v2, v4
	buffer_store_dword v30, off, s[0:3], 0 offset:88
	buffer_store_dword v31, off, s[0:3], 0 offset:92
	ds_write2_b64 v47, v[30:31], v[5:6] offset0:64 offset1:80
	buffer_load_dword v5, off, s[0:3], 0 offset:96
	buffer_load_dword v6, off, s[0:3], 0 offset:100
	ds_read_b128 v[1:4], v7 offset:1936
	buffer_load_dword v8, off, s[0:3], 0
	buffer_load_dword v9, off, s[0:3], 0 offset:4
	buffer_load_dword v10, off, s[0:3], 0 offset:8
	;; [unrolled: 1-line block ×7, first 2 shown]
	s_waitcnt vmcnt(6) lgkmcnt(0)
	v_mul_f32_e32 v16, v4, v9
	v_fma_f32 v16, v3, v8, -v16
	v_mul_f32_e32 v3, v3, v9
	v_fmac_f32_e32 v3, v4, v8
	v_sub_f32_e32 v8, v5, v16
	v_sub_f32_e32 v9, v6, v3
	ds_read_b128 v[3:6], v7 offset:1808
	s_waitcnt vmcnt(4) lgkmcnt(0)
	v_mul_f32_e32 v16, v6, v11
	v_fma_f32 v16, v5, v10, -v16
	v_mul_f32_e32 v5, v5, v11
	v_fmac_f32_e32 v5, v6, v10
	v_sub_f32_e32 v6, v8, v16
	v_sub_f32_e32 v5, v9, v5
	ds_read_b128 v[8:11], v7 offset:1680
	s_waitcnt vmcnt(2) lgkmcnt(0)
	v_mul_f32_e32 v16, v11, v13
	v_fma_f32 v16, v10, v12, -v16
	v_mul_f32_e32 v10, v10, v13
	v_fmac_f32_e32 v10, v11, v12
	v_sub_f32_e32 v5, v5, v10
	ds_read_b128 v[10:13], v7 offset:1552
	v_sub_f32_e32 v6, v6, v16
	buffer_store_dword v5, off, s[0:3], 0 offset:100
	s_waitcnt vmcnt(1) lgkmcnt(0)
	v_mul_f32_e32 v16, v13, v15
	v_fma_f32 v16, v12, v14, -v16
	v_mul_f32_e32 v12, v12, v15
	v_sub_f32_e32 v6, v6, v16
	v_fmac_f32_e32 v12, v13, v14
	buffer_store_dword v6, off, s[0:3], 0 offset:96
	v_sub_f32_e32 v5, v5, v12
	ds_read_b128 v[12:15], v7 offset:1424
	buffer_load_dword v16, off, s[0:3], 0 offset:32
	buffer_load_dword v17, off, s[0:3], 0 offset:36
	;; [unrolled: 1-line block ×14, first 2 shown]
	s_waitcnt vmcnt(12) lgkmcnt(0)
	v_mul_f32_e32 v32, v15, v17
	v_fma_f32 v32, v14, v16, -v32
	v_mul_f32_e32 v14, v14, v17
	v_fmac_f32_e32 v14, v15, v16
	v_sub_f32_e32 v5, v5, v14
	ds_read_b128 v[14:17], v7 offset:1296
	v_sub_f32_e32 v6, v6, v32
	s_waitcnt vmcnt(10) lgkmcnt(0)
	v_mul_f32_e32 v32, v17, v19
	v_fma_f32 v32, v16, v18, -v32
	v_mul_f32_e32 v16, v16, v19
	v_fmac_f32_e32 v16, v17, v18
	v_sub_f32_e32 v5, v5, v16
	ds_read_b128 v[16:19], v7 offset:1168
	v_sub_f32_e32 v6, v6, v32
	;; [unrolled: 8-line block ×7, first 2 shown]
	s_waitcnt lgkmcnt(0)
	v_mul_f32_e32 v32, v29, v31
	v_fma_f32 v32, v28, v30, -v32
	v_mul_f32_e32 v28, v28, v31
	v_fmac_f32_e32 v28, v29, v30
	v_sub_f32_e32 v5, v5, v28
	ds_read_b128 v[28:31], v7 offset:400
	v_sub_f32_e32 v32, v6, v32
	s_waitcnt lgkmcnt(0)
	v_mul_f32_e32 v6, v31, v5
	v_fma_f32 v33, v30, v32, -v6
	v_mul_f32_e32 v6, v30, v5
	v_fmac_f32_e32 v6, v31, v32
	buffer_store_dword v33, off, s[0:3], 0 offset:96
	buffer_store_dword v6, off, s[0:3], 0 offset:100
	buffer_load_dword v5, off, s[0:3], 0 offset:96
	buffer_load_dword v30, off, s[0:3], 0 offset:104
	;; [unrolled: 1-line block ×3, first 2 shown]
	buffer_load_dword v32, off, s[0:3], 0
	buffer_load_dword v33, off, s[0:3], 0 offset:4
	buffer_load_dword v34, off, s[0:3], 0 offset:8
	;; [unrolled: 1-line block ×15, first 2 shown]
	s_waitcnt vmcnt(14)
	v_mul_f32_e32 v49, v2, v33
	v_fma_f32 v49, v1, v32, -v49
	v_mul_f32_e32 v1, v1, v33
	v_fmac_f32_e32 v1, v2, v32
	v_sub_f32_e32 v2, v30, v49
	s_waitcnt vmcnt(12)
	v_mul_f32_e32 v30, v4, v35
	v_fma_f32 v30, v3, v34, -v30
	v_mul_f32_e32 v3, v3, v35
	v_sub_f32_e32 v1, v31, v1
	v_fmac_f32_e32 v3, v4, v34
	v_sub_f32_e32 v1, v1, v3
	s_waitcnt vmcnt(10)
	v_mul_f32_e32 v3, v9, v37
	v_mul_f32_e32 v4, v8, v37
	v_sub_f32_e32 v2, v2, v30
	v_fma_f32 v3, v8, v36, -v3
	v_fmac_f32_e32 v4, v9, v36
	v_sub_f32_e32 v2, v2, v3
	v_sub_f32_e32 v1, v1, v4
	s_waitcnt vmcnt(8)
	v_mul_f32_e32 v3, v11, v39
	v_mul_f32_e32 v4, v10, v39
	v_fma_f32 v3, v10, v38, -v3
	v_fmac_f32_e32 v4, v11, v38
	v_sub_f32_e32 v2, v2, v3
	v_sub_f32_e32 v1, v1, v4
	s_waitcnt vmcnt(6)
	v_mul_f32_e32 v3, v13, v41
	v_mul_f32_e32 v4, v12, v41
	;; [unrolled: 7-line block ×5, first 2 shown]
	v_fma_f32 v3, v18, v46, -v3
	v_fmac_f32_e32 v4, v19, v46
	v_sub_f32_e32 v2, v2, v3
	v_sub_f32_e32 v1, v1, v4
	buffer_load_dword v3, off, s[0:3], 0 offset:64
	buffer_load_dword v4, off, s[0:3], 0 offset:68
	s_waitcnt vmcnt(0)
	v_mul_f32_e32 v8, v21, v4
	v_mul_f32_e32 v4, v20, v4
	v_fmac_f32_e32 v4, v21, v3
	v_fma_f32 v8, v20, v3, -v8
	v_sub_f32_e32 v1, v1, v4
	buffer_load_dword v3, off, s[0:3], 0 offset:72
	buffer_load_dword v4, off, s[0:3], 0 offset:76
	v_sub_f32_e32 v2, v2, v8
	s_waitcnt vmcnt(0)
	v_mul_f32_e32 v8, v23, v4
	v_mul_f32_e32 v4, v22, v4
	v_fmac_f32_e32 v4, v23, v3
	v_fma_f32 v8, v22, v3, -v8
	v_sub_f32_e32 v1, v1, v4
	buffer_load_dword v3, off, s[0:3], 0 offset:80
	buffer_load_dword v4, off, s[0:3], 0 offset:84
	v_sub_f32_e32 v2, v2, v8
	;; [unrolled: 9-line block ×3, first 2 shown]
	s_waitcnt vmcnt(0)
	v_mul_f32_e32 v8, v27, v4
	v_mul_f32_e32 v4, v26, v4
	v_fmac_f32_e32 v4, v27, v3
	v_fma_f32 v8, v26, v3, -v8
	v_sub_f32_e32 v1, v1, v4
	v_mul_f32_e32 v3, v29, v6
	v_mul_f32_e32 v4, v28, v6
	v_sub_f32_e32 v2, v2, v8
	v_fma_f32 v3, v28, v5, -v3
	v_fmac_f32_e32 v4, v29, v5
	v_sub_f32_e32 v10, v2, v3
	v_sub_f32_e32 v9, v1, v4
	ds_read2_b64 v[1:4], v7 offset1:34
	s_waitcnt lgkmcnt(0)
	v_mul_f32_e32 v8, v4, v9
	v_mul_f32_e32 v9, v3, v9
	v_fma_f32 v8, v3, v10, -v8
	v_fmac_f32_e32 v9, v4, v10
	buffer_store_dword v8, off, s[0:3], 0 offset:104
	buffer_store_dword v9, off, s[0:3], 0 offset:108
	ds_write2_b64 v47, v[8:9], v[5:6] offset0:32 offset1:48
	buffer_load_dword v3, off, s[0:3], 0 offset:112
	buffer_load_dword v4, off, s[0:3], 0 offset:116
	ds_read_b128 v[25:28], v7 offset:1920
	buffer_load_dword v5, off, s[0:3], 0
	buffer_load_dword v6, off, s[0:3], 0 offset:4
	buffer_load_dword v8, off, s[0:3], 0 offset:8
	;; [unrolled: 1-line block ×9, first 2 shown]
	ds_read_b128 v[31:34], v7 offset:1792
	s_waitcnt vmcnt(8) lgkmcnt(1)
	v_mul_f32_e32 v16, v28, v6
	v_mul_f32_e32 v6, v27, v6
	v_fmac_f32_e32 v6, v28, v5
	v_fma_f32 v16, v27, v5, -v16
	s_waitcnt vmcnt(6) lgkmcnt(0)
	v_mul_f32_e32 v5, v34, v9
	v_fma_f32 v5, v33, v8, -v5
	v_sub_f32_e32 v4, v4, v6
	v_mul_f32_e32 v6, v33, v9
	v_fmac_f32_e32 v6, v34, v8
	ds_read_b128 v[33:36], v7 offset:1664
	v_sub_f32_e32 v3, v3, v16
	v_sub_f32_e32 v3, v3, v5
	;; [unrolled: 1-line block ×3, first 2 shown]
	s_waitcnt vmcnt(4) lgkmcnt(0)
	v_mul_f32_e32 v5, v36, v11
	v_mul_f32_e32 v6, v35, v11
	v_fma_f32 v5, v35, v10, -v5
	v_fmac_f32_e32 v6, v36, v10
	ds_read_b128 v[35:38], v7 offset:1536
	v_sub_f32_e32 v3, v3, v5
	v_sub_f32_e32 v4, v4, v6
	s_waitcnt vmcnt(2) lgkmcnt(0)
	v_mul_f32_e32 v5, v38, v13
	v_mul_f32_e32 v6, v37, v13
	v_fma_f32 v5, v37, v12, -v5
	v_fmac_f32_e32 v6, v38, v12
	ds_read_b128 v[37:40], v7 offset:1408
	v_sub_f32_e32 v4, v4, v6
	v_sub_f32_e32 v3, v3, v5
	s_waitcnt vmcnt(0) lgkmcnt(0)
	v_mul_f32_e32 v6, v39, v15
	v_fmac_f32_e32 v6, v40, v14
	v_mul_f32_e32 v5, v40, v15
	v_sub_f32_e32 v4, v4, v6
	v_fma_f32 v5, v39, v14, -v5
	buffer_store_dword v4, off, s[0:3], 0 offset:116
	v_sub_f32_e32 v3, v3, v5
	ds_read_b128 v[39:42], v7 offset:1280
	buffer_load_dword v5, off, s[0:3], 0 offset:40
	buffer_load_dword v6, off, s[0:3], 0 offset:44
	;; [unrolled: 1-line block ×16, first 2 shown]
	ds_read_b128 v[27:30], v7 offset:896
	ds_read_b128 v[21:24], v7 offset:768
	s_waitcnt vmcnt(14) lgkmcnt(2)
	v_mul_f32_e32 v17, v42, v6
	v_mul_f32_e32 v6, v41, v6
	v_fma_f32 v17, v41, v5, -v17
	v_fmac_f32_e32 v6, v42, v5
	ds_read_b128 v[41:44], v7 offset:1152
	v_sub_f32_e32 v4, v4, v6
	v_sub_f32_e32 v3, v3, v17
	buffer_store_dword v3, off, s[0:3], 0 offset:112
	ds_read_b128 v[17:20], v7 offset:640
	s_waitcnt vmcnt(13) lgkmcnt(1)
	v_mul_f32_e32 v5, v44, v9
	v_mul_f32_e32 v6, v43, v9
	v_fma_f32 v5, v43, v8, -v5
	v_fmac_f32_e32 v6, v44, v8
	ds_read_b128 v[43:46], v7 offset:1024
	v_sub_f32_e32 v3, v3, v5
	v_sub_f32_e32 v4, v4, v6
	s_waitcnt vmcnt(11) lgkmcnt(0)
	v_mul_f32_e32 v5, v46, v11
	v_mul_f32_e32 v6, v45, v11
	v_fma_f32 v5, v45, v10, -v5
	v_fmac_f32_e32 v6, v46, v10
	v_sub_f32_e32 v3, v3, v5
	v_sub_f32_e32 v4, v4, v6
	s_waitcnt vmcnt(9)
	v_mul_f32_e32 v5, v30, v13
	v_mul_f32_e32 v6, v29, v13
	v_fma_f32 v5, v29, v12, -v5
	v_fmac_f32_e32 v6, v30, v12
	v_sub_f32_e32 v3, v3, v5
	v_sub_f32_e32 v4, v4, v6
	s_waitcnt vmcnt(7)
	;; [unrolled: 7-line block ×3, first 2 shown]
	v_mul_f32_e32 v5, v20, v48
	v_mul_f32_e32 v6, v19, v48
	v_fma_f32 v5, v19, v16, -v5
	v_fmac_f32_e32 v6, v20, v16
	ds_read_b128 v[13:16], v7 offset:512
	ds_read_b128 v[9:12], v7 offset:384
	v_sub_f32_e32 v4, v4, v6
	v_sub_f32_e32 v3, v3, v5
	s_waitcnt vmcnt(3) lgkmcnt(1)
	v_mul_f32_e32 v6, v15, v50
	v_mul_f32_e32 v5, v16, v50
	v_fmac_f32_e32 v6, v16, v49
	v_fma_f32 v5, v15, v49, -v5
	v_sub_f32_e32 v4, v4, v6
	s_waitcnt vmcnt(1) lgkmcnt(0)
	v_mul_f32_e32 v6, v11, v52
	v_sub_f32_e32 v3, v3, v5
	v_mul_f32_e32 v5, v12, v52
	v_fmac_f32_e32 v6, v12, v51
	buffer_load_dword v12, off, s[0:3], 0 offset:104
	buffer_load_dword v15, off, s[0:3], 0 offset:108
	v_fma_f32 v5, v11, v51, -v5
	v_sub_f32_e32 v8, v3, v5
	v_sub_f32_e32 v11, v4, v6
	ds_read_b128 v[3:6], v7 offset:256
	s_waitcnt vmcnt(0) lgkmcnt(0)
	v_mul_f32_e32 v16, v6, v15
	v_fma_f32 v16, v5, v12, -v16
	v_mul_f32_e32 v5, v5, v15
	v_fmac_f32_e32 v5, v6, v12
	v_sub_f32_e32 v15, v8, v16
	v_sub_f32_e32 v12, v11, v5
	ds_read_b128 v[5:8], v7 offset:128
	s_waitcnt lgkmcnt(0)
	v_mul_f32_e32 v11, v8, v12
	v_fma_f32 v11, v7, v15, -v11
	v_mul_f32_e32 v12, v7, v12
	v_fmac_f32_e32 v12, v8, v15
	buffer_store_dword v11, off, s[0:3], 0 offset:112
	buffer_store_dword v12, off, s[0:3], 0 offset:116
	buffer_load_dword v7, off, s[0:3], 0 offset:120
	buffer_load_dword v8, off, s[0:3], 0 offset:124
	buffer_load_dword v15, off, s[0:3], 0
	buffer_load_dword v16, off, s[0:3], 0 offset:4
	buffer_load_dword v19, off, s[0:3], 0 offset:8
	;; [unrolled: 1-line block ×15, first 2 shown]
	s_waitcnt vmcnt(14)
	v_mul_f32_e32 v54, v26, v16
	v_mul_f32_e32 v16, v25, v16
	v_fmac_f32_e32 v16, v26, v15
	v_fma_f32 v54, v25, v15, -v54
	v_sub_f32_e32 v8, v8, v16
	s_waitcnt vmcnt(12)
	v_mul_f32_e32 v15, v32, v20
	v_mul_f32_e32 v16, v31, v20
	v_sub_f32_e32 v7, v7, v54
	v_fma_f32 v15, v31, v19, -v15
	v_fmac_f32_e32 v16, v32, v19
	v_sub_f32_e32 v7, v7, v15
	v_sub_f32_e32 v8, v8, v16
	s_waitcnt vmcnt(10)
	v_mul_f32_e32 v15, v34, v24
	v_mul_f32_e32 v16, v33, v24
	v_fma_f32 v15, v33, v23, -v15
	v_fmac_f32_e32 v16, v34, v23
	v_sub_f32_e32 v7, v7, v15
	v_sub_f32_e32 v8, v8, v16
	s_waitcnt vmcnt(8)
	v_mul_f32_e32 v15, v36, v30
	v_mul_f32_e32 v16, v35, v30
	;; [unrolled: 7-line block ×6, first 2 shown]
	v_fma_f32 v15, v43, v52, -v15
	v_fmac_f32_e32 v16, v44, v52
	v_sub_f32_e32 v7, v7, v15
	v_sub_f32_e32 v8, v8, v16
	buffer_load_dword v15, off, s[0:3], 0 offset:64
	buffer_load_dword v16, off, s[0:3], 0 offset:68
	s_waitcnt vmcnt(0)
	v_mul_f32_e32 v19, v28, v16
	v_mul_f32_e32 v16, v27, v16
	v_fmac_f32_e32 v16, v28, v15
	v_fma_f32 v19, v27, v15, -v19
	v_sub_f32_e32 v8, v8, v16
	buffer_load_dword v15, off, s[0:3], 0 offset:72
	buffer_load_dword v16, off, s[0:3], 0 offset:76
	v_sub_f32_e32 v7, v7, v19
	s_waitcnt vmcnt(0)
	v_mul_f32_e32 v19, v22, v16
	v_mul_f32_e32 v16, v21, v16
	v_fmac_f32_e32 v16, v22, v15
	v_fma_f32 v19, v21, v15, -v19
	v_sub_f32_e32 v8, v8, v16
	buffer_load_dword v15, off, s[0:3], 0 offset:80
	buffer_load_dword v16, off, s[0:3], 0 offset:84
	v_sub_f32_e32 v7, v7, v19
	;; [unrolled: 9-line block ×3, first 2 shown]
	s_waitcnt vmcnt(0)
	v_mul_f32_e32 v17, v14, v16
	v_fma_f32 v17, v13, v15, -v17
	v_mul_f32_e32 v13, v13, v16
	v_fmac_f32_e32 v13, v14, v15
	v_sub_f32_e32 v8, v8, v13
	buffer_load_dword v13, off, s[0:3], 0 offset:96
	buffer_load_dword v14, off, s[0:3], 0 offset:100
	v_sub_f32_e32 v7, v7, v17
	s_waitcnt vmcnt(0)
	v_mul_f32_e32 v15, v10, v14
	v_fma_f32 v15, v9, v13, -v15
	v_mul_f32_e32 v9, v9, v14
	v_fmac_f32_e32 v9, v10, v13
	v_sub_f32_e32 v8, v8, v9
	buffer_load_dword v9, off, s[0:3], 0 offset:104
	buffer_load_dword v10, off, s[0:3], 0 offset:108
	v_sub_f32_e32 v7, v7, v15
	s_waitcnt vmcnt(0)
	v_mul_f32_e32 v13, v4, v10
	v_fma_f32 v13, v3, v9, -v13
	v_mul_f32_e32 v3, v3, v10
	v_fmac_f32_e32 v3, v4, v9
	v_sub_f32_e32 v4, v7, v13
	v_mul_f32_e32 v7, v6, v12
	v_fma_f32 v7, v5, v11, -v7
	v_mul_f32_e32 v5, v5, v12
	v_sub_f32_e32 v3, v8, v3
	v_fmac_f32_e32 v5, v6, v11
	v_sub_f32_e32 v6, v4, v7
	v_sub_f32_e32 v4, v3, v5
	v_mul_f32_e32 v3, v2, v4
	v_mul_f32_e32 v4, v1, v4
	v_fma_f32 v3, v1, v6, -v3
	v_fmac_f32_e32 v4, v2, v6
	buffer_store_dword v3, off, s[0:3], 0 offset:120
	buffer_store_dword v4, off, s[0:3], 0 offset:124
	ds_write2_b64 v47, v[3:4], v[11:12] offset1:16
.LBB148_43:
	s_cmp_gt_i32 s14, -1
	s_cbranch_scc0 .LBB148_68
; %bb.44:
	s_cmp_lt_u32 s14, 11
	s_cbranch_scc1 .LBB148_52
; %bb.45:
	s_lshl_b32 s15, s14, 7
	v_add_u32_e32 v25, s15, v47
	v_add_u32_e32 v1, 0xffffff80, v25
	v_add_u32_e32 v2, 0xffffff00, v25
	v_add_u32_e32 v5, 0xfffffe80, v25
	ds_read_b64 v[3:4], v25
	ds_read_b64 v[23:24], v1
	;; [unrolled: 1-line block ×4, first 2 shown]
	v_add_u32_e32 v7, 0xfffffe00, v25
	s_waitcnt lgkmcnt(3)
	buffer_store_dword v4, off, s[0:3], 0 offset:4
	buffer_store_dword v3, off, s[0:3], 0
	s_waitcnt lgkmcnt(2)
	buffer_store_dword v24, off, s[0:3], 0 offset:12
	buffer_store_dword v23, off, s[0:3], 0 offset:8
	s_waitcnt lgkmcnt(1)
	buffer_store_dword v2, off, s[0:3], 0 offset:20
	buffer_store_dword v1, off, s[0:3], 0 offset:16
	;; [unrolled: 3-line block ×3, first 2 shown]
	v_add_u32_e32 v9, 0xfffffd80, v25
	v_add_u32_e32 v10, 0xfffffd00, v25
	ds_read_b64 v[7:8], v7
	v_add_u32_e32 v15, 0xfffffc80, v25
	ds_read_b64 v[13:14], v9
	ds_read_b64 v[11:12], v10
	;; [unrolled: 1-line block ×3, first 2 shown]
	s_waitcnt lgkmcnt(3)
	buffer_store_dword v8, off, s[0:3], 0 offset:36
	buffer_store_dword v7, off, s[0:3], 0 offset:32
	s_waitcnt lgkmcnt(2)
	buffer_store_dword v14, off, s[0:3], 0 offset:44
	buffer_store_dword v13, off, s[0:3], 0 offset:40
	s_waitcnt lgkmcnt(1)
	buffer_store_dword v12, off, s[0:3], 0 offset:52
	buffer_store_dword v11, off, s[0:3], 0 offset:48
	s_waitcnt lgkmcnt(0)
	buffer_store_dword v10, off, s[0:3], 0 offset:60
	buffer_store_dword v9, off, s[0:3], 0 offset:56
	v_add_u32_e32 v15, 0xfffffc00, v25
	v_add_u32_e32 v17, 0xfffffb80, v25
	;; [unrolled: 1-line block ×3, first 2 shown]
	ds_read_b64 v[15:16], v15
	v_add_u32_e32 v26, 0xfffffa80, v25
	ds_read_b64 v[21:22], v17
	ds_read_b64 v[19:20], v18
	ds_read_b64 v[17:18], v26
	s_cmp_gt_i32 s9, s14
	s_waitcnt lgkmcnt(3)
	buffer_store_dword v16, off, s[0:3], 0 offset:68
	buffer_store_dword v15, off, s[0:3], 0 offset:64
	s_waitcnt lgkmcnt(2)
	buffer_store_dword v21, off, s[0:3], 0 offset:72
	buffer_store_dword v22, off, s[0:3], 0 offset:76
	;; [unrolled: 3-line block ×4, first 2 shown]
	s_cbranch_scc1 .LBB148_47
; %bb.46:
	buffer_load_dword v28, off, s[0:3], 0 offset:4
	buffer_load_dword v26, off, s[0:3], 0 offset:8
	;; [unrolled: 1-line block ×3, first 2 shown]
	s_cbranch_execz .LBB148_48
	s_branch .LBB148_51
.LBB148_47:
                                        ; implicit-def: $vgpr28
                                        ; implicit-def: $vgpr26
                                        ; implicit-def: $vgpr27
.LBB148_48:
	s_lshl_b32 s12, s26, 7
	s_lshl_b32 s13, s14, 3
	s_waitcnt vmcnt(1)
	v_lshl_or_b32 v26, v0, 3, s12
	s_add_i32 s12, s12, s13
	v_add_u32_e32 v29, 0x780, v26
	s_addk_i32 s12, 0xff28
	s_waitcnt vmcnt(0)
	v_mov_b32_e32 v27, v24
	v_mov_b32_e32 v26, v23
	;; [unrolled: 1-line block ×3, first 2 shown]
	s_mov_b32 s13, s9
.LBB148_49:                             ; =>This Inner Loop Header: Depth=1
	ds_read_b64 v[23:24], v29
	v_mov_b32_e32 v4, s12
	ds_read2_b64 v[30:33], v4 offset0:10 offset1:11
	ds_read2_b64 v[34:37], v4 offset0:8 offset1:9
	ds_read2_b64 v[38:41], v4 offset0:6 offset1:7
	ds_read2_b64 v[42:45], v4 offset0:4 offset1:5
	ds_read2_b64 v[48:51], v4 offset0:2 offset1:3
	ds_read2_b64 v[52:55], v4 offset1:1
	s_add_i32 s13, s13, -1
	s_addk_i32 s12, 0xff80
	s_waitcnt lgkmcnt(5)
	v_mul_f32_e32 v4, v33, v24
	v_mul_f32_e32 v33, v33, v23
	;; [unrolled: 1-line block ×4, first 2 shown]
	s_waitcnt lgkmcnt(4)
	v_mul_f32_e32 v56, v37, v24
	v_mul_f32_e32 v37, v37, v23
	v_mul_f32_e32 v57, v35, v24
	v_mul_f32_e32 v35, v35, v23
	v_fma_f32 v4, v32, v23, -v4
	v_fmac_f32_e32 v33, v32, v24
	v_fma_f32 v32, v30, v23, -v46
	v_fmac_f32_e32 v31, v30, v24
	s_waitcnt lgkmcnt(3)
	v_mul_f32_e32 v30, v41, v24
	v_mul_f32_e32 v41, v41, v23
	v_mul_f32_e32 v46, v39, v24
	v_mul_f32_e32 v39, v39, v23
	v_fma_f32 v56, v36, v23, -v56
	v_fmac_f32_e32 v37, v36, v24
	v_fma_f32 v36, v34, v23, -v57
	v_fmac_f32_e32 v35, v34, v24
	;; [unrolled: 9-line block ×5, first 2 shown]
	v_fma_f32 v42, v54, v23, -v42
	v_fmac_f32_e32 v55, v54, v24
	v_fma_f32 v23, v52, v23, -v57
	v_fmac_f32_e32 v53, v52, v24
	v_add_u32_e32 v29, 0xffffff80, v29
	s_cmp_gt_i32 s13, s14
	v_sub_f32_e32 v3, v3, v4
	v_sub_f32_e32 v28, v28, v33
	;; [unrolled: 1-line block ×24, first 2 shown]
	s_cbranch_scc1 .LBB148_49
; %bb.50:
	buffer_store_dword v3, off, s[0:3], 0
	buffer_store_dword v28, off, s[0:3], 0 offset:4
	buffer_store_dword v26, off, s[0:3], 0 offset:8
	;; [unrolled: 1-line block ×23, first 2 shown]
.LBB148_51:
	s_add_i32 s12, s14, -1
	s_lshl_b32 s13, s12, 3
	s_add_i32 s20, s13, s15
	v_mov_b32_e32 v4, s20
	ds_read2_b64 v[4:7], v4 offset1:1
	s_lshl_b32 s12, s12, 7
	s_add_i32 s13, s13, s12
	s_add_i32 s20, s14, -3
	s_lshl_b32 s21, s20, 3
	s_waitcnt vmcnt(2) lgkmcnt(0)
	v_mul_f32_e32 v18, v6, v28
	v_mul_f32_e32 v8, v7, v28
	v_fmac_f32_e32 v18, v7, v3
	v_fma_f32 v17, v6, v3, -v8
	v_mul_f32_e32 v3, v5, v18
	v_fma_f32 v3, v4, v17, -v3
	v_mul_f32_e32 v4, v4, v18
	buffer_store_dword v17, off, s[0:3], 0
	buffer_store_dword v18, off, s[0:3], 0 offset:4
	v_fmac_f32_e32 v4, v5, v17
	s_waitcnt vmcnt(3)
	v_sub_f32_e32 v5, v26, v3
	v_mov_b32_e32 v3, s13
	s_waitcnt vmcnt(2)
	v_sub_f32_e32 v6, v27, v4
	ds_read_b64 v[3:4], v3
	s_add_i32 s13, s21, s15
	ds_write_b64 v25, v[17:18]
	s_lshl_b32 s20, s20, 7
	s_waitcnt lgkmcnt(1)
	v_mul_f32_e32 v7, v4, v6
	v_mul_f32_e32 v20, v3, v6
	v_fma_f32 v19, v3, v5, -v7
	v_fmac_f32_e32 v20, v4, v5
	v_add_u32_e32 v3, s12, v47
	buffer_store_dword v19, off, s[0:3], 0 offset:8
	buffer_store_dword v20, off, s[0:3], 0 offset:12
	ds_write_b64 v3, v[19:20]
	v_mov_b32_e32 v3, s13
	ds_read2_b64 v[3:6], v3 offset1:1
	s_add_i32 s13, s21, s12
	s_waitcnt lgkmcnt(0)
	v_mul_f32_e32 v7, v6, v18
	v_fma_f32 v7, v5, v17, -v7
	v_mul_f32_e32 v5, v5, v18
	v_fmac_f32_e32 v5, v6, v17
	v_sub_f32_e32 v2, v2, v5
	v_mov_b32_e32 v5, s13
	v_sub_f32_e32 v1, v1, v7
	ds_read2_b64 v[5:8], v5 offset1:1
	s_add_i32 s13, s15, 0xffffff00
	s_add_i32 s22, s21, s13
	;; [unrolled: 1-line block ×3, first 2 shown]
	s_waitcnt lgkmcnt(0)
	v_mul_f32_e32 v9, v8, v20
	v_fma_f32 v9, v7, v19, -v9
	v_mul_f32_e32 v7, v7, v20
	v_fmac_f32_e32 v7, v8, v19
	v_sub_f32_e32 v2, v2, v7
	v_mov_b32_e32 v7, s22
	v_sub_f32_e32 v1, v1, v9
	ds_read2_b64 v[7:10], v7 offset1:1
	s_add_i32 s22, s14, -5
	s_lshl_b32 s23, s22, 3
	s_lshl_b32 s22, s22, 7
	s_waitcnt lgkmcnt(0)
	v_mul_f32_e32 v11, v10, v2
	v_mul_f32_e32 v22, v9, v2
	v_fma_f32 v21, v9, v1, -v11
	v_fmac_f32_e32 v22, v10, v1
	v_add_u32_e32 v1, s13, v47
	buffer_store_dword v21, off, s[0:3], 0 offset:16
	buffer_store_dword v22, off, s[0:3], 0 offset:20
	ds_write_b64 v1, v[21:22]
	buffer_load_dword v1, off, s[0:3], 0 offset:24
	buffer_load_dword v2, off, s[0:3], 0 offset:28
	v_mul_f32_e32 v9, v4, v18
	v_fma_f32 v9, v3, v17, -v9
	v_mul_f32_e32 v3, v3, v18
	v_fmac_f32_e32 v3, v4, v17
	v_mul_f32_e32 v4, v5, v20
	v_fmac_f32_e32 v4, v6, v19
	s_waitcnt vmcnt(1)
	v_sub_f32_e32 v1, v1, v9
	s_waitcnt vmcnt(0)
	v_sub_f32_e32 v2, v2, v3
	v_mul_f32_e32 v3, v6, v20
	v_fma_f32 v3, v5, v19, -v3
	v_sub_f32_e32 v1, v1, v3
	v_mul_f32_e32 v3, v8, v22
	v_sub_f32_e32 v2, v2, v4
	v_fma_f32 v3, v7, v21, -v3
	v_mul_f32_e32 v4, v7, v22
	v_fmac_f32_e32 v4, v8, v21
	v_sub_f32_e32 v3, v1, v3
	v_mov_b32_e32 v1, s21
	v_sub_f32_e32 v4, v2, v4
	ds_read_b64 v[1:2], v1
	s_add_i32 s21, s23, s15
	s_waitcnt lgkmcnt(0)
	v_mul_f32_e32 v5, v2, v4
	v_fma_f32 v5, v1, v3, -v5
	v_mul_f32_e32 v24, v1, v4
	v_fmac_f32_e32 v24, v2, v3
	buffer_store_dword v5, off, s[0:3], 0 offset:24
	buffer_store_dword v24, off, s[0:3], 0 offset:28
	buffer_load_dword v23, off, s[0:3], 0 offset:24
	v_add_u32_e32 v1, s20, v47
	s_waitcnt vmcnt(0)
	ds_write_b64 v1, v[23:24]
	buffer_load_dword v5, off, s[0:3], 0 offset:32
	buffer_load_dword v6, off, s[0:3], 0 offset:36
	v_mov_b32_e32 v1, s21
	ds_read2_b64 v[1:4], v1 offset1:1
	s_add_i32 s21, s23, s12
	s_waitcnt lgkmcnt(0)
	v_mul_f32_e32 v7, v4, v18
	v_fma_f32 v7, v3, v17, -v7
	v_mul_f32_e32 v3, v3, v18
	v_fmac_f32_e32 v3, v4, v17
	s_waitcnt vmcnt(1)
	v_sub_f32_e32 v7, v5, v7
	s_waitcnt vmcnt(0)
	v_sub_f32_e32 v8, v6, v3
	v_mov_b32_e32 v3, s21
	ds_read2_b64 v[3:6], v3 offset1:1
	s_add_i32 s21, s23, s13
	s_waitcnt lgkmcnt(0)
	v_mul_f32_e32 v9, v6, v20
	v_fma_f32 v9, v5, v19, -v9
	v_mul_f32_e32 v5, v5, v20
	v_fmac_f32_e32 v5, v6, v19
	v_sub_f32_e32 v10, v8, v5
	v_mov_b32_e32 v5, s21
	v_sub_f32_e32 v9, v7, v9
	ds_read2_b64 v[5:8], v5 offset1:1
	s_add_i32 s21, s23, s20
	s_waitcnt lgkmcnt(0)
	v_mul_f32_e32 v11, v8, v22
	v_fma_f32 v11, v7, v21, -v11
	v_mul_f32_e32 v7, v7, v22
	v_fmac_f32_e32 v7, v8, v21
	v_sub_f32_e32 v12, v10, v7
	v_mov_b32_e32 v7, s21
	v_sub_f32_e32 v11, v9, v11
	ds_read2_b64 v[7:10], v7 offset1:1
	s_add_i32 s21, s15, 0xfffffe00
	s_add_i32 s25, s23, s21
	;; [unrolled: 1-line block ×3, first 2 shown]
	s_waitcnt lgkmcnt(0)
	v_mul_f32_e32 v13, v10, v24
	v_fma_f32 v13, v9, v23, -v13
	v_mul_f32_e32 v9, v9, v24
	v_fmac_f32_e32 v9, v10, v23
	v_sub_f32_e32 v14, v12, v9
	v_mov_b32_e32 v9, s25
	v_sub_f32_e32 v13, v11, v13
	ds_read2_b64 v[9:12], v9 offset1:1
	s_waitcnt lgkmcnt(0)
	v_mul_f32_e32 v15, v12, v14
	v_mul_f32_e32 v26, v11, v14
	v_fma_f32 v25, v11, v13, -v15
	v_fmac_f32_e32 v26, v12, v13
	v_add_u32_e32 v11, s21, v47
	buffer_store_dword v25, off, s[0:3], 0 offset:32
	buffer_store_dword v26, off, s[0:3], 0 offset:36
	ds_write_b64 v11, v[25:26]
	buffer_load_dword v11, off, s[0:3], 0 offset:40
	buffer_load_dword v12, off, s[0:3], 0 offset:44
	v_mul_f32_e32 v13, v2, v18
	v_fma_f32 v13, v1, v17, -v13
	v_mul_f32_e32 v1, v1, v18
	v_fmac_f32_e32 v1, v2, v17
	s_waitcnt vmcnt(1)
	v_sub_f32_e32 v2, v11, v13
	v_mul_f32_e32 v11, v4, v20
	v_fma_f32 v11, v3, v19, -v11
	v_mul_f32_e32 v3, v3, v20
	s_waitcnt vmcnt(0)
	v_sub_f32_e32 v1, v12, v1
	v_fmac_f32_e32 v3, v4, v19
	v_mul_f32_e32 v4, v5, v22
	v_sub_f32_e32 v1, v1, v3
	v_mul_f32_e32 v3, v6, v22
	v_fmac_f32_e32 v4, v6, v21
	v_sub_f32_e32 v2, v2, v11
	v_fma_f32 v3, v5, v21, -v3
	v_sub_f32_e32 v1, v1, v4
	v_mul_f32_e32 v4, v7, v24
	v_sub_f32_e32 v2, v2, v3
	v_mul_f32_e32 v3, v8, v24
	v_fmac_f32_e32 v4, v8, v23
	v_fma_f32 v3, v7, v23, -v3
	v_sub_f32_e32 v1, v1, v4
	v_mul_f32_e32 v4, v9, v26
	v_sub_f32_e32 v2, v2, v3
	v_mul_f32_e32 v3, v10, v26
	v_fmac_f32_e32 v4, v10, v25
	v_fma_f32 v3, v9, v25, -v3
	v_sub_f32_e32 v4, v1, v4
	v_mov_b32_e32 v1, s23
	v_sub_f32_e32 v3, v2, v3
	ds_read_b64 v[1:2], v1
	s_add_i32 s23, s14, -7
	s_lshl_b32 s25, s23, 3
	s_add_i32 s27, s25, s15
	s_waitcnt lgkmcnt(0)
	v_mul_f32_e32 v5, v2, v4
	v_fma_f32 v5, v1, v3, -v5
	v_mul_f32_e32 v1, v1, v4
	v_fmac_f32_e32 v1, v2, v3
	buffer_store_dword v5, off, s[0:3], 0 offset:40
	buffer_store_dword v1, off, s[0:3], 0 offset:44
	buffer_load_dword v27, off, s[0:3], 0 offset:40
	buffer_load_dword v28, off, s[0:3], 0 offset:44
	v_add_u32_e32 v1, s22, v47
	s_waitcnt vmcnt(0)
	ds_write_b64 v1, v[27:28]
	buffer_load_dword v5, off, s[0:3], 0 offset:48
	buffer_load_dword v6, off, s[0:3], 0 offset:52
	v_mov_b32_e32 v1, s27
	ds_read2_b64 v[1:4], v1 offset1:1
	s_add_i32 s27, s25, s12
	s_waitcnt lgkmcnt(0)
	v_mul_f32_e32 v7, v4, v18
	v_fma_f32 v7, v3, v17, -v7
	v_mul_f32_e32 v3, v3, v18
	v_fmac_f32_e32 v3, v4, v17
	s_waitcnt vmcnt(1)
	v_sub_f32_e32 v7, v5, v7
	s_waitcnt vmcnt(0)
	v_sub_f32_e32 v8, v6, v3
	v_mov_b32_e32 v3, s27
	ds_read2_b64 v[3:6], v3 offset1:1
	s_add_i32 s27, s25, s13
	s_waitcnt lgkmcnt(0)
	v_mul_f32_e32 v9, v6, v20
	v_fma_f32 v9, v5, v19, -v9
	v_mul_f32_e32 v5, v5, v20
	v_fmac_f32_e32 v5, v6, v19
	v_sub_f32_e32 v10, v8, v5
	v_mov_b32_e32 v5, s27
	v_sub_f32_e32 v9, v7, v9
	ds_read2_b64 v[5:8], v5 offset1:1
	s_add_i32 s27, s25, s20
	s_waitcnt lgkmcnt(0)
	v_mul_f32_e32 v11, v8, v22
	v_fma_f32 v11, v7, v21, -v11
	v_mul_f32_e32 v7, v7, v22
	v_fmac_f32_e32 v7, v8, v21
	v_sub_f32_e32 v12, v10, v7
	v_mov_b32_e32 v7, s27
	v_sub_f32_e32 v11, v9, v11
	;; [unrolled: 10-line block ×4, first 2 shown]
	ds_read2_b64 v[11:14], v11 offset1:1
	s_add_i32 s27, s15, 0xfffffd00
	s_add_i32 s28, s25, s27
	s_waitcnt lgkmcnt(0)
	v_mul_f32_e32 v29, v14, v28
	v_fma_f32 v29, v13, v27, -v29
	v_mul_f32_e32 v13, v13, v28
	v_fmac_f32_e32 v13, v14, v27
	v_sub_f32_e32 v30, v16, v13
	v_mov_b32_e32 v13, s28
	v_sub_f32_e32 v29, v15, v29
	ds_read2_b64 v[13:16], v13 offset1:1
	s_lshl_b32 s28, s23, 7
	s_add_i32 s23, s25, s28
	s_waitcnt lgkmcnt(0)
	v_mul_f32_e32 v31, v16, v30
	v_fma_f32 v31, v15, v29, -v31
	v_mul_f32_e32 v15, v15, v30
	v_fmac_f32_e32 v15, v16, v29
	buffer_store_dword v31, off, s[0:3], 0 offset:48
	buffer_store_dword v15, off, s[0:3], 0 offset:52
	buffer_load_dword v29, off, s[0:3], 0 offset:48
	buffer_load_dword v30, off, s[0:3], 0 offset:52
	v_add_u32_e32 v15, s27, v47
	v_mul_f32_e32 v31, v2, v18
	v_fma_f32 v31, v1, v17, -v31
	v_mul_f32_e32 v1, v1, v18
	v_fmac_f32_e32 v1, v2, v17
	s_waitcnt vmcnt(0)
	ds_write_b64 v15, v[29:30]
	buffer_load_dword v15, off, s[0:3], 0 offset:56
	buffer_load_dword v16, off, s[0:3], 0 offset:60
	s_waitcnt vmcnt(1)
	v_sub_f32_e32 v2, v15, v31
	v_mul_f32_e32 v15, v4, v20
	v_fma_f32 v15, v3, v19, -v15
	v_mul_f32_e32 v3, v3, v20
	s_waitcnt vmcnt(0)
	v_sub_f32_e32 v1, v16, v1
	v_fmac_f32_e32 v3, v4, v19
	v_mul_f32_e32 v4, v5, v22
	v_sub_f32_e32 v1, v1, v3
	v_mul_f32_e32 v3, v6, v22
	v_fmac_f32_e32 v4, v6, v21
	v_sub_f32_e32 v2, v2, v15
	v_fma_f32 v3, v5, v21, -v3
	v_sub_f32_e32 v1, v1, v4
	v_mul_f32_e32 v4, v7, v24
	v_sub_f32_e32 v2, v2, v3
	v_mul_f32_e32 v3, v8, v24
	v_fmac_f32_e32 v4, v8, v23
	v_fma_f32 v3, v7, v23, -v3
	v_sub_f32_e32 v1, v1, v4
	v_mul_f32_e32 v4, v9, v26
	v_sub_f32_e32 v2, v2, v3
	v_mul_f32_e32 v3, v10, v26
	v_fmac_f32_e32 v4, v10, v25
	;; [unrolled: 6-line block ×4, first 2 shown]
	v_fma_f32 v3, v13, v29, -v3
	v_sub_f32_e32 v4, v1, v4
	v_mov_b32_e32 v1, s23
	v_sub_f32_e32 v3, v2, v3
	ds_read_b64 v[1:2], v1
	s_add_i32 s23, s14, -9
	s_lshl_b32 s25, s23, 3
	s_add_i32 s29, s25, s15
	s_waitcnt lgkmcnt(0)
	v_mul_f32_e32 v5, v2, v4
	v_fma_f32 v5, v1, v3, -v5
	v_mul_f32_e32 v1, v1, v4
	v_fmac_f32_e32 v1, v2, v3
	buffer_store_dword v5, off, s[0:3], 0 offset:56
	buffer_store_dword v1, off, s[0:3], 0 offset:60
	buffer_load_dword v19, off, s[0:3], 0 offset:56
	buffer_load_dword v20, off, s[0:3], 0 offset:60
	v_add_u32_e32 v1, s28, v47
	s_waitcnt vmcnt(0)
	ds_write_b64 v1, v[19:20]
	buffer_load_dword v5, off, s[0:3], 0 offset:64
	buffer_load_dword v6, off, s[0:3], 0 offset:68
	v_mov_b32_e32 v1, s29
	ds_read2_b64 v[1:4], v1 offset1:1
	buffer_load_dword v7, off, s[0:3], 0
	buffer_load_dword v8, off, s[0:3], 0 offset:4
	buffer_load_dword v9, off, s[0:3], 0 offset:8
	;; [unrolled: 1-line block ×11, first 2 shown]
	s_add_i32 s29, s25, s12
	s_waitcnt vmcnt(10) lgkmcnt(0)
	v_mul_f32_e32 v21, v4, v8
	v_fma_f32 v21, v3, v7, -v21
	v_mul_f32_e32 v3, v3, v8
	v_fmac_f32_e32 v3, v4, v7
	v_sub_f32_e32 v7, v5, v21
	v_sub_f32_e32 v8, v6, v3
	v_mov_b32_e32 v3, s29
	ds_read2_b64 v[3:6], v3 offset1:1
	s_add_i32 s29, s25, s13
	s_waitcnt vmcnt(8) lgkmcnt(0)
	v_mul_f32_e32 v21, v6, v10
	v_fma_f32 v21, v5, v9, -v21
	v_mul_f32_e32 v5, v5, v10
	v_fmac_f32_e32 v5, v6, v9
	v_sub_f32_e32 v10, v8, v5
	v_mov_b32_e32 v5, s29
	v_sub_f32_e32 v9, v7, v21
	ds_read2_b64 v[5:8], v5 offset1:1
	s_add_i32 s29, s25, s20
	s_waitcnt vmcnt(6) lgkmcnt(0)
	v_mul_f32_e32 v21, v8, v12
	v_fma_f32 v21, v7, v11, -v21
	v_mul_f32_e32 v7, v7, v12
	v_fmac_f32_e32 v7, v8, v11
	v_sub_f32_e32 v12, v10, v7
	v_mov_b32_e32 v7, s29
	v_sub_f32_e32 v11, v9, v21
	;; [unrolled: 10-line block ×5, first 2 shown]
	ds_read2_b64 v[13:16], v13 offset1:1
	s_add_i32 s29, s25, s28
	s_waitcnt lgkmcnt(0)
	v_mul_f32_e32 v21, v16, v30
	v_fma_f32 v21, v15, v29, -v21
	v_mul_f32_e32 v15, v15, v30
	v_fmac_f32_e32 v15, v16, v29
	v_sub_f32_e32 v22, v18, v15
	v_mov_b32_e32 v15, s29
	v_sub_f32_e32 v21, v17, v21
	ds_read2_b64 v[15:18], v15 offset1:1
	s_add_i32 s29, s15, 0xfffffc00
	s_add_i32 s30, s25, s29
	s_waitcnt lgkmcnt(0)
	v_mul_f32_e32 v23, v18, v20
	v_fma_f32 v23, v17, v19, -v23
	v_mul_f32_e32 v17, v17, v20
	v_fmac_f32_e32 v17, v18, v19
	v_sub_f32_e32 v22, v22, v17
	v_mov_b32_e32 v17, s30
	ds_read2_b64 v[17:20], v17 offset1:1
	v_sub_f32_e32 v23, v21, v23
	s_lshl_b32 s30, s23, 7
	s_add_i32 s23, s25, s30
	s_waitcnt lgkmcnt(0)
	v_mul_f32_e32 v21, v20, v22
	v_mul_f32_e32 v22, v19, v22
	v_fma_f32 v21, v19, v23, -v21
	v_fmac_f32_e32 v22, v20, v23
	v_add_u32_e32 v19, s29, v47
	buffer_store_dword v21, off, s[0:3], 0 offset:64
	buffer_store_dword v22, off, s[0:3], 0 offset:68
	ds_write_b64 v19, v[21:22]
	buffer_load_dword v19, off, s[0:3], 0 offset:72
	buffer_load_dword v20, off, s[0:3], 0 offset:76
	buffer_load_dword v23, off, s[0:3], 0
	buffer_load_dword v24, off, s[0:3], 0 offset:4
	buffer_load_dword v25, off, s[0:3], 0 offset:8
	buffer_load_dword v26, off, s[0:3], 0 offset:12
	buffer_load_dword v27, off, s[0:3], 0 offset:16
	buffer_load_dword v28, off, s[0:3], 0 offset:20
	buffer_load_dword v29, off, s[0:3], 0 offset:24
	buffer_load_dword v30, off, s[0:3], 0 offset:28
	buffer_load_dword v31, off, s[0:3], 0 offset:32
	buffer_load_dword v32, off, s[0:3], 0 offset:36
	buffer_load_dword v33, off, s[0:3], 0 offset:40
	buffer_load_dword v34, off, s[0:3], 0 offset:44
	buffer_load_dword v35, off, s[0:3], 0 offset:48
	buffer_load_dword v36, off, s[0:3], 0 offset:52
	buffer_load_dword v37, off, s[0:3], 0 offset:56
	buffer_load_dword v38, off, s[0:3], 0 offset:60
	s_waitcnt vmcnt(14)
	v_mul_f32_e32 v39, v2, v24
	v_fma_f32 v39, v1, v23, -v39
	v_mul_f32_e32 v1, v1, v24
	v_fmac_f32_e32 v1, v2, v23
	v_sub_f32_e32 v2, v19, v39
	s_waitcnt vmcnt(12)
	v_mul_f32_e32 v19, v4, v26
	v_fma_f32 v19, v3, v25, -v19
	v_mul_f32_e32 v3, v3, v26
	v_sub_f32_e32 v1, v20, v1
	v_fmac_f32_e32 v3, v4, v25
	s_waitcnt vmcnt(10)
	v_mul_f32_e32 v4, v5, v28
	v_sub_f32_e32 v1, v1, v3
	v_mul_f32_e32 v3, v6, v28
	v_fmac_f32_e32 v4, v6, v27
	v_sub_f32_e32 v2, v2, v19
	v_fma_f32 v3, v5, v27, -v3
	v_sub_f32_e32 v1, v1, v4
	s_waitcnt vmcnt(8)
	v_mul_f32_e32 v4, v7, v30
	v_sub_f32_e32 v2, v2, v3
	v_mul_f32_e32 v3, v8, v30
	v_fmac_f32_e32 v4, v8, v29
	v_fma_f32 v3, v7, v29, -v3
	v_sub_f32_e32 v1, v1, v4
	s_waitcnt vmcnt(6)
	v_mul_f32_e32 v4, v9, v32
	v_sub_f32_e32 v2, v2, v3
	v_mul_f32_e32 v3, v10, v32
	v_fmac_f32_e32 v4, v10, v31
	;; [unrolled: 7-line block ×5, first 2 shown]
	v_fma_f32 v3, v15, v37, -v3
	v_sub_f32_e32 v1, v1, v4
	v_mul_f32_e32 v4, v17, v22
	v_sub_f32_e32 v2, v2, v3
	v_mul_f32_e32 v3, v18, v22
	v_fmac_f32_e32 v4, v18, v21
	v_fma_f32 v3, v17, v21, -v3
	v_sub_f32_e32 v4, v1, v4
	v_mov_b32_e32 v1, s23
	v_sub_f32_e32 v3, v2, v3
	ds_read_b64 v[1:2], v1
	s_add_i32 s23, s14, -11
	s_lshl_b32 s25, s23, 3
	s_add_i32 s31, s25, s15
	v_mov_b32_e32 v7, s31
	s_waitcnt lgkmcnt(0)
	v_mul_f32_e32 v5, v2, v4
	v_mul_f32_e32 v6, v1, v4
	v_fma_f32 v5, v1, v3, -v5
	v_fmac_f32_e32 v6, v2, v3
	v_add_u32_e32 v1, s30, v47
	buffer_store_dword v5, off, s[0:3], 0 offset:72
	buffer_store_dword v6, off, s[0:3], 0 offset:76
	ds_write_b64 v1, v[5:6]
	buffer_load_dword v1, off, s[0:3], 0 offset:80
	buffer_load_dword v2, off, s[0:3], 0 offset:84
	buffer_load_dword v3, off, s[0:3], 0
	buffer_load_dword v4, off, s[0:3], 0 offset:4
	ds_read2_b64 v[15:18], v7 offset1:1
	s_add_i32 s12, s25, s12
	s_addk_i32 s15, 0xfb00
	s_add_i32 s14, s14, -12
	s_waitcnt vmcnt(0) lgkmcnt(0)
	v_mul_f32_e32 v7, v18, v4
	v_mul_f32_e32 v4, v17, v4
	v_fmac_f32_e32 v4, v18, v3
	v_sub_f32_e32 v2, v2, v4
	buffer_store_dword v2, off, s[0:3], 0 offset:84
	v_fma_f32 v7, v17, v3, -v7
	buffer_load_dword v3, off, s[0:3], 0 offset:8
	buffer_load_dword v4, off, s[0:3], 0 offset:12
	v_sub_f32_e32 v1, v1, v7
	v_mov_b32_e32 v7, s12
	ds_read2_b64 v[11:14], v7 offset1:1
	s_add_i32 s12, s25, s13
	s_waitcnt vmcnt(0) lgkmcnt(0)
	v_mul_f32_e32 v7, v14, v4
	v_fma_f32 v7, v13, v3, -v7
	v_mul_f32_e32 v4, v13, v4
	v_sub_f32_e32 v1, v1, v7
	v_fmac_f32_e32 v4, v14, v3
	buffer_store_dword v1, off, s[0:3], 0 offset:80
	v_mov_b32_e32 v3, s12
	v_sub_f32_e32 v2, v2, v4
	ds_read2_b64 v[7:10], v3 offset1:1
	buffer_load_dword v3, off, s[0:3], 0 offset:16
	buffer_load_dword v4, off, s[0:3], 0 offset:20
	buffer_load_dword v13, off, s[0:3], 0 offset:24
	buffer_load_dword v14, off, s[0:3], 0 offset:28
	buffer_load_dword v23, off, s[0:3], 0 offset:32
	buffer_load_dword v24, off, s[0:3], 0 offset:36
	buffer_load_dword v25, off, s[0:3], 0 offset:40
	buffer_load_dword v26, off, s[0:3], 0 offset:44
	buffer_load_dword v27, off, s[0:3], 0 offset:48
	buffer_load_dword v28, off, s[0:3], 0 offset:52
	buffer_load_dword v29, off, s[0:3], 0 offset:56
	buffer_load_dword v30, off, s[0:3], 0 offset:60
	buffer_load_dword v31, off, s[0:3], 0 offset:64
	buffer_load_dword v32, off, s[0:3], 0 offset:68
	s_add_i32 s12, s25, s20
	s_waitcnt vmcnt(12) lgkmcnt(0)
	v_mul_f32_e32 v17, v10, v4
	v_mul_f32_e32 v4, v9, v4
	v_fma_f32 v17, v9, v3, -v17
	v_fmac_f32_e32 v4, v10, v3
	v_mov_b32_e32 v3, s12
	v_sub_f32_e32 v1, v1, v17
	ds_read2_b64 v[17:20], v3 offset1:1
	s_add_i32 s12, s25, s21
	v_sub_f32_e32 v2, v2, v4
	s_waitcnt vmcnt(10) lgkmcnt(0)
	v_mul_f32_e32 v3, v20, v14
	v_fma_f32 v3, v19, v13, -v3
	v_mul_f32_e32 v4, v19, v14
	v_sub_f32_e32 v1, v1, v3
	v_mov_b32_e32 v3, s12
	v_fmac_f32_e32 v4, v20, v13
	ds_read2_b64 v[19:22], v3 offset1:1
	s_add_i32 s12, s25, s22
	v_sub_f32_e32 v2, v2, v4
	s_waitcnt vmcnt(8) lgkmcnt(0)
	v_mul_f32_e32 v3, v22, v24
	v_fma_f32 v3, v21, v23, -v3
	v_mul_f32_e32 v4, v21, v24
	v_sub_f32_e32 v1, v1, v3
	v_mov_b32_e32 v3, s12
	v_fmac_f32_e32 v4, v22, v23
	;; [unrolled: 10-line block ×5, first 2 shown]
	ds_read2_b64 v[27:30], v3 offset1:1
	v_sub_f32_e32 v2, v2, v4
	s_add_i32 s12, s25, s30
	s_waitcnt vmcnt(0) lgkmcnt(0)
	v_mul_f32_e32 v3, v30, v32
	v_fma_f32 v3, v29, v31, -v3
	v_mul_f32_e32 v4, v29, v32
	v_fmac_f32_e32 v4, v30, v31
	v_sub_f32_e32 v9, v1, v3
	v_mov_b32_e32 v1, s12
	v_sub_f32_e32 v10, v2, v4
	ds_read2_b64 v[1:4], v1 offset1:1
	s_add_i32 s12, s25, s15
	s_waitcnt lgkmcnt(0)
	v_mul_f32_e32 v13, v4, v6
	v_fma_f32 v13, v3, v5, -v13
	v_mul_f32_e32 v3, v3, v6
	v_fmac_f32_e32 v3, v4, v5
	v_sub_f32_e32 v10, v10, v3
	v_mov_b32_e32 v3, s12
	ds_read2_b64 v[3:6], v3 offset1:1
	v_sub_f32_e32 v9, v9, v13
	s_lshl_b32 s12, s23, 7
	s_add_i32 s13, s25, s12
	s_waitcnt lgkmcnt(0)
	v_mul_f32_e32 v13, v6, v10
	v_fma_f32 v13, v5, v9, -v13
	v_mul_f32_e32 v10, v5, v10
	v_fmac_f32_e32 v10, v6, v9
	buffer_store_dword v13, off, s[0:3], 0 offset:80
	buffer_store_dword v10, off, s[0:3], 0 offset:84
	buffer_load_dword v9, off, s[0:3], 0 offset:80
	v_add_u32_e32 v5, s15, v47
	s_waitcnt vmcnt(0)
	ds_write_b64 v5, v[9:10]
	buffer_load_dword v5, off, s[0:3], 0 offset:88
	buffer_load_dword v6, off, s[0:3], 0 offset:92
	buffer_load_dword v13, off, s[0:3], 0
	buffer_load_dword v14, off, s[0:3], 0 offset:4
	buffer_load_dword v29, off, s[0:3], 0 offset:8
	;; [unrolled: 1-line block ×15, first 2 shown]
	s_waitcnt vmcnt(14)
	v_mul_f32_e32 v43, v16, v14
	v_mul_f32_e32 v14, v15, v14
	v_fma_f32 v43, v15, v13, -v43
	v_fmac_f32_e32 v14, v16, v13
	s_waitcnt vmcnt(12)
	v_mul_f32_e32 v13, v12, v30
	v_fma_f32 v13, v11, v29, -v13
	v_mul_f32_e32 v11, v11, v30
	v_sub_f32_e32 v6, v6, v14
	v_fmac_f32_e32 v11, v12, v29
	v_sub_f32_e32 v6, v6, v11
	s_waitcnt vmcnt(10)
	v_mul_f32_e32 v11, v8, v32
	v_fma_f32 v11, v7, v31, -v11
	v_mul_f32_e32 v7, v7, v32
	v_sub_f32_e32 v5, v5, v43
	v_fmac_f32_e32 v7, v8, v31
	v_sub_f32_e32 v5, v5, v13
	v_sub_f32_e32 v6, v6, v7
	s_waitcnt vmcnt(8)
	v_mul_f32_e32 v7, v18, v34
	v_mul_f32_e32 v8, v17, v34
	v_sub_f32_e32 v5, v5, v11
	v_fma_f32 v7, v17, v33, -v7
	v_fmac_f32_e32 v8, v18, v33
	v_sub_f32_e32 v5, v5, v7
	v_sub_f32_e32 v6, v6, v8
	s_waitcnt vmcnt(6)
	v_mul_f32_e32 v7, v20, v36
	v_mul_f32_e32 v8, v19, v36
	v_fma_f32 v7, v19, v35, -v7
	v_fmac_f32_e32 v8, v20, v35
	v_sub_f32_e32 v5, v5, v7
	v_sub_f32_e32 v6, v6, v8
	s_waitcnt vmcnt(4)
	v_mul_f32_e32 v7, v22, v38
	v_mul_f32_e32 v8, v21, v38
	;; [unrolled: 7-line block ×4, first 2 shown]
	v_fma_f32 v7, v25, v41, -v7
	v_fmac_f32_e32 v8, v26, v41
	v_sub_f32_e32 v5, v5, v7
	v_sub_f32_e32 v6, v6, v8
	buffer_load_dword v7, off, s[0:3], 0 offset:64
	buffer_load_dword v8, off, s[0:3], 0 offset:68
	s_waitcnt vmcnt(0)
	v_mul_f32_e32 v11, v28, v8
	v_mul_f32_e32 v8, v27, v8
	v_fmac_f32_e32 v8, v28, v7
	v_fma_f32 v11, v27, v7, -v11
	v_sub_f32_e32 v6, v6, v8
	buffer_load_dword v7, off, s[0:3], 0 offset:72
	buffer_load_dword v8, off, s[0:3], 0 offset:76
	v_sub_f32_e32 v5, v5, v11
	s_waitcnt vmcnt(0)
	v_mul_f32_e32 v11, v2, v8
	v_fma_f32 v11, v1, v7, -v11
	v_mul_f32_e32 v1, v1, v8
	v_fmac_f32_e32 v1, v2, v7
	v_sub_f32_e32 v2, v5, v11
	v_mul_f32_e32 v5, v4, v10
	v_fma_f32 v5, v3, v9, -v5
	v_mul_f32_e32 v3, v3, v10
	v_sub_f32_e32 v1, v6, v1
	v_fmac_f32_e32 v3, v4, v9
	v_sub_f32_e32 v3, v1, v3
	v_mov_b32_e32 v1, s13
	v_sub_f32_e32 v4, v2, v5
	ds_read_b64 v[1:2], v1
	s_waitcnt lgkmcnt(0)
	v_mul_f32_e32 v5, v2, v3
	v_fma_f32 v5, v1, v4, -v5
	v_mul_f32_e32 v1, v1, v3
	v_fmac_f32_e32 v1, v2, v4
	buffer_store_dword v5, off, s[0:3], 0 offset:88
	buffer_store_dword v1, off, s[0:3], 0 offset:92
	buffer_load_dword v1, off, s[0:3], 0 offset:88
	s_nop 0
	buffer_load_dword v2, off, s[0:3], 0 offset:92
	v_add_u32_e32 v3, s12, v47
	s_waitcnt vmcnt(0)
	ds_write_b64 v3, v[1:2]
.LBB148_52:
	s_cmp_lt_i32 s14, 0
	s_cbranch_scc1 .LBB148_68
; %bb.53:
	s_bitcmp1_b32 s14, 0
	s_cselect_b64 s[12:13], -1, 0
	s_and_b64 vcc, exec, s[12:13]
	s_mov_b32 s12, s14
	s_cbranch_vccnz .LBB148_59
; %bb.54:
	s_lshl_b32 s12, s14, 7
	v_add_u32_e32 v3, s12, v47
	ds_read_b64 v[1:2], v3
	s_cmp_le_i32 s9, s14
	s_waitcnt lgkmcnt(0)
	buffer_store_dword v2, off, s[0:3], 0 offset:4
	buffer_store_dword v1, off, s[0:3], 0
	s_cbranch_scc1 .LBB148_58
; %bb.55:
	s_lshl_b32 s13, s26, 7
	s_lshl_b32 s12, s14, 3
	s_add_i32 s12, s13, s12
	v_lshl_or_b32 v4, v0, 3, s13
	s_addk_i32 s12, 0xff80
	v_add_u32_e32 v4, 0x780, v4
	s_mov_b32 s13, s9
.LBB148_56:                             ; =>This Inner Loop Header: Depth=1
	v_mov_b32_e32 v7, s12
	ds_read_b64 v[5:6], v4
	ds_read_b64 v[7:8], v7
	s_add_i32 s13, s13, -1
	s_addk_i32 s12, 0xff80
	v_add_u32_e32 v4, 0xffffff80, v4
	s_cmp_gt_i32 s13, s14
	s_waitcnt lgkmcnt(0)
	v_mul_f32_e32 v9, v8, v6
	v_mul_f32_e32 v8, v8, v5
	v_fma_f32 v5, v7, v5, -v9
	v_fmac_f32_e32 v8, v7, v6
	v_sub_f32_e32 v1, v1, v5
	v_sub_f32_e32 v2, v2, v8
	s_cbranch_scc1 .LBB148_56
; %bb.57:
	buffer_store_dword v1, off, s[0:3], 0
	buffer_store_dword v2, off, s[0:3], 0 offset:4
.LBB148_58:
	s_mul_i32 s12, s14, 0x88
	v_mov_b32_e32 v4, s12
	ds_read_b64 v[4:5], v4
	s_add_i32 s12, s14, -1
	s_waitcnt lgkmcnt(0)
	v_mul_f32_e32 v6, v5, v2
	v_mul_f32_e32 v7, v4, v2
	v_fma_f32 v6, v4, v1, -v6
	v_fmac_f32_e32 v7, v5, v1
	buffer_store_dword v6, off, s[0:3], 0
	buffer_store_dword v7, off, s[0:3], 0 offset:4
	ds_write_b64 v3, v[6:7]
.LBB148_59:
	s_cmp_eq_u32 s14, 0
	s_cbranch_scc1 .LBB148_68
; %bb.60:
	s_lshl_b32 s14, s26, 7
	s_lshl_b32 s13, s12, 3
	s_add_i32 s15, s14, s13
	v_lshl_or_b32 v1, v0, 3, s14
	s_add_i32 s13, s15, 0xffffff80
	v_add_u32_e32 v5, 0x780, v1
	s_add_i32 s14, s15, 0xffffff78
	s_branch .LBB148_62
.LBB148_61:                             ;   in Loop: Header=BB148_62 Depth=1
	s_addk_i32 s15, 0xff78
	v_mov_b32_e32 v1, s15
	ds_read_b64 v[1:2], v1
	s_add_i32 s15, s12, -2
	s_add_i32 s13, s13, -16
	;; [unrolled: 1-line block ×3, first 2 shown]
	s_cmp_lt_i32 s12, 2
	s_waitcnt lgkmcnt(0)
	v_mul_f32_e32 v6, v2, v4
	v_mul_f32_e32 v9, v1, v4
	v_fma_f32 v8, v1, v3, -v6
	v_fmac_f32_e32 v9, v2, v3
	s_mov_b32 s12, s15
	buffer_store_dword v8, off, s[0:3], 0
	buffer_store_dword v9, off, s[0:3], 0 offset:4
	ds_write_b64 v7, v[8:9]
	s_cbranch_scc1 .LBB148_68
.LBB148_62:                             ; =>This Loop Header: Depth=1
                                        ;     Child Loop BB148_63 Depth 2
                                        ;     Child Loop BB148_66 Depth 2
	s_lshl_b32 s20, s12, 7
	v_add_u32_e32 v6, s20, v47
	ds_read_b64 v[1:2], v6
	v_mov_b32_e32 v3, v5
	s_mov_b32 s15, s13
	s_cmp_le_i32 s9, s12
	s_mov_b32 s21, s9
	s_waitcnt lgkmcnt(0)
	buffer_store_dword v2, off, s[0:3], 0 offset:4
	buffer_store_dword v1, off, s[0:3], 0
	s_cbranch_scc1 .LBB148_65
.LBB148_63:                             ;   Parent Loop BB148_62 Depth=1
                                        ; =>  This Inner Loop Header: Depth=2
	v_mov_b32_e32 v4, s15
	ds_read_b64 v[7:8], v3
	ds_read_b64 v[9:10], v4
	s_add_i32 s21, s21, -1
	s_addk_i32 s15, 0xff80
	v_add_u32_e32 v3, 0xffffff80, v3
	s_cmp_gt_i32 s21, s12
	s_waitcnt lgkmcnt(0)
	v_mul_f32_e32 v4, v10, v8
	v_mul_f32_e32 v10, v10, v7
	v_fma_f32 v4, v9, v7, -v4
	v_fmac_f32_e32 v10, v9, v8
	v_sub_f32_e32 v1, v1, v4
	v_sub_f32_e32 v2, v2, v10
	s_cbranch_scc1 .LBB148_63
; %bb.64:                               ;   in Loop: Header=BB148_62 Depth=1
	buffer_store_dword v1, off, s[0:3], 0
	buffer_store_dword v2, off, s[0:3], 0 offset:4
.LBB148_65:                             ;   in Loop: Header=BB148_62 Depth=1
	s_mul_i32 s15, s12, 0x88
	v_mov_b32_e32 v3, s15
	ds_read_b64 v[8:9], v3
	s_addk_i32 s20, 0xff80
	v_add_u32_e32 v7, s20, v47
	ds_read_b64 v[3:4], v7
	s_cmp_le_i32 s26, s12
	s_waitcnt lgkmcnt(1)
	v_mul_f32_e32 v10, v9, v2
	v_mul_f32_e32 v11, v8, v2
	v_fma_f32 v10, v8, v1, -v10
	v_fmac_f32_e32 v11, v9, v1
	s_mov_b32 s20, s14
	v_mov_b32_e32 v1, v5
	s_mov_b32 s21, s26
	ds_write_b64 v6, v[10:11]
	s_waitcnt lgkmcnt(1)
	buffer_store_dword v3, off, s[0:3], 0
	buffer_store_dword v4, off, s[0:3], 0 offset:4
	s_cbranch_scc1 .LBB148_61
.LBB148_66:                             ;   Parent Loop BB148_62 Depth=1
                                        ; =>  This Inner Loop Header: Depth=2
	v_mov_b32_e32 v2, s20
	ds_read_b64 v[8:9], v1
	ds_read_b64 v[10:11], v2
	s_add_i32 s21, s21, -1
	s_addk_i32 s20, 0xff80
	v_add_u32_e32 v1, 0xffffff80, v1
	s_cmp_gt_i32 s21, s12
	s_waitcnt lgkmcnt(0)
	v_mul_f32_e32 v2, v11, v9
	v_mul_f32_e32 v6, v11, v8
	v_fma_f32 v2, v10, v8, -v2
	v_fmac_f32_e32 v6, v10, v9
	v_sub_f32_e32 v3, v3, v2
	v_sub_f32_e32 v4, v4, v6
	s_cbranch_scc1 .LBB148_66
; %bb.67:                               ;   in Loop: Header=BB148_62 Depth=1
	buffer_store_dword v3, off, s[0:3], 0
	buffer_store_dword v4, off, s[0:3], 0 offset:4
	s_branch .LBB148_61
.LBB148_68:
	s_waitcnt lgkmcnt(0)
	; wave barrier
	s_and_saveexec_b64 s[12:13], s[4:5]
	s_cbranch_execz .LBB148_72
; %bb.69:
	s_andn2_b64 vcc, exec, s[6:7]
	s_cbranch_vccnz .LBB148_72
; %bb.70:
	s_lshl_b64 s[4:5], s[18:19], 3
	s_add_u32 s6, s10, s4
	s_addc_u32 s7, s11, s5
	s_lshl_b64 s[4:5], s[16:17], 3
	s_add_u32 s9, s6, s4
	s_addc_u32 s10, s7, s5
	v_mad_i64_i32 v[1:2], s[6:7], s24, v0, 0
	s_mul_hi_i32 s5, s24, s8
	s_mul_i32 s4, s24, s8
	s_lshl_b64 s[4:5], s[4:5], 3
	s_add_u32 s4, s9, s4
	v_lshlrev_b64 v[1:2], 3, v[1:2]
	s_addc_u32 s5, s10, s5
	v_mov_b32_e32 v3, s5
	v_add_co_u32_e32 v1, vcc, s4, v1
	v_addc_co_u32_e32 v2, vcc, v3, v2, vcc
	v_mov_b32_e32 v3, 0x800
	v_lshl_or_b32 v0, v0, 3, v3
.LBB148_71:                             ; =>This Inner Loop Header: Depth=1
	ds_read_b64 v[3:4], v0
	s_add_i32 s26, s26, -1
	v_add_u32_e32 v0, 0x80, v0
	s_cmp_lg_u32 s26, 0
	s_waitcnt lgkmcnt(0)
	global_store_dwordx2 v[1:2], v[3:4], off
	v_add_co_u32_e32 v1, vcc, 8, v1
	v_addc_co_u32_e32 v2, vcc, 0, v2, vcc
	s_cbranch_scc1 .LBB148_71
.LBB148_72:
	s_endpgm
	.section	.rodata,"a",@progbits
	.p2align	6, 0x0
	.amdhsa_kernel _ZL38rocblas_trsm_small_left_device_sharedBILi16ELi16ELb0E19rocblas_complex_numIfES1_PKS1_PS1_Ev13rocblas_fill_18rocblas_operation_17rocblas_diagonal_iiT3_T4_lilT5_lili
		.amdhsa_group_segment_fixed_size 4096
		.amdhsa_private_segment_fixed_size 144
		.amdhsa_kernarg_size 360
		.amdhsa_user_sgpr_count 6
		.amdhsa_user_sgpr_private_segment_buffer 1
		.amdhsa_user_sgpr_dispatch_ptr 0
		.amdhsa_user_sgpr_queue_ptr 0
		.amdhsa_user_sgpr_kernarg_segment_ptr 1
		.amdhsa_user_sgpr_dispatch_id 0
		.amdhsa_user_sgpr_flat_scratch_init 0
		.amdhsa_user_sgpr_private_segment_size 0
		.amdhsa_uses_dynamic_stack 0
		.amdhsa_system_sgpr_private_segment_wavefront_offset 1
		.amdhsa_system_sgpr_workgroup_id_x 1
		.amdhsa_system_sgpr_workgroup_id_y 0
		.amdhsa_system_sgpr_workgroup_id_z 1
		.amdhsa_system_sgpr_workgroup_info 0
		.amdhsa_system_vgpr_workitem_id 0
		.amdhsa_next_free_vgpr 58
		.amdhsa_next_free_sgpr 98
		.amdhsa_reserve_vcc 1
		.amdhsa_reserve_flat_scratch 0
		.amdhsa_float_round_mode_32 0
		.amdhsa_float_round_mode_16_64 0
		.amdhsa_float_denorm_mode_32 3
		.amdhsa_float_denorm_mode_16_64 3
		.amdhsa_dx10_clamp 1
		.amdhsa_ieee_mode 1
		.amdhsa_fp16_overflow 0
		.amdhsa_exception_fp_ieee_invalid_op 0
		.amdhsa_exception_fp_denorm_src 0
		.amdhsa_exception_fp_ieee_div_zero 0
		.amdhsa_exception_fp_ieee_overflow 0
		.amdhsa_exception_fp_ieee_underflow 0
		.amdhsa_exception_fp_ieee_inexact 0
		.amdhsa_exception_int_div_zero 0
	.end_amdhsa_kernel
	.section	.text._ZL38rocblas_trsm_small_left_device_sharedBILi16ELi16ELb0E19rocblas_complex_numIfES1_PKS1_PS1_Ev13rocblas_fill_18rocblas_operation_17rocblas_diagonal_iiT3_T4_lilT5_lili,"axG",@progbits,_ZL38rocblas_trsm_small_left_device_sharedBILi16ELi16ELb0E19rocblas_complex_numIfES1_PKS1_PS1_Ev13rocblas_fill_18rocblas_operation_17rocblas_diagonal_iiT3_T4_lilT5_lili,comdat
.Lfunc_end148:
	.size	_ZL38rocblas_trsm_small_left_device_sharedBILi16ELi16ELb0E19rocblas_complex_numIfES1_PKS1_PS1_Ev13rocblas_fill_18rocblas_operation_17rocblas_diagonal_iiT3_T4_lilT5_lili, .Lfunc_end148-_ZL38rocblas_trsm_small_left_device_sharedBILi16ELi16ELb0E19rocblas_complex_numIfES1_PKS1_PS1_Ev13rocblas_fill_18rocblas_operation_17rocblas_diagonal_iiT3_T4_lilT5_lili
                                        ; -- End function
	.set _ZL38rocblas_trsm_small_left_device_sharedBILi16ELi16ELb0E19rocblas_complex_numIfES1_PKS1_PS1_Ev13rocblas_fill_18rocblas_operation_17rocblas_diagonal_iiT3_T4_lilT5_lili.num_vgpr, 58
	.set _ZL38rocblas_trsm_small_left_device_sharedBILi16ELi16ELb0E19rocblas_complex_numIfES1_PKS1_PS1_Ev13rocblas_fill_18rocblas_operation_17rocblas_diagonal_iiT3_T4_lilT5_lili.num_agpr, 0
	.set _ZL38rocblas_trsm_small_left_device_sharedBILi16ELi16ELb0E19rocblas_complex_numIfES1_PKS1_PS1_Ev13rocblas_fill_18rocblas_operation_17rocblas_diagonal_iiT3_T4_lilT5_lili.numbered_sgpr, 37
	.set _ZL38rocblas_trsm_small_left_device_sharedBILi16ELi16ELb0E19rocblas_complex_numIfES1_PKS1_PS1_Ev13rocblas_fill_18rocblas_operation_17rocblas_diagonal_iiT3_T4_lilT5_lili.num_named_barrier, 0
	.set _ZL38rocblas_trsm_small_left_device_sharedBILi16ELi16ELb0E19rocblas_complex_numIfES1_PKS1_PS1_Ev13rocblas_fill_18rocblas_operation_17rocblas_diagonal_iiT3_T4_lilT5_lili.private_seg_size, 144
	.set _ZL38rocblas_trsm_small_left_device_sharedBILi16ELi16ELb0E19rocblas_complex_numIfES1_PKS1_PS1_Ev13rocblas_fill_18rocblas_operation_17rocblas_diagonal_iiT3_T4_lilT5_lili.uses_vcc, 1
	.set _ZL38rocblas_trsm_small_left_device_sharedBILi16ELi16ELb0E19rocblas_complex_numIfES1_PKS1_PS1_Ev13rocblas_fill_18rocblas_operation_17rocblas_diagonal_iiT3_T4_lilT5_lili.uses_flat_scratch, 0
	.set _ZL38rocblas_trsm_small_left_device_sharedBILi16ELi16ELb0E19rocblas_complex_numIfES1_PKS1_PS1_Ev13rocblas_fill_18rocblas_operation_17rocblas_diagonal_iiT3_T4_lilT5_lili.has_dyn_sized_stack, 0
	.set _ZL38rocblas_trsm_small_left_device_sharedBILi16ELi16ELb0E19rocblas_complex_numIfES1_PKS1_PS1_Ev13rocblas_fill_18rocblas_operation_17rocblas_diagonal_iiT3_T4_lilT5_lili.has_recursion, 0
	.set _ZL38rocblas_trsm_small_left_device_sharedBILi16ELi16ELb0E19rocblas_complex_numIfES1_PKS1_PS1_Ev13rocblas_fill_18rocblas_operation_17rocblas_diagonal_iiT3_T4_lilT5_lili.has_indirect_call, 0
	.section	.AMDGPU.csdata,"",@progbits
; Kernel info:
; codeLenInByte = 15284
; TotalNumSgprs: 41
; NumVgprs: 58
; ScratchSize: 144
; MemoryBound: 0
; FloatMode: 240
; IeeeMode: 1
; LDSByteSize: 4096 bytes/workgroup (compile time only)
; SGPRBlocks: 12
; VGPRBlocks: 14
; NumSGPRsForWavesPerEU: 102
; NumVGPRsForWavesPerEU: 58
; Occupancy: 4
; WaveLimiterHint : 1
; COMPUTE_PGM_RSRC2:SCRATCH_EN: 1
; COMPUTE_PGM_RSRC2:USER_SGPR: 6
; COMPUTE_PGM_RSRC2:TRAP_HANDLER: 0
; COMPUTE_PGM_RSRC2:TGID_X_EN: 1
; COMPUTE_PGM_RSRC2:TGID_Y_EN: 0
; COMPUTE_PGM_RSRC2:TGID_Z_EN: 1
; COMPUTE_PGM_RSRC2:TIDIG_COMP_CNT: 0
	.section	.text._ZL30rocblas_trsm_small_left_deviceILi16ELi16ELb0E19rocblas_complex_numIfES1_PKS1_PS1_Ev13rocblas_fill_18rocblas_operation_17rocblas_diagonal_iiT3_T4_lilT5_lili,"axG",@progbits,_ZL30rocblas_trsm_small_left_deviceILi16ELi16ELb0E19rocblas_complex_numIfES1_PKS1_PS1_Ev13rocblas_fill_18rocblas_operation_17rocblas_diagonal_iiT3_T4_lilT5_lili,comdat
	.globl	_ZL30rocblas_trsm_small_left_deviceILi16ELi16ELb0E19rocblas_complex_numIfES1_PKS1_PS1_Ev13rocblas_fill_18rocblas_operation_17rocblas_diagonal_iiT3_T4_lilT5_lili ; -- Begin function _ZL30rocblas_trsm_small_left_deviceILi16ELi16ELb0E19rocblas_complex_numIfES1_PKS1_PS1_Ev13rocblas_fill_18rocblas_operation_17rocblas_diagonal_iiT3_T4_lilT5_lili
	.p2align	8
	.type	_ZL30rocblas_trsm_small_left_deviceILi16ELi16ELb0E19rocblas_complex_numIfES1_PKS1_PS1_Ev13rocblas_fill_18rocblas_operation_17rocblas_diagonal_iiT3_T4_lilT5_lili,@function
_ZL30rocblas_trsm_small_left_deviceILi16ELi16ELb0E19rocblas_complex_numIfES1_PKS1_PS1_Ev13rocblas_fill_18rocblas_operation_17rocblas_diagonal_iiT3_T4_lilT5_lili: ; @_ZL30rocblas_trsm_small_left_deviceILi16ELi16ELb0E19rocblas_complex_numIfES1_PKS1_PS1_Ev13rocblas_fill_18rocblas_operation_17rocblas_diagonal_iiT3_T4_lilT5_lili
; %bb.0:
	s_add_u32 s0, s0, s8
	s_load_dwordx4 s[12:15], s[4:5], 0x4
	s_load_dwordx2 s[16:17], s[4:5], 0x14
	s_load_dwordx4 s[8:11], s[4:5], 0x38
	s_load_dwordx2 s[18:19], s[4:5], 0x48
	s_load_dword s27, s[4:5], 0x68
	s_addc_u32 s1, s1, 0
	s_waitcnt lgkmcnt(0)
	s_min_i32 s26, s14, 16
	v_cmp_gt_i32_e32 vcc, s26, v0
	s_and_saveexec_b64 s[20:21], vcc
	s_cbranch_execz .LBB149_15
; %bb.1:
	s_load_dword s24, s[4:5], 0x30
	s_load_dwordx4 s[28:31], s[4:5], 0x20
	s_mul_i32 s9, s9, s7
	s_mul_hi_u32 s14, s8, s7
	s_mul_i32 s8, s8, s7
	s_waitcnt lgkmcnt(0)
	s_ashr_i32 s25, s24, 31
	s_cmpk_lg_i32 s12, 0x71
	s_cselect_b64 s[22:23], -1, 0
	s_add_i32 s9, s14, s9
	s_lshl_b64 s[8:9], s[8:9], 3
	s_lshl_b64 s[30:31], s[30:31], 3
	s_add_u32 s8, s8, s30
	s_addc_u32 s9, s9, s31
	s_add_u32 s8, s28, s8
	v_lshlrev_b32_e32 v5, 3, v0
	s_addc_u32 s9, s29, s9
	v_mov_b32_e32 v1, s9
	v_add_co_u32_e32 v2, vcc, s8, v5
	v_addc_co_u32_e32 v3, vcc, 0, v1, vcc
	v_add_co_u32_e32 v1, vcc, 4, v2
	s_lshl_b64 s[8:9], s[24:25], 3
	v_addc_co_u32_e32 v2, vcc, 0, v3, vcc
	v_mov_b32_e32 v6, s9
	v_mov_b32_e32 v7, v5
	s_mov_b32 s9, s26
	s_branch .LBB149_3
.LBB149_2:                              ;   in Loop: Header=BB149_3 Depth=1
	global_load_dword v3, v[1:2], off offset:-4
	s_add_i32 s9, s9, -1
	v_add_co_u32_e32 v1, vcc, s8, v1
	v_addc_co_u32_e32 v2, vcc, v2, v6, vcc
	s_cmp_eq_u32 s9, 0
	s_waitcnt vmcnt(0)
	ds_write_b64 v7, v[3:4]
	v_add_u32_e32 v7, 0x80, v7
	s_cbranch_scc1 .LBB149_7
.LBB149_3:                              ; =>This Inner Loop Header: Depth=1
	s_mov_b64 s[24:25], -1
	s_and_b64 vcc, exec, s[22:23]
                                        ; implicit-def: $vgpr4
	s_cbranch_vccz .LBB149_5
; %bb.4:                                ;   in Loop: Header=BB149_3 Depth=1
	global_load_dword v4, v[1:2], off
	s_mov_b64 s[24:25], 0
.LBB149_5:                              ;   in Loop: Header=BB149_3 Depth=1
	s_andn2_b64 vcc, exec, s[24:25]
	s_cbranch_vccnz .LBB149_2
; %bb.6:                                ;   in Loop: Header=BB149_3 Depth=1
	global_load_dword v3, v[1:2], off
	s_waitcnt vmcnt(0)
	v_xor_b32_e32 v4, 0x80000000, v3
	s_branch .LBB149_2
.LBB149_7:
	s_cmpk_lg_i32 s13, 0x84
	v_lshlrev_b32_e32 v6, 7, v0
	s_mov_b64 s[8:9], -1
	s_cbranch_scc0 .LBB149_13
; %bb.8:
	v_add_u32_e32 v7, v5, v6
	ds_read_b64 v[1:2], v7
                                        ; implicit-def: $vgpr3
	s_waitcnt lgkmcnt(0)
	v_cmp_ngt_f32_e64 s[8:9], |v1|, |v2|
	s_and_saveexec_b64 s[22:23], s[8:9]
	s_xor_b64 s[8:9], exec, s[22:23]
	s_cbranch_execz .LBB149_10
; %bb.9:
	v_div_scale_f32 v3, s[22:23], v2, v2, v1
	v_div_scale_f32 v4, vcc, v1, v2, v1
	v_rcp_f32_e32 v8, v3
	v_fma_f32 v9, -v3, v8, 1.0
	v_fmac_f32_e32 v8, v9, v8
	v_mul_f32_e32 v9, v4, v8
	v_fma_f32 v10, -v3, v9, v4
	v_fmac_f32_e32 v9, v10, v8
	v_fma_f32 v3, -v3, v9, v4
	v_div_fmas_f32 v3, v3, v8, v9
	v_div_fixup_f32 v3, v3, v2, v1
	v_fmac_f32_e32 v2, v1, v3
	v_div_scale_f32 v1, s[22:23], v2, v2, 1.0
	v_div_scale_f32 v4, vcc, 1.0, v2, 1.0
	v_rcp_f32_e32 v8, v1
	v_fma_f32 v9, -v1, v8, 1.0
	v_fmac_f32_e32 v8, v9, v8
	v_mul_f32_e32 v9, v4, v8
	v_fma_f32 v10, -v1, v9, v4
	v_fmac_f32_e32 v9, v10, v8
	v_fma_f32 v1, -v1, v9, v4
	v_div_fmas_f32 v1, v1, v8, v9
	v_add_f32_e32 v4, 0, v3
	v_fma_f32 v8, v3, 0, -1.0
	v_div_fixup_f32 v1, v1, v2, 1.0
	v_mul_f32_e32 v3, v4, v1
	v_mul_f32_e32 v4, v8, v1
                                        ; implicit-def: $vgpr1_vgpr2
.LBB149_10:
	s_andn2_saveexec_b64 s[8:9], s[8:9]
	s_cbranch_execz .LBB149_12
; %bb.11:
	v_div_scale_f32 v3, s[22:23], v1, v1, v2
	v_div_scale_f32 v4, vcc, v2, v1, v2
	v_rcp_f32_e32 v8, v3
	v_fma_f32 v9, -v3, v8, 1.0
	v_fmac_f32_e32 v8, v9, v8
	v_mul_f32_e32 v9, v4, v8
	v_fma_f32 v10, -v3, v9, v4
	v_fmac_f32_e32 v9, v10, v8
	v_fma_f32 v3, -v3, v9, v4
	v_div_fmas_f32 v3, v3, v8, v9
	v_div_fixup_f32 v4, v3, v1, v2
	v_fmac_f32_e32 v1, v2, v4
	v_div_scale_f32 v2, s[22:23], v1, v1, 1.0
	v_div_scale_f32 v3, vcc, 1.0, v1, 1.0
	v_rcp_f32_e32 v8, v2
	v_fma_f32 v9, -v2, v8, 1.0
	v_fmac_f32_e32 v8, v9, v8
	v_mul_f32_e32 v9, v3, v8
	v_fma_f32 v10, -v2, v9, v3
	v_fmac_f32_e32 v9, v10, v8
	v_fma_f32 v2, -v2, v9, v3
	v_div_fmas_f32 v2, v2, v8, v9
	v_fma_f32 v3, v4, 0, 1.0
	v_div_fixup_f32 v1, v2, v1, 1.0
	v_mul_f32_e32 v3, v3, v1
	v_mul_f32_e64 v4, -v4, v1
.LBB149_12:
	s_or_b64 exec, exec, s[8:9]
	s_mov_b64 s[8:9], 0
	ds_write_b64 v7, v[3:4]
.LBB149_13:
	s_and_b64 vcc, exec, s[8:9]
	s_cbranch_vccz .LBB149_15
; %bb.14:
	v_add_u32_e32 v3, v5, v6
	v_mov_b32_e32 v1, 1.0
	v_mov_b32_e32 v2, 0
	ds_write_b64 v3, v[1:2]
.LBB149_15:
	s_or_b64 exec, exec, s[20:21]
	s_lshl_b32 s8, s6, 4
	s_add_i32 s27, s27, -1
	s_sub_i32 s9, s15, s8
	s_cmp_ge_u32 s6, s27
	s_cselect_b32 s6, s9, 16
	v_cmp_gt_i32_e32 vcc, s6, v0
	s_waitcnt lgkmcnt(0)
	; wave barrier
	s_and_saveexec_b64 s[14:15], vcc
	s_cbranch_execz .LBB149_58
; %bb.16:
	s_load_dwordx2 s[14:15], s[4:5], 0x58
	s_load_dword s6, s[4:5], 0x50
	v_add_u32_e32 v0, s8, v0
	s_waitcnt lgkmcnt(0)
	s_mul_i32 s5, s15, s7
	s_mul_hi_u32 s8, s14, s7
	s_mul_i32 s4, s14, s7
	s_add_i32 s5, s8, s5
	v_mad_i64_i32 v[0:1], s[6:7], s6, v0, 0
	s_lshl_b64 s[4:5], s[4:5], 3
	s_add_u32 s8, s10, s4
	s_addc_u32 s9, s11, s5
	s_lshl_b64 s[6:7], s[18:19], 3
	s_add_u32 s8, s8, s6
	v_lshlrev_b64 v[0:1], 3, v[0:1]
	s_addc_u32 s9, s9, s7
	v_mov_b32_e32 v2, s9
	v_add_co_u32_e32 v6, vcc, s8, v0
	v_addc_co_u32_e32 v7, vcc, v2, v1, vcc
	s_cmpk_eq_i32 s12, 0x6f
	s_mov_b64 s[8:9], -1
	s_cbranch_scc1 .LBB149_38
; %bb.17:
	s_add_u32 s8, s10, s6
	s_addc_u32 s9, s11, s7
	s_add_u32 s8, s8, s4
	s_addc_u32 s9, s9, s5
	v_mov_b32_e32 v2, s9
	v_add_co_u32_e32 v3, vcc, s8, v0
	v_addc_co_u32_e32 v2, vcc, v2, v1, vcc
	v_add_co_u32_e32 v8, vcc, 4, v3
	s_mov_b32 s9, 0
	v_addc_co_u32_e32 v9, vcc, 0, v2, vcc
	s_mov_b32 s12, s9
	s_mov_b32 s14, s9
	s_branch .LBB149_19
.LBB149_18:                             ;   in Loop: Header=BB149_19 Depth=1
	s_cmp_ge_i32 s14, s26
	s_cselect_b64 s[18:19], -1, 0
	s_add_i32 s12, s12, 1
	s_cmp_eq_u32 s12, 3
	s_cselect_b64 s[20:21], -1, 0
	s_or_b64 s[18:19], s[18:19], s[20:21]
	s_andn2_b64 vcc, exec, s[18:19]
	s_cbranch_vccz .LBB149_37
.LBB149_19:                             ; =>This Loop Header: Depth=1
                                        ;     Child Loop BB149_22 Depth 2
                                        ;       Child Loop BB149_23 Depth 3
                                        ;       Child Loop BB149_26 Depth 3
                                        ;         Child Loop BB149_27 Depth 4
                                        ;       Child Loop BB149_31 Depth 3
                                        ;         Child Loop BB149_33 Depth 4
	s_mov_b32 s13, s9
	s_lshl_b64 s[18:19], s[12:13], 2
	s_getpc_b64 s[20:21]
	s_add_u32 s20, s20, __const._ZL30rocblas_trsm_small_left_deviceILi16ELi16ELb0E19rocblas_complex_numIfES1_PKS1_PS1_Ev13rocblas_fill_18rocblas_operation_17rocblas_diagonal_iiT3_T4_lilT5_lili.step_sizes@rel32@lo+4
	s_addc_u32 s21, s21, __const._ZL30rocblas_trsm_small_left_deviceILi16ELi16ELb0E19rocblas_complex_numIfES1_PKS1_PS1_Ev13rocblas_fill_18rocblas_operation_17rocblas_diagonal_iiT3_T4_lilT5_lili.step_sizes@rel32@hi+12
	s_add_u32 s18, s20, s18
	s_addc_u32 s19, s21, s19
	s_load_dword s18, s[18:19], 0x0
	s_waitcnt lgkmcnt(0)
	s_add_i32 s13, s18, -1
	s_add_i32 s8, s13, s14
	s_cmp_ge_i32 s8, s26
	s_cbranch_scc1 .LBB149_18
; %bb.20:                               ;   in Loop: Header=BB149_19 Depth=1
	s_ashr_i32 s15, s14, 31
	s_lshl_b64 s[20:21], s[14:15], 3
	v_mov_b32_e32 v3, s21
	v_add_co_u32_e32 v2, vcc, s20, v8
	s_ashr_i32 s19, s18, 31
	s_max_i32 s27, s18, 1
	v_addc_co_u32_e32 v3, vcc, v9, v3, vcc
	s_lshl_b64 s[20:21], s[18:19], 3
	s_lshl_b32 s15, s14, 7
	s_lshl_b32 s19, s18, 7
	s_mul_i32 s28, s14, 0x88
	s_mul_i32 s29, s18, 0x88
	s_branch .LBB149_22
.LBB149_21:                             ;   in Loop: Header=BB149_22 Depth=2
	s_add_i32 s14, s14, s18
	s_add_i32 s8, s13, s14
	v_mov_b32_e32 v4, s21
	s_add_i32 s15, s15, s19
	s_add_i32 s28, s28, s29
	v_add_co_u32_e32 v2, vcc, s20, v2
	s_cmp_ge_i32 s8, s26
	v_addc_co_u32_e32 v3, vcc, v3, v4, vcc
	s_cbranch_scc1 .LBB149_18
.LBB149_22:                             ;   Parent Loop BB149_19 Depth=1
                                        ; =>  This Loop Header: Depth=2
                                        ;       Child Loop BB149_23 Depth 3
                                        ;       Child Loop BB149_26 Depth 3
                                        ;         Child Loop BB149_27 Depth 4
                                        ;       Child Loop BB149_31 Depth 3
                                        ;         Child Loop BB149_33 Depth 4
	v_mov_b32_e32 v5, v3
	s_mov_b32 s8, 0
	v_mov_b32_e32 v4, v2
	s_mov_b32 s22, s27
.LBB149_23:                             ;   Parent Loop BB149_19 Depth=1
                                        ;     Parent Loop BB149_22 Depth=2
                                        ; =>    This Inner Loop Header: Depth=3
	global_load_dwordx2 v[10:11], v[4:5], off offset:-4
	v_mov_b32_e32 v12, s8
	s_add_i32 s22, s22, -1
	v_add_co_u32_e32 v4, vcc, 8, v4
	s_add_i32 s8, s8, 8
	v_addc_co_u32_e32 v5, vcc, 0, v5, vcc
	s_cmp_eq_u32 s22, 0
	s_waitcnt vmcnt(0)
	v_mul_f32_e32 v13, s17, v11
	v_mul_f32_e32 v11, s16, v11
	v_fma_f32 v13, v10, s16, -v13
	v_fmac_f32_e32 v11, s17, v10
	buffer_store_dword v13, v12, s[0:3], 0 offen
	buffer_store_dword v11, v12, s[0:3], 0 offen offset:4
	s_cbranch_scc0 .LBB149_23
; %bb.24:                               ;   in Loop: Header=BB149_22 Depth=2
	s_cmp_lt_i32 s14, 1
	s_cbranch_scc1 .LBB149_29
; %bb.25:                               ;   in Loop: Header=BB149_22 Depth=2
	s_mov_b32 s8, 0
	s_mov_b32 s22, s15
.LBB149_26:                             ;   Parent Loop BB149_19 Depth=1
                                        ;     Parent Loop BB149_22 Depth=2
                                        ; =>    This Loop Header: Depth=3
                                        ;         Child Loop BB149_27 Depth 4
	s_lshl_b64 s[24:25], s[8:9], 3
	v_mov_b32_e32 v5, s25
	v_add_co_u32_e32 v4, vcc, s24, v6
	v_addc_co_u32_e32 v5, vcc, v7, v5, vcc
	global_load_dwordx2 v[4:5], v[4:5], off
	s_mov_b32 s23, 0
	s_mov_b32 s24, s22
	;; [unrolled: 1-line block ×3, first 2 shown]
.LBB149_27:                             ;   Parent Loop BB149_19 Depth=1
                                        ;     Parent Loop BB149_22 Depth=2
                                        ;       Parent Loop BB149_26 Depth=3
                                        ; =>      This Inner Loop Header: Depth=4
	v_mov_b32_e32 v12, s23
	buffer_load_dword v13, v12, s[0:3], 0 offen
	buffer_load_dword v14, v12, s[0:3], 0 offen offset:4
	v_mov_b32_e32 v10, s24
	ds_read_b64 v[10:11], v10
	s_add_i32 s25, s25, -1
	s_addk_i32 s24, 0x80
	s_add_i32 s23, s23, 8
	s_cmp_eq_u32 s25, 0
	s_waitcnt vmcnt(2) lgkmcnt(0)
	v_mul_f32_e32 v15, v11, v5
	v_mul_f32_e32 v11, v11, v4
	v_fma_f32 v15, v10, v4, -v15
	v_fmac_f32_e32 v11, v10, v5
	s_waitcnt vmcnt(1)
	v_sub_f32_e32 v10, v13, v15
	s_waitcnt vmcnt(0)
	v_sub_f32_e32 v11, v14, v11
	buffer_store_dword v10, v12, s[0:3], 0 offen
	buffer_store_dword v11, v12, s[0:3], 0 offen offset:4
	s_cbranch_scc0 .LBB149_27
; %bb.28:                               ;   in Loop: Header=BB149_26 Depth=3
	s_add_i32 s8, s8, 1
	s_add_i32 s22, s22, 8
	s_cmp_eq_u32 s8, s14
	s_cbranch_scc0 .LBB149_26
.LBB149_29:                             ;   in Loop: Header=BB149_22 Depth=2
	s_mov_b32 s8, 0
	s_mov_b32 s30, s28
	s_branch .LBB149_31
.LBB149_30:                             ;   in Loop: Header=BB149_31 Depth=3
	s_mul_i32 s23, s22, 0x88
	v_mov_b32_e32 v10, s23
	ds_read_b64 v[10:11], v10
	s_lshl_b32 s23, s8, 3
	v_mov_b32_e32 v14, s23
	s_ashr_i32 s23, s22, 31
	s_lshl_b64 s[22:23], s[22:23], 3
	s_waitcnt vmcnt(0) lgkmcnt(0)
	v_mul_f32_e32 v12, v11, v5
	v_mul_f32_e32 v13, v10, v5
	v_fma_f32 v12, v10, v4, -v12
	v_fmac_f32_e32 v13, v11, v4
	v_mov_b32_e32 v5, s23
	v_add_co_u32_e32 v4, vcc, s22, v6
	s_add_i32 s8, s8, 1
	s_addk_i32 s30, 0x80
	v_addc_co_u32_e32 v5, vcc, v7, v5, vcc
	s_cmp_eq_u32 s8, s27
	buffer_store_dword v12, v14, s[0:3], 0 offen
	buffer_store_dword v13, v14, s[0:3], 0 offen offset:4
	global_store_dwordx2 v[4:5], v[12:13], off
	s_cbranch_scc1 .LBB149_21
.LBB149_31:                             ;   Parent Loop BB149_19 Depth=1
                                        ;     Parent Loop BB149_22 Depth=2
                                        ; =>    This Loop Header: Depth=3
                                        ;         Child Loop BB149_33 Depth 4
	s_cmp_lg_u32 s8, 0
	s_cbranch_scc0 .LBB149_35
; %bb.32:                               ;   in Loop: Header=BB149_31 Depth=3
	s_lshl_b32 s23, s8, 3
	v_mov_b32_e32 v10, s23
	buffer_load_dword v4, v10, s[0:3], 0 offen
	buffer_load_dword v5, v10, s[0:3], 0 offen offset:4
	s_add_i32 s22, s8, s14
	s_mov_b32 s24, 0
	s_mov_b32 s25, s30
	;; [unrolled: 1-line block ×3, first 2 shown]
.LBB149_33:                             ;   Parent Loop BB149_19 Depth=1
                                        ;     Parent Loop BB149_22 Depth=2
                                        ;       Parent Loop BB149_31 Depth=3
                                        ; =>      This Inner Loop Header: Depth=4
	v_mov_b32_e32 v10, s24
	buffer_load_dword v12, v10, s[0:3], 0 offen offset:4
	buffer_load_dword v13, v10, s[0:3], 0 offen
	v_mov_b32_e32 v10, s25
	ds_read_b64 v[10:11], v10
	s_add_i32 s31, s31, -1
	s_add_i32 s24, s24, 8
	s_add_i32 s25, s25, 8
	v_mov_b32_e32 v14, s23
	s_cmp_eq_u32 s31, 0
	s_waitcnt vmcnt(1) lgkmcnt(0)
	v_mul_f32_e32 v15, v11, v12
	v_mul_f32_e32 v12, v10, v12
	s_waitcnt vmcnt(0)
	v_fma_f32 v10, v10, v13, -v15
	v_fmac_f32_e32 v12, v11, v13
	v_sub_f32_e32 v4, v4, v10
	v_sub_f32_e32 v5, v5, v12
	buffer_store_dword v4, v14, s[0:3], 0 offen
	buffer_store_dword v5, v14, s[0:3], 0 offen offset:4
	s_cbranch_scc0 .LBB149_33
; %bb.34:                               ;   in Loop: Header=BB149_31 Depth=3
	s_branch .LBB149_30
.LBB149_35:                             ;   in Loop: Header=BB149_31 Depth=3
                                        ; implicit-def: $vgpr4
                                        ; implicit-def: $vgpr5
                                        ; implicit-def: $sgpr22
	s_cbranch_execz .LBB149_30
; %bb.36:                               ;   in Loop: Header=BB149_31 Depth=3
	buffer_load_dword v4, off, s[0:3], 0
	buffer_load_dword v5, off, s[0:3], 0 offset:4
	s_mov_b32 s22, s14
	s_branch .LBB149_30
.LBB149_37:
	s_mov_b64 s[8:9], 0
.LBB149_38:
	s_and_b64 vcc, exec, s[8:9]
	s_cbranch_vccz .LBB149_58
; %bb.39:
	s_add_i32 s14, s26, -1
	s_add_u32 s6, s10, s6
	s_addc_u32 s7, s11, s7
	s_add_u32 s4, s6, s4
	s_addc_u32 s5, s7, s5
	v_mov_b32_e32 v2, s5
	v_add_co_u32_e32 v0, vcc, s4, v0
	v_addc_co_u32_e32 v1, vcc, v2, v1, vcc
	v_add_co_u32_e32 v2, vcc, 4, v0
	s_lshl_b32 s15, s26, 7
	s_mov_b32 s5, 0
	v_addc_co_u32_e32 v3, vcc, 0, v1, vcc
	s_addk_i32 s15, 0xff80
	s_mov_b32 s6, s14
	s_mov_b32 s4, s5
	s_branch .LBB149_41
.LBB149_40:                             ;   in Loop: Header=BB149_41 Depth=1
	s_cmp_lt_i32 s6, 0
	s_cselect_b64 s[8:9], -1, 0
	s_add_i32 s4, s4, 1
	s_cmp_eq_u32 s4, 3
	s_cselect_b64 s[10:11], -1, 0
	s_or_b64 s[8:9], s[8:9], s[10:11]
	s_and_b64 vcc, exec, s[8:9]
	s_cbranch_vccnz .LBB149_58
.LBB149_41:                             ; =>This Loop Header: Depth=1
                                        ;     Child Loop BB149_44 Depth 2
                                        ;       Child Loop BB149_45 Depth 3
                                        ;       Child Loop BB149_47 Depth 3
                                        ;         Child Loop BB149_48 Depth 4
                                        ;       Child Loop BB149_52 Depth 3
                                        ;         Child Loop BB149_54 Depth 4
	s_lshl_b64 s[8:9], s[4:5], 2
	s_getpc_b64 s[10:11]
	s_add_u32 s10, s10, __const._ZL30rocblas_trsm_small_left_deviceILi16ELi16ELb0E19rocblas_complex_numIfES1_PKS1_PS1_Ev13rocblas_fill_18rocblas_operation_17rocblas_diagonal_iiT3_T4_lilT5_lili.step_sizes@rel32@lo+4
	s_addc_u32 s11, s11, __const._ZL30rocblas_trsm_small_left_deviceILi16ELi16ELb0E19rocblas_complex_numIfES1_PKS1_PS1_Ev13rocblas_fill_18rocblas_operation_17rocblas_diagonal_iiT3_T4_lilT5_lili.step_sizes@rel32@hi+12
	s_add_u32 s8, s10, s8
	s_addc_u32 s9, s11, s9
	s_load_dword s18, s[8:9], 0x0
	s_waitcnt lgkmcnt(0)
	s_add_i32 s19, s18, -1
	s_cmp_lt_i32 s6, s19
	s_cbranch_scc1 .LBB149_40
; %bb.42:                               ;   in Loop: Header=BB149_41 Depth=1
	s_lshl_b32 s7, s6, 3
	s_add_i32 s21, s15, s7
	s_lshl_b32 s7, s18, 3
	s_max_i32 s20, s18, 1
	s_sub_i32 s22, 0, s7
	s_mul_i32 s23, s6, 0x88
	s_mul_i32 s24, s18, 0xffffff78
	s_branch .LBB149_44
.LBB149_43:                             ;   in Loop: Header=BB149_44 Depth=2
	s_sub_i32 s6, s6, s18
	s_add_i32 s21, s21, s22
	s_add_i32 s23, s23, s24
	s_cmp_lt_i32 s6, s19
	s_cbranch_scc1 .LBB149_40
.LBB149_44:                             ;   Parent Loop BB149_41 Depth=1
                                        ; =>  This Loop Header: Depth=2
                                        ;       Child Loop BB149_45 Depth 3
                                        ;       Child Loop BB149_47 Depth 3
                                        ;         Child Loop BB149_48 Depth 4
                                        ;       Child Loop BB149_52 Depth 3
                                        ;         Child Loop BB149_54 Depth 4
	s_ashr_i32 s7, s6, 31
	s_lshl_b64 s[8:9], s[6:7], 3
	v_mov_b32_e32 v1, s9
	v_add_co_u32_e32 v0, vcc, s8, v2
	v_addc_co_u32_e32 v1, vcc, v3, v1, vcc
	s_mov_b32 s8, 0
	s_mov_b32 s9, s20
.LBB149_45:                             ;   Parent Loop BB149_41 Depth=1
                                        ;     Parent Loop BB149_44 Depth=2
                                        ; =>    This Inner Loop Header: Depth=3
	global_load_dwordx2 v[4:5], v[0:1], off offset:-4
	v_mov_b32_e32 v8, s8
	s_add_i32 s9, s9, -1
	v_add_co_u32_e32 v0, vcc, -8, v0
	s_add_i32 s8, s8, 8
	v_addc_co_u32_e32 v1, vcc, -1, v1, vcc
	s_cmp_eq_u32 s9, 0
	s_waitcnt vmcnt(0)
	v_mul_f32_e32 v9, s17, v5
	v_mul_f32_e32 v5, s16, v5
	v_fma_f32 v9, v4, s16, -v9
	v_fmac_f32_e32 v5, s17, v4
	buffer_store_dword v9, v8, s[0:3], 0 offen
	buffer_store_dword v5, v8, s[0:3], 0 offen offset:4
	s_cbranch_scc0 .LBB149_45
; %bb.46:                               ;   in Loop: Header=BB149_44 Depth=2
	s_cmp_le_i32 s14, s6
	s_mov_b32 s10, s21
	s_mov_b32 s8, s14
	s_cbranch_scc1 .LBB149_50
.LBB149_47:                             ;   Parent Loop BB149_41 Depth=1
                                        ;     Parent Loop BB149_44 Depth=2
                                        ; =>    This Loop Header: Depth=3
                                        ;         Child Loop BB149_48 Depth 4
	s_ashr_i32 s9, s8, 31
	s_lshl_b64 s[12:13], s[8:9], 3
	v_mov_b32_e32 v1, s13
	v_add_co_u32_e32 v0, vcc, s12, v6
	v_addc_co_u32_e32 v1, vcc, v7, v1, vcc
	global_load_dwordx2 v[0:1], v[0:1], off
	s_mov_b32 s9, 0
	s_mov_b32 s11, s10
	;; [unrolled: 1-line block ×3, first 2 shown]
.LBB149_48:                             ;   Parent Loop BB149_41 Depth=1
                                        ;     Parent Loop BB149_44 Depth=2
                                        ;       Parent Loop BB149_47 Depth=3
                                        ; =>      This Inner Loop Header: Depth=4
	v_mov_b32_e32 v8, s9
	buffer_load_dword v9, v8, s[0:3], 0 offen
	buffer_load_dword v10, v8, s[0:3], 0 offen offset:4
	v_mov_b32_e32 v4, s11
	ds_read_b64 v[4:5], v4
	s_add_i32 s12, s12, -1
	s_add_i32 s11, s11, -8
	s_add_i32 s9, s9, 8
	s_cmp_eq_u32 s12, 0
	s_waitcnt vmcnt(2) lgkmcnt(0)
	v_mul_f32_e32 v11, v5, v1
	v_mul_f32_e32 v5, v5, v0
	v_fma_f32 v11, v4, v0, -v11
	v_fmac_f32_e32 v5, v4, v1
	s_waitcnt vmcnt(1)
	v_sub_f32_e32 v4, v9, v11
	s_waitcnt vmcnt(0)
	v_sub_f32_e32 v5, v10, v5
	buffer_store_dword v4, v8, s[0:3], 0 offen
	buffer_store_dword v5, v8, s[0:3], 0 offen offset:4
	s_cbranch_scc0 .LBB149_48
; %bb.49:                               ;   in Loop: Header=BB149_47 Depth=3
	s_add_i32 s8, s8, -1
	s_addk_i32 s10, 0xff80
	s_cmp_le_i32 s8, s6
	s_cbranch_scc0 .LBB149_47
.LBB149_50:                             ;   in Loop: Header=BB149_44 Depth=2
	s_mov_b32 s25, 0
	s_mov_b32 s26, s23
	s_branch .LBB149_52
.LBB149_51:                             ;   in Loop: Header=BB149_52 Depth=3
	s_mulk_i32 s10, 0x88
	v_mov_b32_e32 v4, s10
	ds_read_b64 v[4:5], v4
	s_lshl_b64 s[8:9], s[8:9], 3
	s_lshl_b32 s10, s25, 3
	s_add_i32 s25, s25, 1
	s_add_i32 s26, s26, -8
	s_waitcnt vmcnt(0) lgkmcnt(0)
	v_mul_f32_e32 v8, v5, v1
	v_mul_f32_e32 v9, v4, v1
	v_fma_f32 v8, v4, v0, -v8
	v_fmac_f32_e32 v9, v5, v0
	v_mov_b32_e32 v1, s9
	v_add_co_u32_e32 v0, vcc, s8, v6
	v_mov_b32_e32 v10, s10
	v_addc_co_u32_e32 v1, vcc, v7, v1, vcc
	s_cmp_eq_u32 s25, s20
	buffer_store_dword v8, v10, s[0:3], 0 offen
	buffer_store_dword v9, v10, s[0:3], 0 offen offset:4
	global_store_dwordx2 v[0:1], v[8:9], off
	s_cbranch_scc1 .LBB149_43
.LBB149_52:                             ;   Parent Loop BB149_41 Depth=1
                                        ;     Parent Loop BB149_44 Depth=2
                                        ; =>    This Loop Header: Depth=3
                                        ;         Child Loop BB149_54 Depth 4
	s_cmp_lg_u32 s25, 0
	s_cbranch_scc0 .LBB149_56
; %bb.53:                               ;   in Loop: Header=BB149_52 Depth=3
	s_lshl_b32 s8, s25, 3
	v_mov_b32_e32 v4, s8
	buffer_load_dword v0, v4, s[0:3], 0 offen
	buffer_load_dword v1, v4, s[0:3], 0 offen offset:4
	s_mov_b32 s8, 0
	s_mov_b32 s9, s26
	;; [unrolled: 1-line block ×3, first 2 shown]
.LBB149_54:                             ;   Parent Loop BB149_41 Depth=1
                                        ;     Parent Loop BB149_44 Depth=2
                                        ;       Parent Loop BB149_52 Depth=3
                                        ; =>      This Inner Loop Header: Depth=4
	v_mov_b32_e32 v5, s8
	buffer_load_dword v10, v5, s[0:3], 0 offen offset:4
	buffer_load_dword v11, v5, s[0:3], 0 offen
	v_mov_b32_e32 v5, s9
	ds_read_b64 v[8:9], v5
	s_add_i32 s10, s10, -1
	s_addk_i32 s9, 0xff80
	s_add_i32 s8, s8, 8
	s_cmp_eq_u32 s10, 0
	s_waitcnt vmcnt(1) lgkmcnt(0)
	v_mul_f32_e32 v5, v9, v10
	v_mul_f32_e32 v10, v8, v10
	s_waitcnt vmcnt(0)
	v_fma_f32 v5, v8, v11, -v5
	v_fmac_f32_e32 v10, v9, v11
	v_sub_f32_e32 v0, v0, v5
	v_sub_f32_e32 v1, v1, v10
	buffer_store_dword v0, v4, s[0:3], 0 offen
	buffer_store_dword v1, v4, s[0:3], 0 offen offset:4
	s_cbranch_scc0 .LBB149_54
; %bb.55:                               ;   in Loop: Header=BB149_52 Depth=3
	s_sub_i32 s10, s6, s25
	s_ashr_i32 s11, s10, 31
	s_mov_b64 s[8:9], s[10:11]
	s_branch .LBB149_51
.LBB149_56:                             ;   in Loop: Header=BB149_52 Depth=3
                                        ; implicit-def: $vgpr0
                                        ; implicit-def: $vgpr1
                                        ; implicit-def: $sgpr10
                                        ; implicit-def: $sgpr8_sgpr9
	s_cbranch_execz .LBB149_51
; %bb.57:                               ;   in Loop: Header=BB149_52 Depth=3
	buffer_load_dword v0, off, s[0:3], 0
	buffer_load_dword v1, off, s[0:3], 0 offset:4
	s_mov_b64 s[8:9], s[6:7]
	s_mov_b32 s10, s6
	s_branch .LBB149_51
.LBB149_58:
	s_endpgm
	.section	.rodata,"a",@progbits
	.p2align	6, 0x0
	.amdhsa_kernel _ZL30rocblas_trsm_small_left_deviceILi16ELi16ELb0E19rocblas_complex_numIfES1_PKS1_PS1_Ev13rocblas_fill_18rocblas_operation_17rocblas_diagonal_iiT3_T4_lilT5_lili
		.amdhsa_group_segment_fixed_size 2048
		.amdhsa_private_segment_fixed_size 144
		.amdhsa_kernarg_size 360
		.amdhsa_user_sgpr_count 6
		.amdhsa_user_sgpr_private_segment_buffer 1
		.amdhsa_user_sgpr_dispatch_ptr 0
		.amdhsa_user_sgpr_queue_ptr 0
		.amdhsa_user_sgpr_kernarg_segment_ptr 1
		.amdhsa_user_sgpr_dispatch_id 0
		.amdhsa_user_sgpr_flat_scratch_init 0
		.amdhsa_user_sgpr_private_segment_size 0
		.amdhsa_uses_dynamic_stack 0
		.amdhsa_system_sgpr_private_segment_wavefront_offset 1
		.amdhsa_system_sgpr_workgroup_id_x 1
		.amdhsa_system_sgpr_workgroup_id_y 0
		.amdhsa_system_sgpr_workgroup_id_z 1
		.amdhsa_system_sgpr_workgroup_info 0
		.amdhsa_system_vgpr_workitem_id 0
		.amdhsa_next_free_vgpr 29
		.amdhsa_next_free_sgpr 61
		.amdhsa_reserve_vcc 1
		.amdhsa_reserve_flat_scratch 0
		.amdhsa_float_round_mode_32 0
		.amdhsa_float_round_mode_16_64 0
		.amdhsa_float_denorm_mode_32 3
		.amdhsa_float_denorm_mode_16_64 3
		.amdhsa_dx10_clamp 1
		.amdhsa_ieee_mode 1
		.amdhsa_fp16_overflow 0
		.amdhsa_exception_fp_ieee_invalid_op 0
		.amdhsa_exception_fp_denorm_src 0
		.amdhsa_exception_fp_ieee_div_zero 0
		.amdhsa_exception_fp_ieee_overflow 0
		.amdhsa_exception_fp_ieee_underflow 0
		.amdhsa_exception_fp_ieee_inexact 0
		.amdhsa_exception_int_div_zero 0
	.end_amdhsa_kernel
	.section	.text._ZL30rocblas_trsm_small_left_deviceILi16ELi16ELb0E19rocblas_complex_numIfES1_PKS1_PS1_Ev13rocblas_fill_18rocblas_operation_17rocblas_diagonal_iiT3_T4_lilT5_lili,"axG",@progbits,_ZL30rocblas_trsm_small_left_deviceILi16ELi16ELb0E19rocblas_complex_numIfES1_PKS1_PS1_Ev13rocblas_fill_18rocblas_operation_17rocblas_diagonal_iiT3_T4_lilT5_lili,comdat
.Lfunc_end149:
	.size	_ZL30rocblas_trsm_small_left_deviceILi16ELi16ELb0E19rocblas_complex_numIfES1_PKS1_PS1_Ev13rocblas_fill_18rocblas_operation_17rocblas_diagonal_iiT3_T4_lilT5_lili, .Lfunc_end149-_ZL30rocblas_trsm_small_left_deviceILi16ELi16ELb0E19rocblas_complex_numIfES1_PKS1_PS1_Ev13rocblas_fill_18rocblas_operation_17rocblas_diagonal_iiT3_T4_lilT5_lili
                                        ; -- End function
	.set _ZL30rocblas_trsm_small_left_deviceILi16ELi16ELb0E19rocblas_complex_numIfES1_PKS1_PS1_Ev13rocblas_fill_18rocblas_operation_17rocblas_diagonal_iiT3_T4_lilT5_lili.num_vgpr, 16
	.set _ZL30rocblas_trsm_small_left_deviceILi16ELi16ELb0E19rocblas_complex_numIfES1_PKS1_PS1_Ev13rocblas_fill_18rocblas_operation_17rocblas_diagonal_iiT3_T4_lilT5_lili.num_agpr, 0
	.set _ZL30rocblas_trsm_small_left_deviceILi16ELi16ELb0E19rocblas_complex_numIfES1_PKS1_PS1_Ev13rocblas_fill_18rocblas_operation_17rocblas_diagonal_iiT3_T4_lilT5_lili.numbered_sgpr, 32
	.set _ZL30rocblas_trsm_small_left_deviceILi16ELi16ELb0E19rocblas_complex_numIfES1_PKS1_PS1_Ev13rocblas_fill_18rocblas_operation_17rocblas_diagonal_iiT3_T4_lilT5_lili.num_named_barrier, 0
	.set _ZL30rocblas_trsm_small_left_deviceILi16ELi16ELb0E19rocblas_complex_numIfES1_PKS1_PS1_Ev13rocblas_fill_18rocblas_operation_17rocblas_diagonal_iiT3_T4_lilT5_lili.private_seg_size, 144
	.set _ZL30rocblas_trsm_small_left_deviceILi16ELi16ELb0E19rocblas_complex_numIfES1_PKS1_PS1_Ev13rocblas_fill_18rocblas_operation_17rocblas_diagonal_iiT3_T4_lilT5_lili.uses_vcc, 1
	.set _ZL30rocblas_trsm_small_left_deviceILi16ELi16ELb0E19rocblas_complex_numIfES1_PKS1_PS1_Ev13rocblas_fill_18rocblas_operation_17rocblas_diagonal_iiT3_T4_lilT5_lili.uses_flat_scratch, 0
	.set _ZL30rocblas_trsm_small_left_deviceILi16ELi16ELb0E19rocblas_complex_numIfES1_PKS1_PS1_Ev13rocblas_fill_18rocblas_operation_17rocblas_diagonal_iiT3_T4_lilT5_lili.has_dyn_sized_stack, 0
	.set _ZL30rocblas_trsm_small_left_deviceILi16ELi16ELb0E19rocblas_complex_numIfES1_PKS1_PS1_Ev13rocblas_fill_18rocblas_operation_17rocblas_diagonal_iiT3_T4_lilT5_lili.has_recursion, 0
	.set _ZL30rocblas_trsm_small_left_deviceILi16ELi16ELb0E19rocblas_complex_numIfES1_PKS1_PS1_Ev13rocblas_fill_18rocblas_operation_17rocblas_diagonal_iiT3_T4_lilT5_lili.has_indirect_call, 0
	.section	.AMDGPU.csdata,"",@progbits
; Kernel info:
; codeLenInByte = 2520
; TotalNumSgprs: 36
; NumVgprs: 16
; ScratchSize: 144
; MemoryBound: 0
; FloatMode: 240
; IeeeMode: 1
; LDSByteSize: 2048 bytes/workgroup (compile time only)
; SGPRBlocks: 8
; VGPRBlocks: 7
; NumSGPRsForWavesPerEU: 65
; NumVGPRsForWavesPerEU: 29
; Occupancy: 8
; WaveLimiterHint : 0
; COMPUTE_PGM_RSRC2:SCRATCH_EN: 1
; COMPUTE_PGM_RSRC2:USER_SGPR: 6
; COMPUTE_PGM_RSRC2:TRAP_HANDLER: 0
; COMPUTE_PGM_RSRC2:TGID_X_EN: 1
; COMPUTE_PGM_RSRC2:TGID_Y_EN: 0
; COMPUTE_PGM_RSRC2:TGID_Z_EN: 1
; COMPUTE_PGM_RSRC2:TIDIG_COMP_CNT: 0
	.section	.text._ZL38rocblas_trsm_small_left_device_sharedBILi16ELi16ELb1E19rocblas_complex_numIfES1_PKS1_PS1_Ev13rocblas_fill_18rocblas_operation_17rocblas_diagonal_iiT3_T4_lilT5_lili,"axG",@progbits,_ZL38rocblas_trsm_small_left_device_sharedBILi16ELi16ELb1E19rocblas_complex_numIfES1_PKS1_PS1_Ev13rocblas_fill_18rocblas_operation_17rocblas_diagonal_iiT3_T4_lilT5_lili,comdat
	.globl	_ZL38rocblas_trsm_small_left_device_sharedBILi16ELi16ELb1E19rocblas_complex_numIfES1_PKS1_PS1_Ev13rocblas_fill_18rocblas_operation_17rocblas_diagonal_iiT3_T4_lilT5_lili ; -- Begin function _ZL38rocblas_trsm_small_left_device_sharedBILi16ELi16ELb1E19rocblas_complex_numIfES1_PKS1_PS1_Ev13rocblas_fill_18rocblas_operation_17rocblas_diagonal_iiT3_T4_lilT5_lili
	.p2align	8
	.type	_ZL38rocblas_trsm_small_left_device_sharedBILi16ELi16ELb1E19rocblas_complex_numIfES1_PKS1_PS1_Ev13rocblas_fill_18rocblas_operation_17rocblas_diagonal_iiT3_T4_lilT5_lili,@function
_ZL38rocblas_trsm_small_left_device_sharedBILi16ELi16ELb1E19rocblas_complex_numIfES1_PKS1_PS1_Ev13rocblas_fill_18rocblas_operation_17rocblas_diagonal_iiT3_T4_lilT5_lili: ; @_ZL38rocblas_trsm_small_left_device_sharedBILi16ELi16ELb1E19rocblas_complex_numIfES1_PKS1_PS1_Ev13rocblas_fill_18rocblas_operation_17rocblas_diagonal_iiT3_T4_lilT5_lili
; %bb.0:
	s_add_u32 s0, s0, s8
	s_load_dwordx4 s[12:15], s[4:5], 0x4
	s_load_dwordx2 s[20:21], s[4:5], 0x14
	s_load_dwordx4 s[8:11], s[4:5], 0x38
	s_load_dwordx2 s[16:17], s[4:5], 0x48
	s_load_dword s27, s[4:5], 0x68
	s_addc_u32 s1, s1, 0
	s_waitcnt lgkmcnt(0)
	s_min_i32 s26, s14, 16
	v_cmp_gt_i32_e32 vcc, s26, v0
	s_and_saveexec_b64 s[18:19], vcc
	s_cbranch_execz .LBB150_15
; %bb.1:
	s_load_dword s24, s[4:5], 0x30
	s_load_dwordx4 s[28:31], s[4:5], 0x20
	s_mul_i32 s9, s9, s7
	s_mul_hi_u32 s33, s8, s7
	s_mul_i32 s8, s8, s7
	s_waitcnt lgkmcnt(0)
	s_ashr_i32 s25, s24, 31
	s_cmpk_lg_i32 s12, 0x71
	s_cselect_b64 s[22:23], -1, 0
	s_add_i32 s9, s33, s9
	s_lshl_b64 s[8:9], s[8:9], 3
	s_lshl_b64 s[30:31], s[30:31], 3
	s_add_u32 s8, s8, s30
	s_addc_u32 s9, s9, s31
	s_add_u32 s8, s28, s8
	v_lshlrev_b32_e32 v5, 3, v0
	s_addc_u32 s9, s29, s9
	v_mov_b32_e32 v1, s9
	v_add_co_u32_e32 v2, vcc, s8, v5
	v_addc_co_u32_e32 v3, vcc, 0, v1, vcc
	v_add_co_u32_e32 v1, vcc, 4, v2
	s_lshl_b64 s[8:9], s[24:25], 3
	v_addc_co_u32_e32 v2, vcc, 0, v3, vcc
	v_mov_b32_e32 v6, s9
	v_mov_b32_e32 v7, v5
	s_mov_b32 s9, s26
	s_branch .LBB150_3
.LBB150_2:                              ;   in Loop: Header=BB150_3 Depth=1
	global_load_dword v3, v[1:2], off offset:-4
	s_add_i32 s9, s9, -1
	v_add_co_u32_e32 v1, vcc, s8, v1
	v_addc_co_u32_e32 v2, vcc, v2, v6, vcc
	s_cmp_eq_u32 s9, 0
	s_waitcnt vmcnt(0)
	ds_write_b64 v7, v[3:4]
	v_add_u32_e32 v7, 0x80, v7
	s_cbranch_scc1 .LBB150_7
.LBB150_3:                              ; =>This Inner Loop Header: Depth=1
	s_mov_b64 s[24:25], -1
	s_and_b64 vcc, exec, s[22:23]
                                        ; implicit-def: $vgpr4
	s_cbranch_vccz .LBB150_5
; %bb.4:                                ;   in Loop: Header=BB150_3 Depth=1
	global_load_dword v4, v[1:2], off
	s_mov_b64 s[24:25], 0
.LBB150_5:                              ;   in Loop: Header=BB150_3 Depth=1
	s_andn2_b64 vcc, exec, s[24:25]
	s_cbranch_vccnz .LBB150_2
; %bb.6:                                ;   in Loop: Header=BB150_3 Depth=1
	global_load_dword v3, v[1:2], off
	s_waitcnt vmcnt(0)
	v_xor_b32_e32 v4, 0x80000000, v3
	s_branch .LBB150_2
.LBB150_7:
	v_lshlrev_b32_e32 v1, 7, v0
	s_cmpk_lg_i32 s13, 0x84
	s_mov_b64 s[8:9], -1
	v_add_u32_e32 v5, v5, v1
	s_cbranch_scc0 .LBB150_13
; %bb.8:
	ds_read_b64 v[1:2], v5
                                        ; implicit-def: $vgpr3
	s_waitcnt lgkmcnt(0)
	v_cmp_ngt_f32_e64 s[8:9], |v1|, |v2|
	s_and_saveexec_b64 s[22:23], s[8:9]
	s_xor_b64 s[8:9], exec, s[22:23]
	s_cbranch_execz .LBB150_10
; %bb.9:
	v_div_scale_f32 v3, s[22:23], v2, v2, v1
	v_div_scale_f32 v4, vcc, v1, v2, v1
	v_rcp_f32_e32 v6, v3
	v_fma_f32 v7, -v3, v6, 1.0
	v_fmac_f32_e32 v6, v7, v6
	v_mul_f32_e32 v7, v4, v6
	v_fma_f32 v8, -v3, v7, v4
	v_fmac_f32_e32 v7, v8, v6
	v_fma_f32 v3, -v3, v7, v4
	v_div_fmas_f32 v3, v3, v6, v7
	v_div_fixup_f32 v3, v3, v2, v1
	v_fmac_f32_e32 v2, v1, v3
	v_div_scale_f32 v1, s[22:23], v2, v2, 1.0
	v_div_scale_f32 v4, vcc, 1.0, v2, 1.0
	v_rcp_f32_e32 v6, v1
	v_fma_f32 v7, -v1, v6, 1.0
	v_fmac_f32_e32 v6, v7, v6
	v_mul_f32_e32 v7, v4, v6
	v_fma_f32 v8, -v1, v7, v4
	v_fmac_f32_e32 v7, v8, v6
	v_fma_f32 v1, -v1, v7, v4
	v_div_fmas_f32 v1, v1, v6, v7
	v_add_f32_e32 v4, 0, v3
	v_fma_f32 v6, v3, 0, -1.0
	v_div_fixup_f32 v1, v1, v2, 1.0
	v_mul_f32_e32 v3, v4, v1
	v_mul_f32_e32 v4, v6, v1
                                        ; implicit-def: $vgpr1_vgpr2
.LBB150_10:
	s_andn2_saveexec_b64 s[8:9], s[8:9]
	s_cbranch_execz .LBB150_12
; %bb.11:
	v_div_scale_f32 v3, s[22:23], v1, v1, v2
	v_div_scale_f32 v4, vcc, v2, v1, v2
	v_rcp_f32_e32 v6, v3
	v_fma_f32 v7, -v3, v6, 1.0
	v_fmac_f32_e32 v6, v7, v6
	v_mul_f32_e32 v7, v4, v6
	v_fma_f32 v8, -v3, v7, v4
	v_fmac_f32_e32 v7, v8, v6
	v_fma_f32 v3, -v3, v7, v4
	v_div_fmas_f32 v3, v3, v6, v7
	v_div_fixup_f32 v4, v3, v1, v2
	v_fmac_f32_e32 v1, v2, v4
	v_div_scale_f32 v2, s[22:23], v1, v1, 1.0
	v_div_scale_f32 v3, vcc, 1.0, v1, 1.0
	v_rcp_f32_e32 v6, v2
	v_fma_f32 v7, -v2, v6, 1.0
	v_fmac_f32_e32 v6, v7, v6
	v_mul_f32_e32 v7, v3, v6
	v_fma_f32 v8, -v2, v7, v3
	v_fmac_f32_e32 v7, v8, v6
	v_fma_f32 v2, -v2, v7, v3
	v_div_fmas_f32 v2, v2, v6, v7
	v_fma_f32 v3, v4, 0, 1.0
	v_div_fixup_f32 v1, v2, v1, 1.0
	v_mul_f32_e32 v3, v3, v1
	v_mul_f32_e64 v4, -v4, v1
.LBB150_12:
	s_or_b64 exec, exec, s[8:9]
	s_mov_b64 s[8:9], 0
	ds_write_b64 v5, v[3:4]
.LBB150_13:
	s_and_b64 vcc, exec, s[8:9]
	s_cbranch_vccz .LBB150_15
; %bb.14:
	v_mov_b32_e32 v1, 1.0
	v_mov_b32_e32 v2, 0
	ds_write_b64 v5, v[1:2]
.LBB150_15:
	s_or_b64 exec, exec, s[18:19]
	s_load_dword s24, s[4:5], 0x50
	s_load_dwordx2 s[8:9], s[4:5], 0x58
	s_add_i32 s27, s27, -1
	s_waitcnt lgkmcnt(0)
	s_ashr_i32 s13, s24, 31
	s_mul_i32 s4, s9, s7
	s_mul_hi_u32 s5, s8, s7
	s_mul_i32 s18, s8, s7
	s_lshl_b32 s8, s6, 4
	s_add_i32 s19, s5, s4
	s_sub_i32 s4, s15, s8
	s_cmp_ge_u32 s6, s27
	s_cselect_b32 s4, s4, 16
	s_ashr_i32 s9, s8, 31
	s_cmp_gt_i32 s14, 0
	v_cmp_gt_i32_e64 s[4:5], s4, v0
	s_cselect_b64 s[6:7], -1, 0
	s_and_b64 s[28:29], s[4:5], s[6:7]
	s_and_saveexec_b64 s[22:23], s[28:29]
	s_cbranch_execz .LBB150_18
; %bb.16:
	v_lshlrev_b32_e32 v3, 3, v0
	s_lshl_b64 s[30:31], s[8:9], 3
	s_lshl_b64 s[28:29], s[18:19], 3
	v_mov_b32_e32 v1, s31
	v_add_co_u32_e32 v4, vcc, s30, v3
	s_lshl_b64 s[30:31], s[16:17], 3
	s_add_u32 s9, s10, s30
	s_addc_u32 s15, s11, s31
	s_add_u32 s28, s9, s28
	v_addc_co_u32_e32 v5, vcc, 0, v1, vcc
	s_addc_u32 s29, s15, s29
	v_mov_b32_e32 v1, s28
	v_mov_b32_e32 v2, s29
	v_mad_u64_u32 v[1:2], s[28:29], v4, s24, v[1:2]
	v_mul_lo_u32 v4, v4, s13
	v_mul_lo_u32 v5, v5, s24
	v_add_co_u32_e32 v1, vcc, 4, v1
	v_or_b32_e32 v3, 0x800, v3
	v_add3_u32 v2, v5, v2, v4
	v_addc_co_u32_e32 v2, vcc, 0, v2, vcc
	s_mov_b32 s9, s26
.LBB150_17:                             ; =>This Inner Loop Header: Depth=1
	global_load_dwordx2 v[4:5], v[1:2], off offset:-4
	s_add_i32 s9, s9, -1
	v_add_co_u32_e32 v1, vcc, 8, v1
	v_addc_co_u32_e32 v2, vcc, 0, v2, vcc
	s_cmp_lg_u32 s9, 0
	s_waitcnt vmcnt(0)
	v_mul_f32_e32 v7, s21, v5
	v_mul_f32_e32 v6, s20, v5
	v_fma_f32 v5, s20, v4, -v7
	v_fmac_f32_e32 v6, s21, v4
	ds_write_b64 v3, v[5:6]
	v_add_u32_e32 v3, 0x80, v3
	s_cbranch_scc1 .LBB150_17
.LBB150_18:
	s_or_b64 exec, exec, s[22:23]
	v_mov_b32_e32 v1, 0x800
	s_cmpk_eq_i32 s12, 0x6f
	v_lshl_or_b32 v25, v0, 3, v1
	s_mov_b64 s[12:13], -1
	s_waitcnt lgkmcnt(0)
	; wave barrier
	s_cbranch_scc1 .LBB150_47
; %bb.19:
	s_add_i32 s9, s26, -1
	s_cmp_gt_i32 s14, 15
	s_mov_b32 s14, s9
	s_cbranch_scc0 .LBB150_21
; %bb.20:
	ds_read2_b64 v[1:4], v25 offset0:224 offset1:240
	s_mov_b32 s14, -1
	s_waitcnt lgkmcnt(0)
	buffer_store_dword v4, off, s[0:3], 0 offset:4
	buffer_store_dword v3, off, s[0:3], 0
	buffer_store_dword v2, off, s[0:3], 0 offset:12
	buffer_store_dword v1, off, s[0:3], 0 offset:8
	ds_read2_b64 v[5:8], v25 offset0:192 offset1:208
	s_waitcnt lgkmcnt(0)
	buffer_store_dword v8, off, s[0:3], 0 offset:20
	buffer_store_dword v7, off, s[0:3], 0 offset:16
	buffer_store_dword v6, off, s[0:3], 0 offset:28
	buffer_store_dword v5, off, s[0:3], 0 offset:24
	ds_read2_b64 v[5:8], v25 offset0:160 offset1:176
	s_waitcnt lgkmcnt(0)
	buffer_store_dword v8, off, s[0:3], 0 offset:36
	buffer_store_dword v7, off, s[0:3], 0 offset:32
	;; [unrolled: 6-line block ×6, first 2 shown]
	buffer_store_dword v5, off, s[0:3], 0 offset:104
	buffer_store_dword v6, off, s[0:3], 0 offset:108
	ds_read2_b64 v[5:8], v25 offset1:16
	s_waitcnt lgkmcnt(0)
	buffer_store_dword v8, off, s[0:3], 0 offset:116
	buffer_store_dword v7, off, s[0:3], 0 offset:112
	;; [unrolled: 1-line block ×4, first 2 shown]
	v_mov_b32_e32 v7, 0
	ds_read2_b64 v[8:11], v7 offset0:223 offset1:255
	s_waitcnt lgkmcnt(0)
	v_mul_f32_e32 v5, v11, v4
	v_fma_f32 v20, v10, v3, -v5
	v_mul_f32_e32 v21, v10, v4
	v_fmac_f32_e32 v21, v11, v3
	buffer_store_dword v20, off, s[0:3], 0
	buffer_store_dword v21, off, s[0:3], 0 offset:4
	ds_read_b128 v[3:6], v7 offset:1904
	s_waitcnt lgkmcnt(0)
	v_mul_f32_e32 v10, v6, v21
	v_fma_f32 v10, v5, v20, -v10
	v_mul_f32_e32 v5, v5, v21
	v_fmac_f32_e32 v5, v6, v20
	v_sub_f32_e32 v2, v2, v5
	v_sub_f32_e32 v1, v1, v10
	v_mul_f32_e32 v5, v4, v2
	v_mul_f32_e32 v23, v3, v2
	v_fma_f32 v22, v3, v1, -v5
	v_fmac_f32_e32 v23, v4, v1
	buffer_store_dword v22, off, s[0:3], 0 offset:8
	buffer_store_dword v23, off, s[0:3], 0 offset:12
	ds_write2_b64 v25, v[22:23], v[20:21] offset0:224 offset1:240
	buffer_load_dword v1, off, s[0:3], 0 offset:16
	buffer_load_dword v2, off, s[0:3], 0 offset:20
	v_mul_f32_e32 v3, v9, v21
	v_mul_f32_e32 v4, v8, v21
	v_fma_f32 v3, v8, v20, -v3
	v_fmac_f32_e32 v4, v9, v20
	s_waitcnt vmcnt(1)
	v_sub_f32_e32 v5, v1, v3
	s_waitcnt vmcnt(0)
	v_sub_f32_e32 v6, v2, v4
	ds_read2_b64 v[1:4], v7 offset0:221 offset1:222
	s_waitcnt lgkmcnt(0)
	v_mul_f32_e32 v8, v4, v23
	v_fma_f32 v8, v3, v22, -v8
	v_mul_f32_e32 v3, v3, v23
	v_fmac_f32_e32 v3, v4, v22
	v_sub_f32_e32 v3, v6, v3
	v_sub_f32_e32 v4, v5, v8
	v_mul_f32_e32 v5, v2, v3
	v_fma_f32 v5, v1, v4, -v5
	v_mul_f32_e32 v27, v1, v3
	v_fmac_f32_e32 v27, v2, v4
	buffer_store_dword v5, off, s[0:3], 0 offset:16
	buffer_store_dword v27, off, s[0:3], 0 offset:20
	ds_read_b128 v[1:4], v7 offset:1648
	buffer_load_dword v26, off, s[0:3], 0 offset:16
	s_waitcnt lgkmcnt(0)
	v_mul_f32_e32 v5, v4, v21
	v_fma_f32 v5, v3, v20, -v5
	v_mul_f32_e32 v3, v3, v21
	v_fmac_f32_e32 v3, v4, v20
	buffer_load_dword v4, off, s[0:3], 0 offset:24
	buffer_load_dword v6, off, s[0:3], 0 offset:28
	;; [unrolled: 1-line block ×4, first 2 shown]
	s_waitcnt vmcnt(3)
	v_sub_f32_e32 v4, v4, v5
	v_mul_f32_e32 v5, v2, v23
	v_fma_f32 v5, v1, v22, -v5
	v_mul_f32_e32 v1, v1, v23
	s_waitcnt vmcnt(2)
	v_sub_f32_e32 v3, v6, v3
	v_fmac_f32_e32 v1, v2, v22
	v_sub_f32_e32 v5, v4, v5
	v_sub_f32_e32 v6, v3, v1
	ds_read_b128 v[1:4], v7 offset:1632
	s_waitcnt lgkmcnt(0)
	v_mul_f32_e32 v10, v4, v27
	v_fma_f32 v10, v3, v26, -v10
	v_mul_f32_e32 v3, v3, v27
	v_fmac_f32_e32 v3, v4, v26
	v_sub_f32_e32 v3, v6, v3
	v_sub_f32_e32 v4, v5, v10
	v_mul_f32_e32 v5, v2, v3
	v_fma_f32 v28, v1, v4, -v5
	v_mul_f32_e32 v29, v1, v3
	v_fmac_f32_e32 v29, v2, v4
	buffer_store_dword v28, off, s[0:3], 0 offset:24
	buffer_store_dword v29, off, s[0:3], 0 offset:28
	ds_read2_b64 v[1:4], v7 offset0:159 offset1:191
	ds_write2_b64 v25, v[28:29], v[26:27] offset0:192 offset1:208
	s_waitcnt lgkmcnt(1)
	v_mul_f32_e32 v5, v4, v21
	v_fma_f32 v5, v3, v20, -v5
	v_mul_f32_e32 v3, v3, v21
	v_fmac_f32_e32 v3, v4, v20
	s_waitcnt vmcnt(3)
	v_sub_f32_e32 v8, v8, v5
	s_waitcnt vmcnt(2)
	v_sub_f32_e32 v9, v9, v3
	ds_read2_b64 v[3:6], v7 offset0:189 offset1:190
	s_waitcnt lgkmcnt(0)
	v_mul_f32_e32 v10, v6, v23
	v_fma_f32 v10, v5, v22, -v10
	v_mul_f32_e32 v5, v5, v23
	v_fmac_f32_e32 v5, v6, v22
	v_sub_f32_e32 v6, v8, v10
	v_mul_f32_e32 v8, v4, v27
	v_fma_f32 v8, v3, v26, -v8
	v_mul_f32_e32 v3, v3, v27
	v_sub_f32_e32 v5, v9, v5
	v_fmac_f32_e32 v3, v4, v26
	v_sub_f32_e32 v8, v6, v8
	v_sub_f32_e32 v9, v5, v3
	ds_read2_b64 v[3:6], v7 offset0:187 offset1:188
	s_waitcnt lgkmcnt(0)
	v_mul_f32_e32 v10, v6, v29
	v_fma_f32 v10, v5, v28, -v10
	v_mul_f32_e32 v5, v5, v29
	v_fmac_f32_e32 v5, v6, v28
	v_sub_f32_e32 v5, v9, v5
	v_sub_f32_e32 v6, v8, v10
	v_mul_f32_e32 v8, v4, v5
	v_fma_f32 v8, v3, v6, -v8
	v_mul_f32_e32 v31, v3, v5
	v_fmac_f32_e32 v31, v4, v6
	buffer_store_dword v8, off, s[0:3], 0 offset:32
	buffer_store_dword v31, off, s[0:3], 0 offset:36
	buffer_load_dword v30, off, s[0:3], 0 offset:32
	buffer_load_dword v16, off, s[0:3], 0 offset:40
	;; [unrolled: 1-line block ×3, first 2 shown]
	ds_read_b128 v[3:6], v7 offset:1360
	ds_read_b128 v[8:11], v7 offset:1376
	;; [unrolled: 1-line block ×3, first 2 shown]
	s_waitcnt lgkmcnt(0)
	v_mul_f32_e32 v18, v15, v21
	v_fma_f32 v18, v14, v20, -v18
	v_mul_f32_e32 v14, v14, v21
	v_fmac_f32_e32 v14, v15, v20
	s_waitcnt vmcnt(1)
	v_sub_f32_e32 v15, v16, v18
	v_mul_f32_e32 v16, v13, v23
	v_fma_f32 v16, v12, v22, -v16
	v_mul_f32_e32 v12, v12, v23
	s_waitcnt vmcnt(0)
	v_sub_f32_e32 v14, v17, v14
	v_fmac_f32_e32 v12, v13, v22
	v_sub_f32_e32 v12, v14, v12
	v_mul_f32_e32 v14, v11, v27
	v_fma_f32 v14, v10, v26, -v14
	v_mul_f32_e32 v10, v10, v27
	v_fmac_f32_e32 v10, v11, v26
	v_sub_f32_e32 v10, v12, v10
	v_mul_f32_e32 v12, v9, v29
	v_fma_f32 v12, v8, v28, -v12
	v_mul_f32_e32 v8, v8, v29
	v_fmac_f32_e32 v8, v9, v28
	v_sub_f32_e32 v8, v10, v8
	v_mul_f32_e32 v10, v6, v31
	v_sub_f32_e32 v13, v15, v16
	v_fma_f32 v10, v5, v30, -v10
	v_mul_f32_e32 v5, v5, v31
	v_sub_f32_e32 v11, v13, v14
	v_fmac_f32_e32 v5, v6, v30
	v_sub_f32_e32 v9, v11, v12
	v_sub_f32_e32 v5, v8, v5
	;; [unrolled: 1-line block ×3, first 2 shown]
	v_mul_f32_e32 v8, v4, v5
	v_fma_f32 v8, v3, v6, -v8
	v_mul_f32_e32 v3, v3, v5
	v_fmac_f32_e32 v3, v4, v6
	buffer_store_dword v8, off, s[0:3], 0 offset:40
	buffer_store_dword v3, off, s[0:3], 0 offset:44
	buffer_load_dword v5, off, s[0:3], 0 offset:40
	buffer_load_dword v6, off, s[0:3], 0 offset:44
	v_mul_f32_e32 v8, v2, v21
	v_fma_f32 v8, v1, v20, -v8
	v_mul_f32_e32 v1, v1, v21
	v_fmac_f32_e32 v1, v2, v20
	s_waitcnt vmcnt(0)
	ds_write2_b64 v25, v[5:6], v[30:31] offset0:160 offset1:176
	buffer_load_dword v3, off, s[0:3], 0 offset:48
	buffer_load_dword v4, off, s[0:3], 0 offset:52
	s_waitcnt vmcnt(1)
	v_sub_f32_e32 v8, v3, v8
	s_waitcnt vmcnt(0)
	v_sub_f32_e32 v9, v4, v1
	ds_read2_b64 v[1:4], v7 offset0:157 offset1:158
	s_waitcnt lgkmcnt(0)
	v_mul_f32_e32 v10, v4, v23
	v_fma_f32 v10, v3, v22, -v10
	v_mul_f32_e32 v3, v3, v23
	v_fmac_f32_e32 v3, v4, v22
	v_sub_f32_e32 v4, v8, v10
	v_mul_f32_e32 v8, v2, v27
	v_fma_f32 v8, v1, v26, -v8
	v_mul_f32_e32 v1, v1, v27
	v_sub_f32_e32 v3, v9, v3
	v_fmac_f32_e32 v1, v2, v26
	v_sub_f32_e32 v8, v4, v8
	v_sub_f32_e32 v9, v3, v1
	ds_read2_b64 v[1:4], v7 offset0:155 offset1:156
	s_waitcnt lgkmcnt(0)
	v_mul_f32_e32 v10, v4, v29
	v_fma_f32 v10, v3, v28, -v10
	v_mul_f32_e32 v3, v3, v29
	v_fmac_f32_e32 v3, v4, v28
	v_sub_f32_e32 v4, v8, v10
	v_mul_f32_e32 v8, v2, v31
	v_fma_f32 v8, v1, v30, -v8
	v_mul_f32_e32 v1, v1, v31
	v_sub_f32_e32 v3, v9, v3
	v_fmac_f32_e32 v1, v2, v30
	v_sub_f32_e32 v8, v4, v8
	v_sub_f32_e32 v9, v3, v1
	ds_read2_b64 v[1:4], v7 offset0:153 offset1:154
	s_waitcnt lgkmcnt(0)
	v_mul_f32_e32 v10, v4, v6
	v_fma_f32 v10, v3, v5, -v10
	v_mul_f32_e32 v3, v3, v6
	v_fmac_f32_e32 v3, v4, v5
	v_sub_f32_e32 v3, v9, v3
	v_sub_f32_e32 v4, v8, v10
	v_mul_f32_e32 v8, v2, v3
	v_fma_f32 v8, v1, v4, -v8
	v_mul_f32_e32 v1, v1, v3
	v_fmac_f32_e32 v1, v2, v4
	buffer_store_dword v8, off, s[0:3], 0 offset:48
	buffer_store_dword v1, off, s[0:3], 0 offset:52
	buffer_load_dword v32, off, s[0:3], 0 offset:48
	buffer_load_dword v33, off, s[0:3], 0 offset:52
	;; [unrolled: 1-line block ×4, first 2 shown]
	ds_read_b128 v[1:4], v7 offset:1088
	ds_read_b128 v[8:11], v7 offset:1104
	;; [unrolled: 1-line block ×4, first 2 shown]
	s_waitcnt lgkmcnt(0)
	v_mul_f32_e32 v35, v19, v21
	v_fma_f32 v35, v18, v20, -v35
	v_mul_f32_e32 v18, v18, v21
	v_fmac_f32_e32 v18, v19, v20
	v_mul_f32_e32 v20, v17, v23
	v_fma_f32 v20, v16, v22, -v20
	v_mul_f32_e32 v16, v16, v23
	v_fmac_f32_e32 v16, v17, v22
	s_waitcnt vmcnt(1)
	v_sub_f32_e32 v19, v24, v35
	s_waitcnt vmcnt(0)
	v_sub_f32_e32 v18, v34, v18
	v_sub_f32_e32 v16, v18, v16
	v_mul_f32_e32 v18, v15, v27
	v_fma_f32 v18, v14, v26, -v18
	v_mul_f32_e32 v14, v14, v27
	v_fmac_f32_e32 v14, v15, v26
	v_sub_f32_e32 v14, v16, v14
	v_mul_f32_e32 v16, v13, v29
	v_fma_f32 v16, v12, v28, -v16
	v_mul_f32_e32 v12, v12, v29
	v_fmac_f32_e32 v12, v13, v28
	v_sub_f32_e32 v12, v14, v12
	v_mul_f32_e32 v14, v11, v31
	v_fma_f32 v14, v10, v30, -v14
	v_mul_f32_e32 v10, v10, v31
	v_fmac_f32_e32 v10, v11, v30
	v_sub_f32_e32 v17, v19, v20
	v_sub_f32_e32 v10, v12, v10
	v_mul_f32_e32 v12, v9, v6
	v_sub_f32_e32 v15, v17, v18
	v_fma_f32 v12, v8, v5, -v12
	v_mul_f32_e32 v6, v8, v6
	v_mul_f32_e32 v8, v4, v33
	v_sub_f32_e32 v13, v15, v16
	v_fmac_f32_e32 v6, v9, v5
	v_fma_f32 v8, v3, v32, -v8
	v_mul_f32_e32 v3, v3, v33
	v_sub_f32_e32 v11, v13, v14
	v_sub_f32_e32 v6, v10, v6
	v_fmac_f32_e32 v3, v4, v32
	v_sub_f32_e32 v5, v11, v12
	v_sub_f32_e32 v3, v6, v3
	;; [unrolled: 1-line block ×3, first 2 shown]
	v_mul_f32_e32 v5, v2, v3
	v_fma_f32 v5, v1, v4, -v5
	v_mul_f32_e32 v1, v1, v3
	v_fmac_f32_e32 v1, v2, v4
	buffer_store_dword v5, off, s[0:3], 0 offset:56
	buffer_store_dword v1, off, s[0:3], 0 offset:60
	buffer_load_dword v8, off, s[0:3], 0 offset:56
	buffer_load_dword v9, off, s[0:3], 0 offset:60
	s_waitcnt vmcnt(0)
	ds_write2_b64 v25, v[8:9], v[32:33] offset0:128 offset1:144
	buffer_load_dword v5, off, s[0:3], 0 offset:64
	buffer_load_dword v6, off, s[0:3], 0 offset:68
	ds_read2_b64 v[1:4], v7 offset0:95 offset1:127
	buffer_load_dword v10, off, s[0:3], 0
	buffer_load_dword v11, off, s[0:3], 0 offset:4
	buffer_load_dword v12, off, s[0:3], 0 offset:8
	buffer_load_dword v13, off, s[0:3], 0 offset:12
	buffer_load_dword v14, off, s[0:3], 0 offset:16
	buffer_load_dword v15, off, s[0:3], 0 offset:20
	buffer_load_dword v16, off, s[0:3], 0 offset:24
	buffer_load_dword v17, off, s[0:3], 0 offset:28
	buffer_load_dword v18, off, s[0:3], 0 offset:32
	buffer_load_dword v19, off, s[0:3], 0 offset:36
	buffer_load_dword v20, off, s[0:3], 0 offset:40
	buffer_load_dword v21, off, s[0:3], 0 offset:44
	s_waitcnt vmcnt(10) lgkmcnt(0)
	v_mul_f32_e32 v22, v4, v11
	v_fma_f32 v22, v3, v10, -v22
	v_mul_f32_e32 v3, v3, v11
	v_fmac_f32_e32 v3, v4, v10
	v_sub_f32_e32 v10, v5, v22
	v_sub_f32_e32 v11, v6, v3
	ds_read2_b64 v[3:6], v7 offset0:125 offset1:126
	s_waitcnt vmcnt(8) lgkmcnt(0)
	v_mul_f32_e32 v22, v6, v13
	v_fma_f32 v22, v5, v12, -v22
	v_mul_f32_e32 v5, v5, v13
	v_fmac_f32_e32 v5, v6, v12
	v_sub_f32_e32 v6, v10, v22
	s_waitcnt vmcnt(6)
	v_mul_f32_e32 v10, v4, v15
	v_fma_f32 v10, v3, v14, -v10
	v_mul_f32_e32 v3, v3, v15
	v_sub_f32_e32 v5, v11, v5
	v_fmac_f32_e32 v3, v4, v14
	v_sub_f32_e32 v10, v6, v10
	v_sub_f32_e32 v11, v5, v3
	ds_read2_b64 v[3:6], v7 offset0:123 offset1:124
	s_waitcnt vmcnt(4) lgkmcnt(0)
	v_mul_f32_e32 v12, v6, v17
	v_fma_f32 v12, v5, v16, -v12
	v_mul_f32_e32 v5, v5, v17
	v_fmac_f32_e32 v5, v6, v16
	v_sub_f32_e32 v6, v10, v12
	s_waitcnt vmcnt(2)
	v_mul_f32_e32 v10, v4, v19
	v_fma_f32 v10, v3, v18, -v10
	v_mul_f32_e32 v3, v3, v19
	v_sub_f32_e32 v5, v11, v5
	v_fmac_f32_e32 v3, v4, v18
	v_sub_f32_e32 v10, v6, v10
	v_sub_f32_e32 v11, v5, v3
	ds_read2_b64 v[3:6], v7 offset0:121 offset1:122
	s_waitcnt vmcnt(0) lgkmcnt(0)
	v_mul_f32_e32 v12, v6, v21
	v_fma_f32 v12, v5, v20, -v12
	v_mul_f32_e32 v5, v5, v21
	v_fmac_f32_e32 v5, v6, v20
	v_sub_f32_e32 v6, v10, v12
	v_mul_f32_e32 v10, v4, v33
	v_fma_f32 v10, v3, v32, -v10
	v_mul_f32_e32 v3, v3, v33
	v_sub_f32_e32 v5, v11, v5
	v_fmac_f32_e32 v3, v4, v32
	v_sub_f32_e32 v10, v6, v10
	v_sub_f32_e32 v11, v5, v3
	ds_read2_b64 v[3:6], v7 offset0:119 offset1:120
	s_waitcnt lgkmcnt(0)
	v_mul_f32_e32 v12, v6, v9
	v_fma_f32 v12, v5, v8, -v12
	v_mul_f32_e32 v5, v5, v9
	v_fmac_f32_e32 v5, v6, v8
	v_sub_f32_e32 v5, v11, v5
	v_sub_f32_e32 v6, v10, v12
	v_mul_f32_e32 v8, v4, v5
	v_fma_f32 v20, v3, v6, -v8
	v_mul_f32_e32 v21, v3, v5
	v_fmac_f32_e32 v21, v4, v6
	buffer_store_dword v20, off, s[0:3], 0 offset:64
	buffer_store_dword v21, off, s[0:3], 0 offset:68
	buffer_load_dword v8, off, s[0:3], 0 offset:72
	buffer_load_dword v9, off, s[0:3], 0 offset:76
	ds_read_b128 v[3:6], v7 offset:880
	buffer_load_dword v10, off, s[0:3], 0
	buffer_load_dword v11, off, s[0:3], 0 offset:4
	buffer_load_dword v12, off, s[0:3], 0 offset:8
	buffer_load_dword v13, off, s[0:3], 0 offset:12
	buffer_load_dword v22, off, s[0:3], 0 offset:16
	buffer_load_dword v23, off, s[0:3], 0 offset:20
	buffer_load_dword v24, off, s[0:3], 0 offset:24
	buffer_load_dword v26, off, s[0:3], 0 offset:28
	buffer_load_dword v27, off, s[0:3], 0 offset:32
	buffer_load_dword v28, off, s[0:3], 0 offset:36
	buffer_load_dword v29, off, s[0:3], 0 offset:40
	buffer_load_dword v30, off, s[0:3], 0 offset:44
	buffer_load_dword v31, off, s[0:3], 0 offset:48
	buffer_load_dword v32, off, s[0:3], 0 offset:52
	buffer_load_dword v33, off, s[0:3], 0 offset:56
	buffer_load_dword v34, off, s[0:3], 0 offset:60
	s_waitcnt vmcnt(14) lgkmcnt(0)
	v_mul_f32_e32 v14, v6, v11
	v_fma_f32 v14, v5, v10, -v14
	v_mul_f32_e32 v5, v5, v11
	v_fmac_f32_e32 v5, v6, v10
	v_sub_f32_e32 v6, v8, v14
	s_waitcnt vmcnt(12)
	v_mul_f32_e32 v8, v4, v13
	v_fma_f32 v8, v3, v12, -v8
	v_mul_f32_e32 v3, v3, v13
	v_sub_f32_e32 v5, v9, v5
	buffer_store_dword v6, off, s[0:3], 0 offset:72
	v_fmac_f32_e32 v3, v4, v12
	v_sub_f32_e32 v35, v6, v8
	v_sub_f32_e32 v36, v5, v3
	ds_read_b128 v[3:6], v7 offset:816
	ds_read_b128 v[8:11], v7 offset:832
	;; [unrolled: 1-line block ×4, first 2 shown]
	s_waitcnt vmcnt(11) lgkmcnt(0)
	v_mul_f32_e32 v37, v19, v23
	v_fma_f32 v37, v18, v22, -v37
	v_mul_f32_e32 v18, v18, v23
	v_fmac_f32_e32 v18, v19, v22
	s_waitcnt vmcnt(9)
	v_mul_f32_e32 v22, v17, v26
	v_fma_f32 v22, v16, v24, -v22
	v_mul_f32_e32 v16, v16, v26
	v_sub_f32_e32 v18, v36, v18
	v_fmac_f32_e32 v16, v17, v24
	v_sub_f32_e32 v16, v18, v16
	s_waitcnt vmcnt(7)
	v_mul_f32_e32 v18, v15, v28
	v_fma_f32 v18, v14, v27, -v18
	v_mul_f32_e32 v14, v14, v28
	v_fmac_f32_e32 v14, v15, v27
	v_sub_f32_e32 v14, v16, v14
	s_waitcnt vmcnt(5)
	v_mul_f32_e32 v16, v13, v30
	v_fma_f32 v16, v12, v29, -v16
	v_mul_f32_e32 v12, v12, v30
	;; [unrolled: 6-line block ×3, first 2 shown]
	v_fmac_f32_e32 v10, v11, v31
	v_sub_f32_e32 v10, v12, v10
	s_waitcnt vmcnt(1)
	v_mul_f32_e32 v12, v9, v34
	v_sub_f32_e32 v19, v35, v37
	v_fma_f32 v12, v8, v33, -v12
	v_mul_f32_e32 v8, v8, v34
	v_sub_f32_e32 v17, v19, v22
	v_fmac_f32_e32 v8, v9, v33
	v_sub_f32_e32 v15, v17, v18
	v_sub_f32_e32 v8, v10, v8
	v_mul_f32_e32 v10, v6, v21
	v_sub_f32_e32 v13, v15, v16
	v_fma_f32 v10, v5, v20, -v10
	v_mul_f32_e32 v5, v5, v21
	v_sub_f32_e32 v11, v13, v14
	v_fmac_f32_e32 v5, v6, v20
	v_sub_f32_e32 v9, v11, v12
	v_sub_f32_e32 v5, v8, v5
	v_sub_f32_e32 v9, v9, v10
	v_mul_f32_e32 v6, v4, v5
	v_fma_f32 v8, v3, v9, -v6
	v_mul_f32_e32 v6, v3, v5
	v_fmac_f32_e32 v6, v4, v9
	buffer_store_dword v8, off, s[0:3], 0 offset:72
	buffer_store_dword v6, off, s[0:3], 0 offset:76
	buffer_load_dword v5, off, s[0:3], 0 offset:72
	s_waitcnt vmcnt(0)
	ds_write2_b64 v25, v[5:6], v[20:21] offset0:96 offset1:112
	buffer_load_dword v3, off, s[0:3], 0 offset:80
	buffer_load_dword v4, off, s[0:3], 0 offset:84
	buffer_load_dword v8, off, s[0:3], 0
	buffer_load_dword v9, off, s[0:3], 0 offset:4
	s_waitcnt vmcnt(0)
	v_mul_f32_e32 v10, v2, v9
	v_fma_f32 v10, v1, v8, -v10
	v_mul_f32_e32 v1, v1, v9
	v_fmac_f32_e32 v1, v2, v8
	v_sub_f32_e32 v9, v4, v1
	buffer_store_dword v9, off, s[0:3], 0 offset:84
	v_sub_f32_e32 v8, v3, v10
	buffer_load_dword v10, off, s[0:3], 0 offset:8
	buffer_load_dword v11, off, s[0:3], 0 offset:12
	ds_read2_b64 v[1:4], v7 offset0:93 offset1:94
	s_waitcnt vmcnt(0) lgkmcnt(0)
	v_mul_f32_e32 v12, v4, v11
	v_fma_f32 v12, v3, v10, -v12
	v_mul_f32_e32 v3, v3, v11
	v_fmac_f32_e32 v3, v4, v10
	v_sub_f32_e32 v4, v8, v12
	buffer_store_dword v4, off, s[0:3], 0 offset:80
	v_sub_f32_e32 v3, v9, v3
	buffer_load_dword v8, off, s[0:3], 0 offset:16
	buffer_load_dword v9, off, s[0:3], 0 offset:20
	;; [unrolled: 1-line block ×14, first 2 shown]
	s_waitcnt vmcnt(12)
	v_mul_f32_e32 v22, v2, v9
	v_fma_f32 v22, v1, v8, -v22
	v_mul_f32_e32 v1, v1, v9
	v_fmac_f32_e32 v1, v2, v8
	v_sub_f32_e32 v8, v4, v22
	v_sub_f32_e32 v9, v3, v1
	ds_read2_b64 v[1:4], v7 offset0:91 offset1:92
	s_waitcnt vmcnt(10) lgkmcnt(0)
	v_mul_f32_e32 v22, v4, v11
	v_fma_f32 v22, v3, v10, -v22
	v_mul_f32_e32 v3, v3, v11
	v_fmac_f32_e32 v3, v4, v10
	v_sub_f32_e32 v4, v8, v22
	s_waitcnt vmcnt(8)
	v_mul_f32_e32 v8, v2, v13
	v_fma_f32 v8, v1, v12, -v8
	v_mul_f32_e32 v1, v1, v13
	v_sub_f32_e32 v3, v9, v3
	v_fmac_f32_e32 v1, v2, v12
	v_sub_f32_e32 v8, v4, v8
	v_sub_f32_e32 v9, v3, v1
	ds_read2_b64 v[1:4], v7 offset0:89 offset1:90
	s_waitcnt vmcnt(6) lgkmcnt(0)
	v_mul_f32_e32 v10, v4, v15
	v_fma_f32 v10, v3, v14, -v10
	v_mul_f32_e32 v3, v3, v15
	v_fmac_f32_e32 v3, v4, v14
	v_sub_f32_e32 v4, v8, v10
	s_waitcnt vmcnt(4)
	v_mul_f32_e32 v8, v2, v17
	v_fma_f32 v8, v1, v16, -v8
	v_mul_f32_e32 v1, v1, v17
	v_sub_f32_e32 v3, v9, v3
	;; [unrolled: 15-line block ×3, first 2 shown]
	v_fmac_f32_e32 v1, v2, v20
	v_sub_f32_e32 v8, v4, v8
	v_sub_f32_e32 v9, v3, v1
	ds_read2_b64 v[1:4], v7 offset0:85 offset1:86
	s_waitcnt lgkmcnt(0)
	v_mul_f32_e32 v10, v4, v6
	v_fma_f32 v10, v3, v5, -v10
	v_mul_f32_e32 v3, v3, v6
	v_fmac_f32_e32 v3, v4, v5
	v_sub_f32_e32 v3, v9, v3
	v_sub_f32_e32 v4, v8, v10
	v_mul_f32_e32 v5, v2, v3
	v_fma_f32 v5, v1, v4, -v5
	v_mul_f32_e32 v6, v1, v3
	v_fmac_f32_e32 v6, v2, v4
	buffer_store_dword v5, off, s[0:3], 0 offset:80
	buffer_store_dword v6, off, s[0:3], 0 offset:84
	buffer_load_dword v8, off, s[0:3], 0 offset:88
	buffer_load_dword v9, off, s[0:3], 0 offset:92
	ds_read_b128 v[1:4], v7 offset:624
	buffer_load_dword v10, off, s[0:3], 0
	buffer_load_dword v11, off, s[0:3], 0 offset:4
	buffer_load_dword v12, off, s[0:3], 0 offset:8
	;; [unrolled: 1-line block ×15, first 2 shown]
	s_waitcnt vmcnt(14) lgkmcnt(0)
	v_mul_f32_e32 v18, v4, v11
	v_fma_f32 v18, v3, v10, -v18
	v_mul_f32_e32 v3, v3, v11
	v_fmac_f32_e32 v3, v4, v10
	v_sub_f32_e32 v4, v8, v18
	s_waitcnt vmcnt(12)
	v_mul_f32_e32 v8, v2, v13
	v_fma_f32 v8, v1, v12, -v8
	v_mul_f32_e32 v1, v1, v13
	v_sub_f32_e32 v3, v9, v3
	v_fmac_f32_e32 v1, v2, v12
	v_sub_f32_e32 v8, v4, v8
	v_sub_f32_e32 v9, v3, v1
	ds_read_b128 v[1:4], v7 offset:608
	s_waitcnt vmcnt(10) lgkmcnt(0)
	v_mul_f32_e32 v10, v4, v15
	v_fma_f32 v10, v3, v14, -v10
	v_mul_f32_e32 v3, v3, v15
	v_fmac_f32_e32 v3, v4, v14
	v_sub_f32_e32 v4, v8, v10
	s_waitcnt vmcnt(8)
	v_mul_f32_e32 v8, v2, v17
	v_fma_f32 v8, v1, v16, -v8
	v_mul_f32_e32 v1, v1, v17
	v_sub_f32_e32 v3, v9, v3
	v_fmac_f32_e32 v1, v2, v16
	v_sub_f32_e32 v29, v4, v8
	v_sub_f32_e32 v30, v3, v1
	ds_read_b128 v[1:4], v7 offset:544
	ds_read_b128 v[8:11], v7 offset:560
	;; [unrolled: 1-line block ×4, first 2 shown]
	s_waitcnt vmcnt(6) lgkmcnt(0)
	v_mul_f32_e32 v31, v19, v21
	v_fma_f32 v31, v18, v20, -v31
	v_mul_f32_e32 v18, v18, v21
	v_fmac_f32_e32 v18, v19, v20
	s_waitcnt vmcnt(4)
	v_mul_f32_e32 v20, v17, v23
	v_fma_f32 v20, v16, v22, -v20
	v_mul_f32_e32 v16, v16, v23
	v_sub_f32_e32 v18, v30, v18
	v_fmac_f32_e32 v16, v17, v22
	v_sub_f32_e32 v16, v18, v16
	s_waitcnt vmcnt(2)
	v_mul_f32_e32 v18, v15, v26
	v_fma_f32 v18, v14, v24, -v18
	v_mul_f32_e32 v14, v14, v26
	v_fmac_f32_e32 v14, v15, v24
	v_sub_f32_e32 v19, v29, v31
	v_sub_f32_e32 v14, v16, v14
	s_waitcnt vmcnt(0)
	v_mul_f32_e32 v16, v13, v28
	v_sub_f32_e32 v17, v19, v20
	v_fma_f32 v16, v12, v27, -v16
	v_mul_f32_e32 v12, v12, v28
	v_sub_f32_e32 v15, v17, v18
	v_fmac_f32_e32 v12, v13, v27
	v_sub_f32_e32 v13, v15, v16
	v_sub_f32_e32 v12, v14, v12
	buffer_load_dword v14, off, s[0:3], 0 offset:64
	buffer_load_dword v15, off, s[0:3], 0 offset:68
	s_waitcnt vmcnt(0)
	v_mul_f32_e32 v16, v11, v15
	v_fma_f32 v16, v10, v14, -v16
	v_mul_f32_e32 v10, v10, v15
	v_fmac_f32_e32 v10, v11, v14
	v_sub_f32_e32 v11, v13, v16
	v_sub_f32_e32 v10, v12, v10
	buffer_load_dword v12, off, s[0:3], 0 offset:72
	buffer_load_dword v13, off, s[0:3], 0 offset:76
	s_waitcnt vmcnt(0)
	v_mul_f32_e32 v14, v9, v13
	v_fma_f32 v14, v8, v12, -v14
	v_mul_f32_e32 v8, v8, v13
	v_fmac_f32_e32 v8, v9, v12
	v_sub_f32_e32 v8, v10, v8
	v_mul_f32_e32 v10, v4, v6
	v_fma_f32 v10, v3, v5, -v10
	v_mul_f32_e32 v3, v3, v6
	v_fmac_f32_e32 v3, v4, v5
	v_sub_f32_e32 v9, v11, v14
	v_sub_f32_e32 v3, v8, v3
	;; [unrolled: 1-line block ×3, first 2 shown]
	v_mul_f32_e32 v8, v2, v3
	v_mul_f32_e32 v9, v1, v3
	v_fma_f32 v8, v1, v4, -v8
	v_fmac_f32_e32 v9, v2, v4
	buffer_store_dword v8, off, s[0:3], 0 offset:88
	buffer_store_dword v9, off, s[0:3], 0 offset:92
	ds_write2_b64 v25, v[8:9], v[5:6] offset0:64 offset1:80
	buffer_load_dword v5, off, s[0:3], 0 offset:96
	buffer_load_dword v6, off, s[0:3], 0 offset:100
	ds_read2_b64 v[1:4], v7 offset0:31 offset1:63
	buffer_load_dword v10, off, s[0:3], 0
	buffer_load_dword v11, off, s[0:3], 0 offset:4
	buffer_load_dword v12, off, s[0:3], 0 offset:8
	buffer_load_dword v13, off, s[0:3], 0 offset:12
	buffer_load_dword v14, off, s[0:3], 0 offset:16
	buffer_load_dword v15, off, s[0:3], 0 offset:20
	buffer_load_dword v16, off, s[0:3], 0 offset:24
	buffer_load_dword v17, off, s[0:3], 0 offset:28
	s_waitcnt vmcnt(6) lgkmcnt(0)
	v_mul_f32_e32 v18, v4, v11
	v_fma_f32 v18, v3, v10, -v18
	v_mul_f32_e32 v3, v3, v11
	v_fmac_f32_e32 v3, v4, v10
	v_sub_f32_e32 v10, v5, v18
	v_sub_f32_e32 v11, v6, v3
	ds_read2_b64 v[3:6], v7 offset0:61 offset1:62
	s_waitcnt vmcnt(4) lgkmcnt(0)
	v_mul_f32_e32 v18, v6, v13
	v_fma_f32 v18, v5, v12, -v18
	v_mul_f32_e32 v5, v5, v13
	v_fmac_f32_e32 v5, v6, v12
	v_sub_f32_e32 v6, v10, v18
	s_waitcnt vmcnt(2)
	v_mul_f32_e32 v10, v4, v15
	v_fma_f32 v10, v3, v14, -v10
	v_mul_f32_e32 v3, v3, v15
	v_sub_f32_e32 v5, v11, v5
	v_fmac_f32_e32 v3, v4, v14
	v_sub_f32_e32 v10, v6, v10
	v_sub_f32_e32 v11, v5, v3
	ds_read2_b64 v[3:6], v7 offset0:59 offset1:60
	buffer_store_dword v11, off, s[0:3], 0 offset:100
	s_waitcnt vmcnt(1) lgkmcnt(0)
	v_mul_f32_e32 v12, v6, v17
	v_fma_f32 v12, v5, v16, -v12
	v_mul_f32_e32 v5, v5, v17
	v_fmac_f32_e32 v5, v6, v16
	v_sub_f32_e32 v6, v10, v12
	buffer_store_dword v6, off, s[0:3], 0 offset:96
	v_sub_f32_e32 v5, v11, v5
	buffer_load_dword v10, off, s[0:3], 0 offset:32
	buffer_load_dword v11, off, s[0:3], 0 offset:36
	;; [unrolled: 1-line block ×14, first 2 shown]
	s_waitcnt vmcnt(12)
	v_mul_f32_e32 v24, v4, v11
	v_fma_f32 v24, v3, v10, -v24
	v_mul_f32_e32 v3, v3, v11
	v_fmac_f32_e32 v3, v4, v10
	v_sub_f32_e32 v10, v6, v24
	v_sub_f32_e32 v11, v5, v3
	ds_read2_b64 v[3:6], v7 offset0:57 offset1:58
	s_waitcnt vmcnt(10) lgkmcnt(0)
	v_mul_f32_e32 v24, v6, v13
	v_fma_f32 v24, v5, v12, -v24
	v_mul_f32_e32 v5, v5, v13
	v_fmac_f32_e32 v5, v6, v12
	v_sub_f32_e32 v6, v10, v24
	s_waitcnt vmcnt(8)
	v_mul_f32_e32 v10, v4, v15
	v_fma_f32 v10, v3, v14, -v10
	v_mul_f32_e32 v3, v3, v15
	v_sub_f32_e32 v5, v11, v5
	v_fmac_f32_e32 v3, v4, v14
	v_sub_f32_e32 v10, v6, v10
	v_sub_f32_e32 v11, v5, v3
	ds_read2_b64 v[3:6], v7 offset0:55 offset1:56
	s_waitcnt vmcnt(6) lgkmcnt(0)
	v_mul_f32_e32 v12, v6, v17
	v_fma_f32 v12, v5, v16, -v12
	v_mul_f32_e32 v5, v5, v17
	v_fmac_f32_e32 v5, v6, v16
	v_sub_f32_e32 v6, v10, v12
	s_waitcnt vmcnt(4)
	v_mul_f32_e32 v10, v4, v19
	v_fma_f32 v10, v3, v18, -v10
	v_mul_f32_e32 v3, v3, v19
	v_sub_f32_e32 v5, v11, v5
	;; [unrolled: 15-line block ×3, first 2 shown]
	v_fmac_f32_e32 v3, v4, v22
	v_sub_f32_e32 v10, v6, v10
	v_sub_f32_e32 v11, v5, v3
	ds_read2_b64 v[3:6], v7 offset0:51 offset1:52
	s_waitcnt lgkmcnt(0)
	v_mul_f32_e32 v12, v6, v9
	v_fma_f32 v12, v5, v8, -v12
	v_mul_f32_e32 v5, v5, v9
	v_fmac_f32_e32 v5, v6, v8
	v_sub_f32_e32 v5, v11, v5
	v_sub_f32_e32 v6, v10, v12
	v_mul_f32_e32 v8, v4, v5
	v_fma_f32 v20, v3, v6, -v8
	v_mul_f32_e32 v21, v3, v5
	v_fmac_f32_e32 v21, v4, v6
	buffer_store_dword v20, off, s[0:3], 0 offset:96
	buffer_store_dword v21, off, s[0:3], 0 offset:100
	buffer_load_dword v16, off, s[0:3], 0 offset:104
	buffer_load_dword v17, off, s[0:3], 0 offset:108
	ds_read_b128 v[3:6], v7 offset:336
	ds_read_b128 v[8:11], v7 offset:352
	;; [unrolled: 1-line block ×3, first 2 shown]
	buffer_load_dword v18, off, s[0:3], 0
	buffer_load_dword v19, off, s[0:3], 0 offset:4
	buffer_load_dword v22, off, s[0:3], 0 offset:8
	;; [unrolled: 1-line block ×9, first 2 shown]
	s_waitcnt vmcnt(8) lgkmcnt(0)
	v_mul_f32_e32 v31, v15, v19
	v_fma_f32 v31, v14, v18, -v31
	v_mul_f32_e32 v14, v14, v19
	v_fmac_f32_e32 v14, v15, v18
	v_sub_f32_e32 v15, v16, v31
	s_waitcnt vmcnt(6)
	v_mul_f32_e32 v16, v13, v23
	v_fma_f32 v16, v12, v22, -v16
	v_mul_f32_e32 v12, v12, v23
	v_sub_f32_e32 v14, v17, v14
	v_fmac_f32_e32 v12, v13, v22
	v_sub_f32_e32 v12, v14, v12
	s_waitcnt vmcnt(4)
	v_mul_f32_e32 v14, v11, v26
	v_fma_f32 v14, v10, v24, -v14
	v_mul_f32_e32 v10, v10, v26
	v_fmac_f32_e32 v10, v11, v24
	v_sub_f32_e32 v10, v12, v10
	s_waitcnt vmcnt(2)
	v_mul_f32_e32 v12, v9, v28
	v_fma_f32 v12, v8, v27, -v12
	v_mul_f32_e32 v8, v8, v28
	v_sub_f32_e32 v13, v15, v16
	v_fmac_f32_e32 v8, v9, v27
	v_sub_f32_e32 v11, v13, v14
	v_sub_f32_e32 v8, v10, v8
	s_waitcnt vmcnt(0)
	v_mul_f32_e32 v10, v6, v30
	v_sub_f32_e32 v9, v11, v12
	v_fma_f32 v10, v5, v29, -v10
	v_mul_f32_e32 v5, v5, v30
	v_fmac_f32_e32 v5, v6, v29
	v_sub_f32_e32 v6, v9, v10
	buffer_store_dword v8, off, s[0:3], 0 offset:108
	buffer_store_dword v6, off, s[0:3], 0 offset:104
	v_sub_f32_e32 v5, v8, v5
	buffer_load_dword v8, off, s[0:3], 0 offset:40
	buffer_load_dword v9, off, s[0:3], 0 offset:44
	buffer_load_dword v22, off, s[0:3], 0 offset:48
	buffer_load_dword v23, off, s[0:3], 0 offset:52
	buffer_load_dword v24, off, s[0:3], 0 offset:56
	buffer_load_dword v26, off, s[0:3], 0 offset:60
	buffer_load_dword v27, off, s[0:3], 0 offset:64
	buffer_load_dword v28, off, s[0:3], 0 offset:68
	buffer_load_dword v29, off, s[0:3], 0 offset:72
	buffer_load_dword v30, off, s[0:3], 0 offset:76
	buffer_load_dword v31, off, s[0:3], 0 offset:80
	buffer_load_dword v32, off, s[0:3], 0 offset:84
	buffer_load_dword v33, off, s[0:3], 0 offset:88
	buffer_load_dword v34, off, s[0:3], 0 offset:92
	s_waitcnt vmcnt(12)
	v_mul_f32_e32 v10, v4, v9
	v_fma_f32 v10, v3, v8, -v10
	v_mul_f32_e32 v3, v3, v9
	v_fmac_f32_e32 v3, v4, v8
	v_sub_f32_e32 v35, v6, v10
	v_sub_f32_e32 v36, v5, v3
	ds_read_b128 v[3:6], v7 offset:272
	ds_read_b128 v[8:11], v7 offset:288
	;; [unrolled: 1-line block ×4, first 2 shown]
	s_waitcnt vmcnt(10) lgkmcnt(0)
	v_mul_f32_e32 v37, v19, v23
	v_fma_f32 v37, v18, v22, -v37
	v_mul_f32_e32 v18, v18, v23
	v_fmac_f32_e32 v18, v19, v22
	s_waitcnt vmcnt(8)
	v_mul_f32_e32 v22, v17, v26
	v_fma_f32 v22, v16, v24, -v22
	v_mul_f32_e32 v16, v16, v26
	v_sub_f32_e32 v18, v36, v18
	v_fmac_f32_e32 v16, v17, v24
	v_sub_f32_e32 v16, v18, v16
	s_waitcnt vmcnt(6)
	v_mul_f32_e32 v18, v15, v28
	v_fma_f32 v18, v14, v27, -v18
	v_mul_f32_e32 v14, v14, v28
	v_fmac_f32_e32 v14, v15, v27
	v_sub_f32_e32 v14, v16, v14
	s_waitcnt vmcnt(4)
	v_mul_f32_e32 v16, v13, v30
	v_fma_f32 v16, v12, v29, -v16
	v_mul_f32_e32 v12, v12, v30
	v_fmac_f32_e32 v12, v13, v29
	v_sub_f32_e32 v12, v14, v12
	s_waitcnt vmcnt(2)
	v_mul_f32_e32 v14, v11, v32
	v_fma_f32 v14, v10, v31, -v14
	v_mul_f32_e32 v10, v10, v32
	v_fmac_f32_e32 v10, v11, v31
	v_sub_f32_e32 v10, v12, v10
	s_waitcnt vmcnt(0)
	v_mul_f32_e32 v12, v9, v34
	v_sub_f32_e32 v19, v35, v37
	v_fma_f32 v12, v8, v33, -v12
	v_mul_f32_e32 v8, v8, v34
	v_sub_f32_e32 v17, v19, v22
	v_fmac_f32_e32 v8, v9, v33
	v_sub_f32_e32 v15, v17, v18
	v_sub_f32_e32 v8, v10, v8
	v_mul_f32_e32 v10, v6, v21
	v_sub_f32_e32 v13, v15, v16
	v_fma_f32 v10, v5, v20, -v10
	v_mul_f32_e32 v5, v5, v21
	v_sub_f32_e32 v11, v13, v14
	v_fmac_f32_e32 v5, v6, v20
	v_sub_f32_e32 v9, v11, v12
	v_sub_f32_e32 v6, v8, v5
	v_sub_f32_e32 v9, v9, v10
	v_mul_f32_e32 v5, v4, v6
	v_mul_f32_e32 v6, v3, v6
	v_fma_f32 v5, v3, v9, -v5
	v_fmac_f32_e32 v6, v4, v9
	buffer_store_dword v5, off, s[0:3], 0 offset:104
	buffer_store_dword v6, off, s[0:3], 0 offset:108
	ds_write2_b64 v25, v[5:6], v[20:21] offset0:32 offset1:48
	buffer_load_dword v3, off, s[0:3], 0 offset:112
	buffer_load_dword v4, off, s[0:3], 0 offset:116
	buffer_load_dword v5, off, s[0:3], 0
	buffer_load_dword v6, off, s[0:3], 0 offset:4
	buffer_load_dword v8, off, s[0:3], 0 offset:8
	;; [unrolled: 1-line block ×9, first 2 shown]
	s_waitcnt vmcnt(8)
	v_mul_f32_e32 v16, v2, v6
	v_fma_f32 v16, v1, v5, -v16
	v_mul_f32_e32 v1, v1, v6
	v_fmac_f32_e32 v1, v2, v5
	v_sub_f32_e32 v5, v3, v16
	v_sub_f32_e32 v6, v4, v1
	ds_read2_b64 v[1:4], v7 offset0:29 offset1:30
	s_waitcnt vmcnt(6) lgkmcnt(0)
	v_mul_f32_e32 v16, v4, v9
	v_fma_f32 v16, v3, v8, -v16
	v_mul_f32_e32 v3, v3, v9
	v_fmac_f32_e32 v3, v4, v8
	v_sub_f32_e32 v4, v5, v16
	s_waitcnt vmcnt(4)
	v_mul_f32_e32 v5, v2, v11
	v_fma_f32 v5, v1, v10, -v5
	v_mul_f32_e32 v1, v1, v11
	v_sub_f32_e32 v3, v6, v3
	v_fmac_f32_e32 v1, v2, v10
	v_sub_f32_e32 v5, v4, v5
	v_sub_f32_e32 v6, v3, v1
	ds_read2_b64 v[1:4], v7 offset0:27 offset1:28
	s_waitcnt vmcnt(2) lgkmcnt(0)
	v_mul_f32_e32 v8, v4, v13
	v_fma_f32 v8, v3, v12, -v8
	v_mul_f32_e32 v3, v3, v13
	v_fmac_f32_e32 v3, v4, v12
	v_sub_f32_e32 v4, v5, v8
	s_waitcnt vmcnt(0)
	v_mul_f32_e32 v5, v2, v15
	v_fma_f32 v5, v1, v14, -v5
	v_mul_f32_e32 v1, v1, v15
	v_sub_f32_e32 v3, v6, v3
	v_fmac_f32_e32 v1, v2, v14
	v_sub_f32_e32 v6, v3, v1
	buffer_store_dword v6, off, s[0:3], 0 offset:116
	buffer_load_dword v8, off, s[0:3], 0 offset:40
	buffer_load_dword v9, off, s[0:3], 0 offset:44
	v_sub_f32_e32 v5, v4, v5
	ds_read2_b64 v[1:4], v7 offset0:25 offset1:26
	s_waitcnt vmcnt(0) lgkmcnt(0)
	v_mul_f32_e32 v10, v4, v9
	v_fma_f32 v10, v3, v8, -v10
	v_mul_f32_e32 v3, v3, v9
	v_fmac_f32_e32 v3, v4, v8
	v_sub_f32_e32 v4, v5, v10
	buffer_store_dword v4, off, s[0:3], 0 offset:112
	v_sub_f32_e32 v3, v6, v3
	buffer_load_dword v5, off, s[0:3], 0 offset:48
	buffer_load_dword v6, off, s[0:3], 0 offset:52
	;; [unrolled: 1-line block ×16, first 2 shown]
	s_waitcnt vmcnt(14)
	v_mul_f32_e32 v22, v2, v6
	v_fma_f32 v22, v1, v5, -v22
	v_mul_f32_e32 v1, v1, v6
	v_fmac_f32_e32 v1, v2, v5
	v_sub_f32_e32 v5, v4, v22
	v_sub_f32_e32 v6, v3, v1
	ds_read2_b64 v[1:4], v7 offset0:23 offset1:24
	s_waitcnt vmcnt(12) lgkmcnt(0)
	v_mul_f32_e32 v22, v4, v9
	v_fma_f32 v22, v3, v8, -v22
	v_mul_f32_e32 v3, v3, v9
	v_fmac_f32_e32 v3, v4, v8
	v_sub_f32_e32 v4, v5, v22
	s_waitcnt vmcnt(10)
	v_mul_f32_e32 v5, v2, v11
	v_fma_f32 v5, v1, v10, -v5
	v_mul_f32_e32 v1, v1, v11
	v_sub_f32_e32 v3, v6, v3
	v_fmac_f32_e32 v1, v2, v10
	v_sub_f32_e32 v5, v4, v5
	v_sub_f32_e32 v6, v3, v1
	ds_read2_b64 v[1:4], v7 offset0:21 offset1:22
	s_waitcnt vmcnt(8) lgkmcnt(0)
	v_mul_f32_e32 v8, v4, v13
	v_fma_f32 v8, v3, v12, -v8
	v_mul_f32_e32 v3, v3, v13
	v_fmac_f32_e32 v3, v4, v12
	v_sub_f32_e32 v4, v5, v8
	s_waitcnt vmcnt(6)
	v_mul_f32_e32 v5, v2, v15
	v_fma_f32 v5, v1, v14, -v5
	v_mul_f32_e32 v1, v1, v15
	v_sub_f32_e32 v3, v6, v3
	;; [unrolled: 15-line block ×3, first 2 shown]
	v_fmac_f32_e32 v1, v2, v18
	v_sub_f32_e32 v5, v4, v5
	v_sub_f32_e32 v6, v3, v1
	ds_read2_b64 v[1:4], v7 offset0:17 offset1:18
	s_waitcnt vmcnt(0) lgkmcnt(0)
	v_mul_f32_e32 v8, v4, v21
	v_fma_f32 v8, v3, v20, -v8
	v_mul_f32_e32 v3, v3, v21
	v_fmac_f32_e32 v3, v4, v20
	v_sub_f32_e32 v3, v6, v3
	v_sub_f32_e32 v4, v5, v8
	v_mul_f32_e32 v5, v2, v3
	v_fma_f32 v5, v1, v4, -v5
	v_mul_f32_e32 v6, v1, v3
	v_fmac_f32_e32 v6, v2, v4
	buffer_store_dword v5, off, s[0:3], 0 offset:112
	buffer_store_dword v6, off, s[0:3], 0 offset:116
	buffer_load_dword v16, off, s[0:3], 0 offset:120
	buffer_load_dword v17, off, s[0:3], 0 offset:124
	ds_read_b128 v[1:4], v7 offset:80
	ds_read_b128 v[8:11], v7 offset:96
	ds_read_b128 v[12:15], v7 offset:112
	buffer_load_dword v18, off, s[0:3], 0
	buffer_load_dword v19, off, s[0:3], 0 offset:4
	buffer_load_dword v20, off, s[0:3], 0 offset:8
	;; [unrolled: 1-line block ×11, first 2 shown]
	s_waitcnt vmcnt(10) lgkmcnt(0)
	v_mul_f32_e32 v31, v15, v19
	v_fma_f32 v31, v14, v18, -v31
	v_mul_f32_e32 v14, v14, v19
	v_fmac_f32_e32 v14, v15, v18
	v_sub_f32_e32 v15, v16, v31
	s_waitcnt vmcnt(8)
	v_mul_f32_e32 v16, v13, v21
	v_fma_f32 v16, v12, v20, -v16
	v_mul_f32_e32 v12, v12, v21
	v_sub_f32_e32 v14, v17, v14
	v_fmac_f32_e32 v12, v13, v20
	v_sub_f32_e32 v12, v14, v12
	s_waitcnt vmcnt(6)
	v_mul_f32_e32 v14, v11, v23
	v_fma_f32 v14, v10, v22, -v14
	v_mul_f32_e32 v10, v10, v23
	v_fmac_f32_e32 v10, v11, v22
	v_sub_f32_e32 v10, v12, v10
	s_waitcnt vmcnt(4)
	v_mul_f32_e32 v12, v9, v26
	v_fma_f32 v12, v8, v24, -v12
	v_mul_f32_e32 v8, v8, v26
	;; [unrolled: 6-line block ×3, first 2 shown]
	v_sub_f32_e32 v13, v15, v16
	v_fmac_f32_e32 v3, v4, v27
	v_sub_f32_e32 v11, v13, v14
	v_sub_f32_e32 v3, v8, v3
	s_waitcnt vmcnt(0)
	v_mul_f32_e32 v8, v2, v30
	v_sub_f32_e32 v9, v11, v12
	v_fma_f32 v8, v1, v29, -v8
	v_mul_f32_e32 v1, v1, v30
	v_sub_f32_e32 v4, v9, v10
	v_fmac_f32_e32 v1, v2, v29
	v_sub_f32_e32 v8, v4, v8
	v_sub_f32_e32 v9, v3, v1
	ds_read_b128 v[1:4], v7 offset:64
	buffer_load_dword v10, off, s[0:3], 0 offset:48
	buffer_load_dword v12, off, s[0:3], 0 offset:52
	;; [unrolled: 1-line block ×16, first 2 shown]
	s_waitcnt vmcnt(14) lgkmcnt(0)
	v_mul_f32_e32 v14, v4, v12
	v_fma_f32 v14, v3, v10, -v14
	v_mul_f32_e32 v3, v3, v12
	v_fmac_f32_e32 v3, v4, v10
	v_sub_f32_e32 v4, v8, v14
	s_waitcnt vmcnt(12)
	v_mul_f32_e32 v8, v2, v13
	v_fma_f32 v8, v1, v11, -v8
	v_mul_f32_e32 v1, v1, v13
	v_sub_f32_e32 v3, v9, v3
	v_fmac_f32_e32 v1, v2, v11
	v_sub_f32_e32 v33, v4, v8
	v_sub_f32_e32 v34, v3, v1
	ds_read_b128 v[1:4], v7
	ds_read_b128 v[8:11], v7 offset:16
	ds_read_b128 v[12:15], v7 offset:32
	;; [unrolled: 1-line block ×3, first 2 shown]
	s_waitcnt vmcnt(10) lgkmcnt(0)
	v_mul_f32_e32 v7, v19, v21
	v_fma_f32 v7, v18, v20, -v7
	v_mul_f32_e32 v18, v18, v21
	v_fmac_f32_e32 v18, v19, v20
	s_waitcnt vmcnt(8)
	v_mul_f32_e32 v19, v17, v23
	v_fma_f32 v19, v16, v22, -v19
	v_mul_f32_e32 v16, v16, v23
	v_fmac_f32_e32 v16, v17, v22
	s_waitcnt vmcnt(6)
	;; [unrolled: 5-line block ×3, first 2 shown]
	v_mul_f32_e32 v15, v13, v28
	v_fma_f32 v15, v12, v27, -v15
	v_mul_f32_e32 v12, v12, v28
	v_sub_f32_e32 v18, v34, v18
	v_fmac_f32_e32 v12, v13, v27
	s_waitcnt vmcnt(2)
	v_mul_f32_e32 v13, v11, v30
	v_sub_f32_e32 v16, v18, v16
	v_fma_f32 v13, v10, v29, -v13
	v_mul_f32_e32 v10, v10, v30
	v_sub_f32_e32 v14, v16, v14
	v_fmac_f32_e32 v10, v11, v29
	s_waitcnt vmcnt(0)
	v_mul_f32_e32 v11, v9, v32
	v_sub_f32_e32 v12, v14, v12
	v_fma_f32 v11, v8, v31, -v11
	v_mul_f32_e32 v8, v8, v32
	v_sub_f32_e32 v10, v12, v10
	v_fmac_f32_e32 v8, v9, v31
	v_sub_f32_e32 v8, v10, v8
	buffer_load_dword v9, off, s[0:3], 0 offset:112
	buffer_load_dword v10, off, s[0:3], 0 offset:116
	v_sub_f32_e32 v7, v33, v7
	v_sub_f32_e32 v7, v7, v19
	;; [unrolled: 1-line block ×6, first 2 shown]
	s_waitcnt vmcnt(0)
	v_mul_f32_e32 v11, v4, v10
	v_fma_f32 v11, v3, v9, -v11
	v_mul_f32_e32 v3, v3, v10
	v_fmac_f32_e32 v3, v4, v9
	v_sub_f32_e32 v4, v8, v3
	v_sub_f32_e32 v7, v7, v11
	v_mul_f32_e32 v3, v2, v4
	v_mul_f32_e32 v4, v1, v4
	v_fma_f32 v3, v1, v7, -v3
	v_fmac_f32_e32 v4, v2, v7
	buffer_store_dword v3, off, s[0:3], 0 offset:120
	buffer_store_dword v4, off, s[0:3], 0 offset:124
	ds_write2_b64 v25, v[3:4], v[5:6] offset1:16
.LBB150_21:
	s_cmp_gt_i32 s14, -1
	s_cbranch_scc0 .LBB150_46
; %bb.22:
	s_cmp_lt_u32 s14, 11
	s_cbranch_scc1 .LBB150_30
; %bb.23:
	s_lshl_b32 s15, s14, 7
	v_add_u32_e32 v26, s15, v25
	v_add_u32_e32 v1, 0xffffff80, v26
	v_add_u32_e32 v2, 0xffffff00, v26
	ds_read_b64 v[3:4], v26
	v_add_u32_e32 v7, 0xfffffe80, v26
	ds_read_b64 v[23:24], v1
	ds_read_b64 v[5:6], v2
	;; [unrolled: 1-line block ×3, first 2 shown]
	v_add_u32_e32 v7, 0xfffffe00, v26
	s_waitcnt lgkmcnt(3)
	buffer_store_dword v4, off, s[0:3], 0 offset:4
	buffer_store_dword v3, off, s[0:3], 0
	s_waitcnt lgkmcnt(2)
	buffer_store_dword v24, off, s[0:3], 0 offset:12
	buffer_store_dword v23, off, s[0:3], 0 offset:8
	s_waitcnt lgkmcnt(1)
	buffer_store_dword v6, off, s[0:3], 0 offset:20
	buffer_store_dword v5, off, s[0:3], 0 offset:16
	;; [unrolled: 3-line block ×3, first 2 shown]
	v_add_u32_e32 v9, 0xfffffd80, v26
	v_add_u32_e32 v10, 0xfffffd00, v26
	ds_read_b64 v[7:8], v7
	v_add_u32_e32 v15, 0xfffffc80, v26
	ds_read_b64 v[13:14], v9
	ds_read_b64 v[11:12], v10
	;; [unrolled: 1-line block ×3, first 2 shown]
	s_waitcnt lgkmcnt(3)
	buffer_store_dword v8, off, s[0:3], 0 offset:36
	buffer_store_dword v7, off, s[0:3], 0 offset:32
	s_waitcnt lgkmcnt(2)
	buffer_store_dword v14, off, s[0:3], 0 offset:44
	buffer_store_dword v13, off, s[0:3], 0 offset:40
	;; [unrolled: 3-line block ×4, first 2 shown]
	v_add_u32_e32 v15, 0xfffffc00, v26
	v_add_u32_e32 v17, 0xfffffb80, v26
	v_add_u32_e32 v18, 0xfffffb00, v26
	ds_read_b64 v[15:16], v15
	v_add_u32_e32 v27, 0xfffffa80, v26
	ds_read_b64 v[21:22], v17
	ds_read_b64 v[19:20], v18
	;; [unrolled: 1-line block ×3, first 2 shown]
	s_cmp_gt_i32 s9, s14
	s_waitcnt lgkmcnt(3)
	buffer_store_dword v16, off, s[0:3], 0 offset:68
	buffer_store_dword v15, off, s[0:3], 0 offset:64
	s_waitcnt lgkmcnt(2)
	buffer_store_dword v21, off, s[0:3], 0 offset:72
	buffer_store_dword v22, off, s[0:3], 0 offset:76
	;; [unrolled: 3-line block ×4, first 2 shown]
	s_cbranch_scc1 .LBB150_25
; %bb.24:
	buffer_load_dword v29, off, s[0:3], 0 offset:4
	buffer_load_dword v27, off, s[0:3], 0 offset:8
	buffer_load_dword v28, off, s[0:3], 0 offset:12
	s_cbranch_execz .LBB150_26
	s_branch .LBB150_29
.LBB150_25:
                                        ; implicit-def: $vgpr29
                                        ; implicit-def: $vgpr27
                                        ; implicit-def: $vgpr28
	s_andn2_b64 vcc, exec, s[12:13]
	s_cbranch_vccnz .LBB150_29
.LBB150_26:
	s_waitcnt vmcnt(1)
	v_lshlrev_b32_e32 v27, 3, v0
	s_lshl_b32 s12, s26, 3
	v_lshl_or_b32 v27, s26, 7, v27
	s_add_i32 s12, s15, s12
	v_add_u32_e32 v30, 0x780, v27
	s_addk_i32 s12, 0xfa78
	s_waitcnt vmcnt(0)
	v_mov_b32_e32 v28, v24
	v_mov_b32_e32 v27, v23
	;; [unrolled: 1-line block ×3, first 2 shown]
	s_mov_b32 s13, s9
.LBB150_27:                             ; =>This Inner Loop Header: Depth=1
	ds_read_b64 v[23:24], v30
	v_mov_b32_e32 v4, s12
	ds_read2_b64 v[31:34], v4 offset0:160 offset1:176
	ds_read2_b64 v[35:38], v4 offset0:128 offset1:144
	;; [unrolled: 1-line block ×5, first 2 shown]
	ds_read2_b64 v[51:54], v4 offset1:16
	s_add_i32 s13, s13, -1
	s_add_i32 s12, s12, -8
	s_waitcnt lgkmcnt(5)
	v_mul_f32_e32 v4, v34, v24
	v_mul_f32_e32 v34, v34, v23
	;; [unrolled: 1-line block ×4, first 2 shown]
	s_waitcnt lgkmcnt(4)
	v_mul_f32_e32 v56, v38, v24
	v_mul_f32_e32 v38, v38, v23
	v_mul_f32_e32 v57, v36, v24
	v_mul_f32_e32 v36, v36, v23
	v_fma_f32 v4, v33, v23, -v4
	v_fmac_f32_e32 v34, v33, v24
	v_fma_f32 v33, v31, v23, -v55
	v_fmac_f32_e32 v32, v31, v24
	s_waitcnt lgkmcnt(3)
	v_mul_f32_e32 v31, v42, v24
	v_mul_f32_e32 v42, v42, v23
	v_mul_f32_e32 v55, v40, v24
	v_mul_f32_e32 v40, v40, v23
	v_fma_f32 v56, v37, v23, -v56
	v_fmac_f32_e32 v38, v37, v24
	v_fma_f32 v37, v35, v23, -v57
	v_fmac_f32_e32 v36, v35, v24
	;; [unrolled: 9-line block ×5, first 2 shown]
	v_fma_f32 v43, v53, v23, -v43
	v_fmac_f32_e32 v54, v53, v24
	v_fma_f32 v23, v51, v23, -v57
	v_fmac_f32_e32 v52, v51, v24
	v_add_u32_e32 v30, 0xffffff80, v30
	s_cmp_gt_i32 s13, s14
	v_sub_f32_e32 v3, v3, v4
	v_sub_f32_e32 v29, v29, v34
	;; [unrolled: 1-line block ×24, first 2 shown]
	s_cbranch_scc1 .LBB150_27
; %bb.28:
	buffer_store_dword v3, off, s[0:3], 0
	buffer_store_dword v29, off, s[0:3], 0 offset:4
	buffer_store_dword v27, off, s[0:3], 0 offset:8
	;; [unrolled: 1-line block ×23, first 2 shown]
.LBB150_29:
	s_mul_i32 s12, s14, 0x88
	v_mov_b32_e32 v1, s12
	ds_read_b64 v[7:8], v1
	s_add_i32 s12, s14, -1
	s_lshl_b32 s13, s12, 7
	s_lshl_b32 s12, s12, 3
	s_add_i32 s12, s13, s12
	s_waitcnt vmcnt(2) lgkmcnt(0)
	v_mul_f32_e32 v1, v8, v29
	v_fma_f32 v1, v7, v3, -v1
	v_mul_f32_e32 v2, v7, v29
	v_fmac_f32_e32 v2, v8, v3
	buffer_store_dword v1, off, s[0:3], 0
	buffer_store_dword v2, off, s[0:3], 0 offset:4
	v_mov_b32_e32 v3, s12
	ds_read2_b64 v[7:10], v3 offset1:1
	s_lshl_b32 s12, s14, 3
	ds_write_b64 v26, v[1:2]
	s_waitcnt lgkmcnt(1)
	v_mul_f32_e32 v4, v9, v2
	v_mul_f32_e32 v3, v10, v2
	v_fmac_f32_e32 v4, v10, v1
	v_fma_f32 v3, v9, v1, -v3
	s_waitcnt vmcnt(2)
	v_sub_f32_e32 v4, v28, v4
	v_sub_f32_e32 v9, v27, v3
	v_mul_f32_e32 v3, v8, v4
	v_fma_f32 v3, v7, v9, -v3
	v_mul_f32_e32 v4, v7, v4
	v_add_u32_e32 v7, s13, v25
	s_add_i32 s13, s14, -2
	s_lshl_b32 s15, s13, 7
	v_fmac_f32_e32 v4, v8, v9
	s_add_i32 s20, s15, s12
	buffer_store_dword v3, off, s[0:3], 0 offset:8
	buffer_store_dword v4, off, s[0:3], 0 offset:12
	ds_write_b64 v7, v[3:4]
	v_mov_b32_e32 v7, s20
	ds_read_b64 v[7:8], v7
	s_lshl_b32 s13, s13, 3
	s_add_i32 s13, s15, s13
	s_waitcnt lgkmcnt(0)
	v_mul_f32_e32 v9, v8, v2
	v_fma_f32 v9, v7, v1, -v9
	v_mul_f32_e32 v7, v7, v2
	v_fmac_f32_e32 v7, v8, v1
	v_sub_f32_e32 v10, v6, v7
	v_mov_b32_e32 v6, s13
	v_sub_f32_e32 v5, v5, v9
	ds_read2_b64 v[6:9], v6 offset1:1
	s_add_i32 s13, s14, -3
	s_waitcnt lgkmcnt(0)
	v_mul_f32_e32 v11, v9, v4
	v_fma_f32 v11, v8, v3, -v11
	v_mul_f32_e32 v8, v8, v4
	v_fmac_f32_e32 v8, v9, v3
	v_sub_f32_e32 v8, v10, v8
	v_sub_f32_e32 v9, v5, v11
	v_mul_f32_e32 v5, v7, v8
	v_fma_f32 v5, v6, v9, -v5
	v_mul_f32_e32 v6, v6, v8
	v_fmac_f32_e32 v6, v7, v9
	v_add_u32_e32 v7, s15, v25
	buffer_store_dword v5, off, s[0:3], 0 offset:16
	buffer_store_dword v6, off, s[0:3], 0 offset:20
	ds_write_b64 v7, v[5:6]
	buffer_load_dword v11, off, s[0:3], 0 offset:24
	buffer_load_dword v12, off, s[0:3], 0 offset:28
	s_lshl_b32 s15, s13, 7
	s_add_i32 s20, s15, s12
	s_add_i32 s20, s20, -8
	v_mov_b32_e32 v7, s20
	ds_read2_b64 v[7:10], v7 offset1:1
	s_lshl_b32 s13, s13, 3
	s_add_i32 s13, s15, s13
	s_waitcnt lgkmcnt(0)
	v_mul_f32_e32 v13, v10, v2
	v_fma_f32 v13, v9, v1, -v13
	v_mul_f32_e32 v9, v9, v2
	v_fmac_f32_e32 v9, v10, v1
	s_waitcnt vmcnt(1)
	v_sub_f32_e32 v10, v11, v13
	v_mul_f32_e32 v11, v8, v4
	v_fma_f32 v11, v7, v3, -v11
	v_mul_f32_e32 v7, v7, v4
	s_waitcnt vmcnt(0)
	v_sub_f32_e32 v9, v12, v9
	v_fmac_f32_e32 v7, v8, v3
	v_sub_f32_e32 v12, v9, v7
	v_mov_b32_e32 v7, s13
	v_sub_f32_e32 v11, v10, v11
	ds_read2_b64 v[7:10], v7 offset1:1
	s_add_i32 s13, s14, -4
	s_waitcnt lgkmcnt(0)
	v_mul_f32_e32 v13, v10, v6
	v_fma_f32 v13, v9, v5, -v13
	v_mul_f32_e32 v9, v9, v6
	v_fmac_f32_e32 v9, v10, v5
	v_sub_f32_e32 v9, v12, v9
	v_sub_f32_e32 v10, v11, v13
	v_mul_f32_e32 v11, v8, v9
	v_fma_f32 v11, v7, v10, -v11
	v_mul_f32_e32 v7, v7, v9
	v_fmac_f32_e32 v7, v8, v10
	buffer_store_dword v11, off, s[0:3], 0 offset:24
	buffer_store_dword v7, off, s[0:3], 0 offset:28
	buffer_load_dword v11, off, s[0:3], 0 offset:24
	s_nop 0
	buffer_load_dword v12, off, s[0:3], 0 offset:28
	v_add_u32_e32 v7, s15, v25
	s_lshl_b32 s15, s13, 7
	s_add_i32 s20, s15, s12
	s_lshl_b32 s13, s13, 3
	s_add_i32 s13, s15, s13
	s_waitcnt vmcnt(0)
	ds_write_b64 v7, v[11:12]
	buffer_load_dword v9, off, s[0:3], 0 offset:32
	buffer_load_dword v10, off, s[0:3], 0 offset:36
	v_mov_b32_e32 v7, s20
	ds_read_b64 v[7:8], v7
	s_add_i32 s20, s20, -16
	s_waitcnt lgkmcnt(0)
	v_mul_f32_e32 v13, v8, v2
	v_fma_f32 v13, v7, v1, -v13
	v_mul_f32_e32 v7, v7, v2
	v_fmac_f32_e32 v7, v8, v1
	s_waitcnt vmcnt(1)
	v_sub_f32_e32 v13, v9, v13
	s_waitcnt vmcnt(0)
	v_sub_f32_e32 v14, v10, v7
	v_mov_b32_e32 v7, s20
	ds_read2_b64 v[7:10], v7 offset1:1
	s_waitcnt lgkmcnt(0)
	v_mul_f32_e32 v15, v10, v4
	v_fma_f32 v15, v9, v3, -v15
	v_mul_f32_e32 v9, v9, v4
	v_fmac_f32_e32 v9, v10, v3
	v_sub_f32_e32 v10, v13, v15
	v_mul_f32_e32 v13, v8, v6
	v_fma_f32 v13, v7, v5, -v13
	v_mul_f32_e32 v7, v7, v6
	v_sub_f32_e32 v9, v14, v9
	v_fmac_f32_e32 v7, v8, v5
	v_sub_f32_e32 v14, v9, v7
	v_mov_b32_e32 v7, s13
	v_sub_f32_e32 v13, v10, v13
	ds_read2_b64 v[7:10], v7 offset1:1
	s_add_i32 s13, s14, -5
	s_waitcnt lgkmcnt(0)
	v_mul_f32_e32 v15, v10, v12
	v_fma_f32 v15, v9, v11, -v15
	v_mul_f32_e32 v9, v9, v12
	v_fmac_f32_e32 v9, v10, v11
	v_sub_f32_e32 v9, v14, v9
	v_sub_f32_e32 v10, v13, v15
	v_mul_f32_e32 v13, v8, v9
	v_fma_f32 v13, v7, v10, -v13
	v_mul_f32_e32 v7, v7, v9
	v_fmac_f32_e32 v7, v8, v10
	buffer_store_dword v13, off, s[0:3], 0 offset:32
	buffer_store_dword v7, off, s[0:3], 0 offset:36
	buffer_load_dword v13, off, s[0:3], 0 offset:32
	s_nop 0
	buffer_load_dword v14, off, s[0:3], 0 offset:36
	v_add_u32_e32 v7, s15, v25
	s_lshl_b32 s15, s13, 7
	s_add_i32 s20, s15, s12
	s_add_i32 s21, s20, -8
	s_sub_i32 s20, s20, 24
	s_lshl_b32 s13, s13, 3
	s_add_i32 s13, s15, s13
	s_waitcnt vmcnt(0)
	ds_write_b64 v7, v[13:14]
	buffer_load_dword v15, off, s[0:3], 0 offset:40
	buffer_load_dword v16, off, s[0:3], 0 offset:44
	v_mov_b32_e32 v7, s21
	ds_read2_b64 v[7:10], v7 offset1:1
	s_waitcnt lgkmcnt(0)
	v_mul_f32_e32 v17, v10, v2
	v_fma_f32 v17, v9, v1, -v17
	v_mul_f32_e32 v9, v9, v2
	v_fmac_f32_e32 v9, v10, v1
	s_waitcnt vmcnt(1)
	v_sub_f32_e32 v10, v15, v17
	v_mul_f32_e32 v15, v8, v4
	v_fma_f32 v15, v7, v3, -v15
	v_mul_f32_e32 v7, v7, v4
	s_waitcnt vmcnt(0)
	v_sub_f32_e32 v9, v16, v9
	v_fmac_f32_e32 v7, v8, v3
	v_sub_f32_e32 v16, v9, v7
	v_mov_b32_e32 v7, s20
	v_sub_f32_e32 v15, v10, v15
	ds_read2_b64 v[7:10], v7 offset1:1
	s_waitcnt lgkmcnt(0)
	v_mul_f32_e32 v17, v10, v6
	v_fma_f32 v17, v9, v5, -v17
	v_mul_f32_e32 v9, v9, v6
	v_fmac_f32_e32 v9, v10, v5
	v_sub_f32_e32 v10, v15, v17
	v_mul_f32_e32 v15, v8, v12
	v_fma_f32 v15, v7, v11, -v15
	v_mul_f32_e32 v7, v7, v12
	v_sub_f32_e32 v9, v16, v9
	v_fmac_f32_e32 v7, v8, v11
	v_sub_f32_e32 v16, v9, v7
	v_mov_b32_e32 v7, s13
	v_sub_f32_e32 v15, v10, v15
	ds_read2_b64 v[7:10], v7 offset1:1
	s_add_i32 s13, s14, -6
	s_waitcnt lgkmcnt(0)
	v_mul_f32_e32 v17, v10, v14
	v_fma_f32 v17, v9, v13, -v17
	v_mul_f32_e32 v9, v9, v14
	v_fmac_f32_e32 v9, v10, v13
	v_sub_f32_e32 v9, v16, v9
	v_sub_f32_e32 v10, v15, v17
	v_mul_f32_e32 v15, v8, v9
	v_fma_f32 v15, v7, v10, -v15
	v_mul_f32_e32 v7, v7, v9
	v_fmac_f32_e32 v7, v8, v10
	buffer_store_dword v15, off, s[0:3], 0 offset:40
	buffer_store_dword v7, off, s[0:3], 0 offset:44
	buffer_load_dword v15, off, s[0:3], 0 offset:40
	s_nop 0
	buffer_load_dword v16, off, s[0:3], 0 offset:44
	v_add_u32_e32 v7, s15, v25
	s_lshl_b32 s15, s13, 7
	s_add_i32 s20, s15, s12
	s_add_i32 s21, s20, -16
	s_lshl_b32 s13, s13, 3
	s_add_i32 s13, s15, s13
	s_waitcnt vmcnt(0)
	ds_write_b64 v7, v[15:16]
	buffer_load_dword v9, off, s[0:3], 0 offset:48
	buffer_load_dword v10, off, s[0:3], 0 offset:52
	v_mov_b32_e32 v7, s20
	ds_read_b64 v[7:8], v7
	s_sub_i32 s20, s20, 32
	s_waitcnt lgkmcnt(0)
	v_mul_f32_e32 v17, v8, v2
	v_fma_f32 v17, v7, v1, -v17
	v_mul_f32_e32 v7, v7, v2
	v_fmac_f32_e32 v7, v8, v1
	s_waitcnt vmcnt(1)
	v_sub_f32_e32 v17, v9, v17
	s_waitcnt vmcnt(0)
	v_sub_f32_e32 v18, v10, v7
	v_mov_b32_e32 v7, s21
	ds_read2_b64 v[7:10], v7 offset1:1
	s_waitcnt lgkmcnt(0)
	v_mul_f32_e32 v19, v10, v4
	v_fma_f32 v19, v9, v3, -v19
	v_mul_f32_e32 v9, v9, v4
	v_fmac_f32_e32 v9, v10, v3
	v_sub_f32_e32 v10, v17, v19
	v_mul_f32_e32 v17, v8, v6
	v_fma_f32 v17, v7, v5, -v17
	v_mul_f32_e32 v7, v7, v6
	v_sub_f32_e32 v9, v18, v9
	v_fmac_f32_e32 v7, v8, v5
	v_sub_f32_e32 v18, v9, v7
	v_mov_b32_e32 v7, s20
	v_sub_f32_e32 v17, v10, v17
	ds_read2_b64 v[7:10], v7 offset1:1
	s_waitcnt lgkmcnt(0)
	v_mul_f32_e32 v19, v10, v12
	v_fma_f32 v19, v9, v11, -v19
	v_mul_f32_e32 v9, v9, v12
	v_fmac_f32_e32 v9, v10, v11
	v_sub_f32_e32 v10, v17, v19
	v_mul_f32_e32 v17, v8, v14
	v_fma_f32 v17, v7, v13, -v17
	v_mul_f32_e32 v7, v7, v14
	v_sub_f32_e32 v9, v18, v9
	v_fmac_f32_e32 v7, v8, v13
	v_sub_f32_e32 v18, v9, v7
	v_mov_b32_e32 v7, s13
	v_sub_f32_e32 v17, v10, v17
	ds_read2_b64 v[7:10], v7 offset1:1
	s_add_i32 s13, s14, -7
	s_waitcnt lgkmcnt(0)
	v_mul_f32_e32 v19, v10, v16
	v_fma_f32 v19, v9, v15, -v19
	v_mul_f32_e32 v9, v9, v16
	v_fmac_f32_e32 v9, v10, v15
	v_sub_f32_e32 v9, v18, v9
	v_sub_f32_e32 v10, v17, v19
	v_mul_f32_e32 v17, v8, v9
	v_fma_f32 v17, v7, v10, -v17
	v_mul_f32_e32 v7, v7, v9
	v_fmac_f32_e32 v7, v8, v10
	buffer_store_dword v17, off, s[0:3], 0 offset:48
	buffer_store_dword v7, off, s[0:3], 0 offset:52
	buffer_load_dword v17, off, s[0:3], 0 offset:48
	s_nop 0
	buffer_load_dword v18, off, s[0:3], 0 offset:52
	v_add_u32_e32 v7, s15, v25
	s_lshl_b32 s15, s13, 7
	s_add_i32 s20, s15, s12
	s_add_i32 s21, s20, -8
	s_lshl_b32 s13, s13, 3
	s_add_i32 s13, s15, s13
	s_waitcnt vmcnt(0)
	ds_write_b64 v7, v[17:18]
	buffer_load_dword v19, off, s[0:3], 0 offset:56
	buffer_load_dword v20, off, s[0:3], 0 offset:60
	v_mov_b32_e32 v7, s21
	ds_read2_b64 v[7:10], v7 offset1:1
	s_sub_i32 s21, s20, 24
	s_sub_i32 s20, s20, 40
	s_waitcnt lgkmcnt(0)
	v_mul_f32_e32 v21, v10, v2
	v_fma_f32 v21, v9, v1, -v21
	v_mul_f32_e32 v2, v9, v2
	v_mul_f32_e32 v9, v8, v4
	v_fmac_f32_e32 v2, v10, v1
	v_fma_f32 v9, v7, v3, -v9
	v_mul_f32_e32 v4, v7, v4
	v_fmac_f32_e32 v4, v8, v3
	s_waitcnt vmcnt(1)
	v_sub_f32_e32 v1, v19, v21
	s_waitcnt vmcnt(0)
	v_sub_f32_e32 v2, v20, v2
	v_sub_f32_e32 v7, v1, v9
	v_mov_b32_e32 v1, s21
	v_sub_f32_e32 v8, v2, v4
	ds_read2_b64 v[1:4], v1 offset1:1
	s_waitcnt lgkmcnt(0)
	v_mul_f32_e32 v9, v4, v6
	v_fma_f32 v9, v3, v5, -v9
	v_mul_f32_e32 v3, v3, v6
	v_fmac_f32_e32 v3, v4, v5
	v_mul_f32_e32 v5, v2, v12
	v_fma_f32 v5, v1, v11, -v5
	v_mul_f32_e32 v1, v1, v12
	v_sub_f32_e32 v3, v8, v3
	v_fmac_f32_e32 v1, v2, v11
	v_sub_f32_e32 v4, v7, v9
	v_sub_f32_e32 v6, v3, v1
	v_mov_b32_e32 v1, s20
	v_sub_f32_e32 v5, v4, v5
	ds_read2_b64 v[1:4], v1 offset1:1
	s_waitcnt lgkmcnt(0)
	v_mul_f32_e32 v7, v4, v14
	v_fma_f32 v7, v3, v13, -v7
	v_mul_f32_e32 v3, v3, v14
	v_fmac_f32_e32 v3, v4, v13
	v_sub_f32_e32 v4, v5, v7
	v_mul_f32_e32 v5, v2, v16
	v_fma_f32 v5, v1, v15, -v5
	v_mul_f32_e32 v1, v1, v16
	v_sub_f32_e32 v3, v6, v3
	v_fmac_f32_e32 v1, v2, v15
	v_sub_f32_e32 v6, v3, v1
	v_mov_b32_e32 v1, s13
	v_sub_f32_e32 v5, v4, v5
	ds_read2_b64 v[1:4], v1 offset1:1
	s_add_i32 s13, s14, -8
	s_waitcnt lgkmcnt(0)
	v_mul_f32_e32 v7, v4, v18
	v_fma_f32 v7, v3, v17, -v7
	v_mul_f32_e32 v3, v3, v18
	v_fmac_f32_e32 v3, v4, v17
	v_sub_f32_e32 v3, v6, v3
	v_sub_f32_e32 v4, v5, v7
	v_mul_f32_e32 v5, v2, v3
	v_fma_f32 v5, v1, v4, -v5
	v_mul_f32_e32 v1, v1, v3
	v_fmac_f32_e32 v1, v2, v4
	buffer_store_dword v5, off, s[0:3], 0 offset:56
	buffer_store_dword v1, off, s[0:3], 0 offset:60
	buffer_load_dword v5, off, s[0:3], 0 offset:56
	s_nop 0
	buffer_load_dword v6, off, s[0:3], 0 offset:60
	v_add_u32_e32 v1, s15, v25
	s_lshl_b32 s15, s13, 7
	s_add_i32 s20, s15, s12
	s_add_i32 s21, s20, -16
	s_lshl_b32 s13, s13, 3
	s_add_i32 s13, s15, s13
	s_waitcnt vmcnt(0)
	ds_write_b64 v1, v[5:6]
	buffer_load_dword v3, off, s[0:3], 0 offset:64
	buffer_load_dword v4, off, s[0:3], 0 offset:68
	v_mov_b32_e32 v1, s20
	ds_read_b64 v[1:2], v1
	buffer_load_dword v7, off, s[0:3], 0
	buffer_load_dword v8, off, s[0:3], 0 offset:4
	buffer_load_dword v9, off, s[0:3], 0 offset:8
	;; [unrolled: 1-line block ×11, first 2 shown]
	s_waitcnt vmcnt(10) lgkmcnt(0)
	v_mul_f32_e32 v21, v2, v8
	v_fma_f32 v21, v1, v7, -v21
	v_mul_f32_e32 v1, v1, v8
	v_fmac_f32_e32 v1, v2, v7
	v_sub_f32_e32 v7, v3, v21
	v_sub_f32_e32 v8, v4, v1
	v_mov_b32_e32 v1, s21
	ds_read2_b64 v[1:4], v1 offset1:1
	s_sub_i32 s21, s20, 32
	s_sub_i32 s20, s20, 48
	s_waitcnt vmcnt(8) lgkmcnt(0)
	v_mul_f32_e32 v21, v4, v10
	v_fma_f32 v21, v3, v9, -v21
	v_mul_f32_e32 v3, v3, v10
	v_fmac_f32_e32 v3, v4, v9
	v_sub_f32_e32 v4, v7, v21
	s_waitcnt vmcnt(6)
	v_mul_f32_e32 v7, v2, v12
	v_fma_f32 v7, v1, v11, -v7
	v_mul_f32_e32 v1, v1, v12
	v_sub_f32_e32 v3, v8, v3
	v_fmac_f32_e32 v1, v2, v11
	v_sub_f32_e32 v8, v3, v1
	v_mov_b32_e32 v1, s21
	v_sub_f32_e32 v7, v4, v7
	ds_read2_b64 v[1:4], v1 offset1:1
	s_waitcnt vmcnt(4) lgkmcnt(0)
	v_mul_f32_e32 v9, v4, v14
	v_fma_f32 v9, v3, v13, -v9
	v_mul_f32_e32 v3, v3, v14
	v_fmac_f32_e32 v3, v4, v13
	v_sub_f32_e32 v4, v7, v9
	s_waitcnt vmcnt(2)
	v_mul_f32_e32 v7, v2, v16
	v_fma_f32 v7, v1, v15, -v7
	v_mul_f32_e32 v1, v1, v16
	v_sub_f32_e32 v3, v8, v3
	v_fmac_f32_e32 v1, v2, v15
	v_sub_f32_e32 v8, v3, v1
	v_mov_b32_e32 v1, s20
	v_sub_f32_e32 v7, v4, v7
	ds_read2_b64 v[1:4], v1 offset1:1
	s_waitcnt vmcnt(0) lgkmcnt(0)
	v_mul_f32_e32 v9, v4, v20
	v_fma_f32 v9, v3, v19, -v9
	v_mul_f32_e32 v3, v3, v20
	v_fmac_f32_e32 v3, v4, v19
	v_sub_f32_e32 v4, v7, v9
	v_mul_f32_e32 v7, v2, v18
	v_fma_f32 v7, v1, v17, -v7
	v_mul_f32_e32 v1, v1, v18
	v_sub_f32_e32 v3, v8, v3
	v_fmac_f32_e32 v1, v2, v17
	v_sub_f32_e32 v8, v3, v1
	v_mov_b32_e32 v1, s13
	v_sub_f32_e32 v7, v4, v7
	ds_read2_b64 v[1:4], v1 offset1:1
	s_add_i32 s13, s14, -9
	s_waitcnt lgkmcnt(0)
	v_mul_f32_e32 v9, v4, v6
	v_fma_f32 v9, v3, v5, -v9
	v_mul_f32_e32 v3, v3, v6
	v_fmac_f32_e32 v3, v4, v5
	v_sub_f32_e32 v3, v8, v3
	v_sub_f32_e32 v4, v7, v9
	v_mul_f32_e32 v5, v2, v3
	v_fma_f32 v5, v1, v4, -v5
	v_mul_f32_e32 v1, v1, v3
	v_fmac_f32_e32 v1, v2, v4
	buffer_store_dword v5, off, s[0:3], 0 offset:64
	buffer_store_dword v1, off, s[0:3], 0 offset:68
	buffer_load_dword v5, off, s[0:3], 0 offset:64
	s_nop 0
	buffer_load_dword v6, off, s[0:3], 0 offset:68
	v_add_u32_e32 v1, s15, v25
	s_lshl_b32 s15, s13, 7
	s_add_i32 s20, s15, s12
	s_add_i32 s21, s20, -8
	s_lshl_b32 s13, s13, 3
	s_add_i32 s13, s15, s13
	s_waitcnt vmcnt(0)
	ds_write_b64 v1, v[5:6]
	buffer_load_dword v7, off, s[0:3], 0 offset:72
	buffer_load_dword v8, off, s[0:3], 0 offset:76
	buffer_load_dword v9, off, s[0:3], 0
	buffer_load_dword v10, off, s[0:3], 0 offset:4
	v_mov_b32_e32 v1, s21
	ds_read2_b64 v[1:4], v1 offset1:1
	s_sub_i32 s21, s20, 24
	s_waitcnt vmcnt(0) lgkmcnt(0)
	v_mul_f32_e32 v11, v4, v10
	v_fma_f32 v11, v3, v9, -v11
	v_mul_f32_e32 v3, v3, v10
	v_fmac_f32_e32 v3, v4, v9
	v_sub_f32_e32 v4, v7, v11
	buffer_store_dword v4, off, s[0:3], 0 offset:72
	v_sub_f32_e32 v3, v8, v3
	buffer_load_dword v7, off, s[0:3], 0 offset:8
	buffer_load_dword v8, off, s[0:3], 0 offset:12
	;; [unrolled: 1-line block ×14, first 2 shown]
	s_waitcnt vmcnt(12)
	v_mul_f32_e32 v21, v2, v8
	v_fma_f32 v21, v1, v7, -v21
	v_mul_f32_e32 v1, v1, v8
	v_fmac_f32_e32 v1, v2, v7
	v_sub_f32_e32 v8, v3, v1
	v_mov_b32_e32 v1, s21
	v_sub_f32_e32 v7, v4, v21
	ds_read2_b64 v[1:4], v1 offset1:1
	s_sub_i32 s21, s20, 40
	s_sub_i32 s20, s20, 56
	s_waitcnt vmcnt(10) lgkmcnt(0)
	v_mul_f32_e32 v21, v4, v10
	v_fma_f32 v21, v3, v9, -v21
	v_mul_f32_e32 v3, v3, v10
	v_fmac_f32_e32 v3, v4, v9
	v_sub_f32_e32 v4, v7, v21
	s_waitcnt vmcnt(8)
	v_mul_f32_e32 v7, v2, v12
	v_fma_f32 v7, v1, v11, -v7
	v_mul_f32_e32 v1, v1, v12
	v_sub_f32_e32 v3, v8, v3
	v_fmac_f32_e32 v1, v2, v11
	v_sub_f32_e32 v8, v3, v1
	v_mov_b32_e32 v1, s21
	v_sub_f32_e32 v7, v4, v7
	ds_read2_b64 v[1:4], v1 offset1:1
	s_waitcnt vmcnt(6) lgkmcnt(0)
	v_mul_f32_e32 v9, v4, v14
	v_fma_f32 v9, v3, v13, -v9
	v_mul_f32_e32 v3, v3, v14
	v_fmac_f32_e32 v3, v4, v13
	v_sub_f32_e32 v4, v7, v9
	s_waitcnt vmcnt(4)
	v_mul_f32_e32 v7, v2, v16
	v_fma_f32 v7, v1, v15, -v7
	v_mul_f32_e32 v1, v1, v16
	v_sub_f32_e32 v3, v8, v3
	v_fmac_f32_e32 v1, v2, v15
	v_sub_f32_e32 v8, v3, v1
	v_mov_b32_e32 v1, s20
	v_sub_f32_e32 v7, v4, v7
	ds_read2_b64 v[1:4], v1 offset1:1
	s_waitcnt vmcnt(2) lgkmcnt(0)
	v_mul_f32_e32 v9, v4, v18
	v_fma_f32 v9, v3, v17, -v9
	v_mul_f32_e32 v3, v3, v18
	v_fmac_f32_e32 v3, v4, v17
	v_sub_f32_e32 v4, v7, v9
	s_waitcnt vmcnt(0)
	v_mul_f32_e32 v7, v2, v20
	v_fma_f32 v7, v1, v19, -v7
	v_mul_f32_e32 v1, v1, v20
	v_sub_f32_e32 v3, v8, v3
	v_fmac_f32_e32 v1, v2, v19
	v_sub_f32_e32 v8, v3, v1
	v_mov_b32_e32 v1, s13
	v_sub_f32_e32 v7, v4, v7
	ds_read2_b64 v[1:4], v1 offset1:1
	s_waitcnt lgkmcnt(0)
	v_mul_f32_e32 v9, v4, v6
	v_fma_f32 v9, v3, v5, -v9
	v_mul_f32_e32 v3, v3, v6
	v_fmac_f32_e32 v3, v4, v5
	v_sub_f32_e32 v3, v8, v3
	v_sub_f32_e32 v4, v7, v9
	v_mul_f32_e32 v5, v2, v3
	v_fma_f32 v5, v1, v4, -v5
	v_mul_f32_e32 v1, v1, v3
	v_fmac_f32_e32 v1, v2, v4
	buffer_store_dword v5, off, s[0:3], 0 offset:72
	buffer_store_dword v1, off, s[0:3], 0 offset:76
	buffer_load_dword v5, off, s[0:3], 0 offset:72
	s_nop 0
	buffer_load_dword v6, off, s[0:3], 0 offset:76
	v_add_u32_e32 v1, s15, v25
	s_add_i32 s15, s14, -10
	s_lshl_b32 s13, s15, 7
	s_add_i32 s20, s13, s12
	s_add_i32 s21, s20, -16
	s_lshl_b32 s15, s15, 3
	s_add_i32 s15, s13, s15
	s_waitcnt vmcnt(0)
	ds_write_b64 v1, v[5:6]
	buffer_load_dword v3, off, s[0:3], 0 offset:80
	buffer_load_dword v4, off, s[0:3], 0 offset:84
	buffer_load_dword v7, off, s[0:3], 0
	buffer_load_dword v8, off, s[0:3], 0 offset:4
	v_mov_b32_e32 v1, s20
	ds_read_b64 v[1:2], v1
	s_waitcnt vmcnt(0) lgkmcnt(0)
	v_mul_f32_e32 v9, v2, v8
	v_fma_f32 v9, v1, v7, -v9
	v_mul_f32_e32 v1, v1, v8
	v_fmac_f32_e32 v1, v2, v7
	v_sub_f32_e32 v8, v4, v1
	buffer_store_dword v8, off, s[0:3], 0 offset:84
	v_sub_f32_e32 v7, v3, v9
	buffer_load_dword v9, off, s[0:3], 0 offset:8
	buffer_load_dword v10, off, s[0:3], 0 offset:12
	v_mov_b32_e32 v1, s21
	ds_read2_b64 v[1:4], v1 offset1:1
	s_sub_i32 s21, s20, 32
	s_waitcnt vmcnt(0) lgkmcnt(0)
	v_mul_f32_e32 v11, v4, v10
	v_fma_f32 v11, v3, v9, -v11
	v_mul_f32_e32 v3, v3, v10
	v_fmac_f32_e32 v3, v4, v9
	v_sub_f32_e32 v4, v7, v11
	buffer_store_dword v4, off, s[0:3], 0 offset:80
	v_sub_f32_e32 v3, v8, v3
	buffer_load_dword v7, off, s[0:3], 0 offset:16
	buffer_load_dword v8, off, s[0:3], 0 offset:20
	;; [unrolled: 1-line block ×14, first 2 shown]
	s_waitcnt vmcnt(12)
	v_mul_f32_e32 v21, v2, v8
	v_fma_f32 v21, v1, v7, -v21
	v_mul_f32_e32 v1, v1, v8
	v_fmac_f32_e32 v1, v2, v7
	v_sub_f32_e32 v8, v3, v1
	v_mov_b32_e32 v1, s21
	v_sub_f32_e32 v7, v4, v21
	ds_read2_b64 v[1:4], v1 offset1:1
	s_sub_i32 s21, s20, 48
	s_sub_i32 s20, s20, 64
	s_waitcnt vmcnt(10) lgkmcnt(0)
	v_mul_f32_e32 v21, v4, v10
	v_fma_f32 v21, v3, v9, -v21
	v_mul_f32_e32 v3, v3, v10
	v_fmac_f32_e32 v3, v4, v9
	v_sub_f32_e32 v4, v7, v21
	s_waitcnt vmcnt(8)
	v_mul_f32_e32 v7, v2, v12
	v_fma_f32 v7, v1, v11, -v7
	v_mul_f32_e32 v1, v1, v12
	v_sub_f32_e32 v3, v8, v3
	v_fmac_f32_e32 v1, v2, v11
	v_sub_f32_e32 v8, v3, v1
	v_mov_b32_e32 v1, s21
	v_sub_f32_e32 v7, v4, v7
	ds_read2_b64 v[1:4], v1 offset1:1
	s_waitcnt vmcnt(6) lgkmcnt(0)
	v_mul_f32_e32 v9, v4, v14
	v_fma_f32 v9, v3, v13, -v9
	v_mul_f32_e32 v3, v3, v14
	v_fmac_f32_e32 v3, v4, v13
	v_sub_f32_e32 v4, v7, v9
	s_waitcnt vmcnt(4)
	v_mul_f32_e32 v7, v2, v16
	v_fma_f32 v7, v1, v15, -v7
	v_mul_f32_e32 v1, v1, v16
	v_sub_f32_e32 v3, v8, v3
	v_fmac_f32_e32 v1, v2, v15
	v_sub_f32_e32 v8, v3, v1
	v_mov_b32_e32 v1, s20
	v_sub_f32_e32 v7, v4, v7
	ds_read2_b64 v[1:4], v1 offset1:1
	;; [unrolled: 16-line block ×3, first 2 shown]
	s_add_i32 s15, s14, -11
	s_add_i32 s14, s14, -12
	s_waitcnt lgkmcnt(0)
	v_mul_f32_e32 v9, v4, v6
	v_fma_f32 v9, v3, v5, -v9
	v_mul_f32_e32 v3, v3, v6
	v_fmac_f32_e32 v3, v4, v5
	v_sub_f32_e32 v3, v8, v3
	v_sub_f32_e32 v4, v7, v9
	v_mul_f32_e32 v5, v2, v3
	v_fma_f32 v5, v1, v4, -v5
	v_mul_f32_e32 v6, v1, v3
	v_fmac_f32_e32 v6, v2, v4
	buffer_store_dword v5, off, s[0:3], 0 offset:80
	buffer_store_dword v6, off, s[0:3], 0 offset:84
	buffer_load_dword v5, off, s[0:3], 0 offset:80
	v_add_u32_e32 v1, s13, v25
	s_lshl_b32 s13, s15, 7
	s_add_i32 s12, s13, s12
	s_add_i32 s20, s12, -8
	s_waitcnt vmcnt(0)
	ds_write_b64 v1, v[5:6]
	v_mov_b32_e32 v1, s20
	buffer_load_dword v7, off, s[0:3], 0 offset:88
	buffer_load_dword v8, off, s[0:3], 0 offset:92
	ds_read2_b64 v[1:4], v1 offset1:1
	buffer_load_dword v9, off, s[0:3], 0
	buffer_load_dword v10, off, s[0:3], 0 offset:4
	buffer_load_dword v11, off, s[0:3], 0 offset:8
	;; [unrolled: 1-line block ×3, first 2 shown]
	s_sub_i32 s20, s12, 24
	s_waitcnt vmcnt(2) lgkmcnt(0)
	v_mul_f32_e32 v13, v4, v10
	v_fma_f32 v13, v3, v9, -v13
	v_mul_f32_e32 v3, v3, v10
	v_fmac_f32_e32 v3, v4, v9
	v_sub_f32_e32 v4, v7, v13
	s_waitcnt vmcnt(0)
	v_mul_f32_e32 v7, v2, v12
	v_fma_f32 v7, v1, v11, -v7
	v_mul_f32_e32 v1, v1, v12
	v_sub_f32_e32 v3, v8, v3
	v_fmac_f32_e32 v1, v2, v11
	v_sub_f32_e32 v8, v3, v1
	buffer_store_dword v8, off, s[0:3], 0 offset:92
	buffer_load_dword v9, off, s[0:3], 0 offset:16
	buffer_load_dword v10, off, s[0:3], 0 offset:20
	v_mov_b32_e32 v1, s20
	v_sub_f32_e32 v7, v4, v7
	ds_read2_b64 v[1:4], v1 offset1:1
	s_sub_i32 s20, s12, 40
	s_waitcnt vmcnt(0) lgkmcnt(0)
	v_mul_f32_e32 v11, v4, v10
	v_fma_f32 v11, v3, v9, -v11
	v_mul_f32_e32 v10, v3, v10
	v_sub_f32_e32 v3, v7, v11
	v_fmac_f32_e32 v10, v4, v9
	buffer_store_dword v3, off, s[0:3], 0 offset:88
	v_sub_f32_e32 v4, v8, v10
	buffer_load_dword v7, off, s[0:3], 0 offset:24
	buffer_load_dword v8, off, s[0:3], 0 offset:28
	;; [unrolled: 1-line block ×14, first 2 shown]
	s_waitcnt vmcnt(12)
	v_mul_f32_e32 v21, v2, v8
	v_fma_f32 v21, v1, v7, -v21
	v_mul_f32_e32 v1, v1, v8
	v_fmac_f32_e32 v1, v2, v7
	v_sub_f32_e32 v8, v4, v1
	v_mov_b32_e32 v1, s20
	v_sub_f32_e32 v7, v3, v21
	ds_read2_b64 v[1:4], v1 offset1:1
	s_sub_i32 s20, s12, 56
	s_addk_i32 s12, 0xffb8
	s_waitcnt vmcnt(10) lgkmcnt(0)
	v_mul_f32_e32 v21, v4, v10
	v_fma_f32 v21, v3, v9, -v21
	v_mul_f32_e32 v3, v3, v10
	v_fmac_f32_e32 v3, v4, v9
	v_sub_f32_e32 v4, v7, v21
	s_waitcnt vmcnt(8)
	v_mul_f32_e32 v7, v2, v12
	v_fma_f32 v7, v1, v11, -v7
	v_mul_f32_e32 v1, v1, v12
	v_sub_f32_e32 v3, v8, v3
	v_fmac_f32_e32 v1, v2, v11
	v_sub_f32_e32 v8, v3, v1
	v_mov_b32_e32 v1, s20
	v_sub_f32_e32 v7, v4, v7
	ds_read2_b64 v[1:4], v1 offset1:1
	s_waitcnt vmcnt(6) lgkmcnt(0)
	v_mul_f32_e32 v9, v4, v14
	v_fma_f32 v9, v3, v13, -v9
	v_mul_f32_e32 v3, v3, v14
	v_fmac_f32_e32 v3, v4, v13
	v_sub_f32_e32 v4, v7, v9
	s_waitcnt vmcnt(4)
	v_mul_f32_e32 v7, v2, v16
	v_fma_f32 v7, v1, v15, -v7
	v_mul_f32_e32 v1, v1, v16
	v_sub_f32_e32 v3, v8, v3
	v_fmac_f32_e32 v1, v2, v15
	v_sub_f32_e32 v8, v3, v1
	v_mov_b32_e32 v1, s12
	v_sub_f32_e32 v7, v4, v7
	ds_read2_b64 v[1:4], v1 offset1:1
	s_lshl_b32 s12, s15, 3
	s_add_i32 s12, s13, s12
	s_waitcnt vmcnt(2) lgkmcnt(0)
	v_mul_f32_e32 v9, v4, v18
	v_fma_f32 v9, v3, v17, -v9
	v_mul_f32_e32 v3, v3, v18
	v_fmac_f32_e32 v3, v4, v17
	v_sub_f32_e32 v4, v7, v9
	s_waitcnt vmcnt(0)
	v_mul_f32_e32 v7, v2, v20
	v_fma_f32 v7, v1, v19, -v7
	v_mul_f32_e32 v1, v1, v20
	v_sub_f32_e32 v3, v8, v3
	v_fmac_f32_e32 v1, v2, v19
	v_sub_f32_e32 v8, v3, v1
	v_mov_b32_e32 v1, s12
	v_sub_f32_e32 v7, v4, v7
	ds_read2_b64 v[1:4], v1 offset1:1
	s_waitcnt lgkmcnt(0)
	v_mul_f32_e32 v9, v4, v6
	v_fma_f32 v9, v3, v5, -v9
	v_mul_f32_e32 v3, v3, v6
	v_fmac_f32_e32 v3, v4, v5
	v_sub_f32_e32 v3, v8, v3
	v_sub_f32_e32 v4, v7, v9
	v_mul_f32_e32 v5, v2, v3
	v_fma_f32 v5, v1, v4, -v5
	v_mul_f32_e32 v3, v1, v3
	v_fmac_f32_e32 v3, v2, v4
	buffer_store_dword v5, off, s[0:3], 0 offset:88
	buffer_store_dword v3, off, s[0:3], 0 offset:92
	buffer_load_dword v2, off, s[0:3], 0 offset:88
	v_add_u32_e32 v1, s13, v25
	s_waitcnt vmcnt(0)
	ds_write_b64 v1, v[2:3]
.LBB150_30:
	s_cmp_lt_i32 s14, 0
	s_cbranch_scc1 .LBB150_46
; %bb.31:
	s_bitcmp1_b32 s14, 0
	s_cselect_b64 s[12:13], -1, 0
	s_and_b64 vcc, exec, s[12:13]
	s_mov_b32 s12, s14
	s_cbranch_vccnz .LBB150_37
; %bb.32:
	s_lshl_b32 s12, s14, 7
	v_add_u32_e32 v3, s12, v25
	ds_read_b64 v[1:2], v3
	s_cmp_le_i32 s9, s14
	s_waitcnt lgkmcnt(0)
	buffer_store_dword v2, off, s[0:3], 0 offset:4
	buffer_store_dword v1, off, s[0:3], 0
	s_cbranch_scc1 .LBB150_36
; %bb.33:
	s_lshl_b32 s13, s26, 3
	v_lshlrev_b32_e32 v4, 3, v0
	s_add_i32 s12, s12, s13
	v_lshl_or_b32 v4, s26, 7, v4
	s_add_i32 s12, s12, -8
	v_add_u32_e32 v4, 0x780, v4
	s_mov_b32 s13, s9
.LBB150_34:                             ; =>This Inner Loop Header: Depth=1
	v_mov_b32_e32 v7, s12
	ds_read_b64 v[5:6], v4
	ds_read_b64 v[7:8], v7
	s_add_i32 s13, s13, -1
	s_add_i32 s12, s12, -8
	v_add_u32_e32 v4, 0xffffff80, v4
	s_cmp_gt_i32 s13, s14
	s_waitcnt lgkmcnt(0)
	v_mul_f32_e32 v9, v8, v6
	v_mul_f32_e32 v8, v8, v5
	v_fma_f32 v5, v7, v5, -v9
	v_fmac_f32_e32 v8, v7, v6
	v_sub_f32_e32 v1, v1, v5
	v_sub_f32_e32 v2, v2, v8
	s_cbranch_scc1 .LBB150_34
; %bb.35:
	buffer_store_dword v1, off, s[0:3], 0
	buffer_store_dword v2, off, s[0:3], 0 offset:4
.LBB150_36:
	s_mul_i32 s12, s14, 0x88
	v_mov_b32_e32 v4, s12
	ds_read_b64 v[4:5], v4
	s_add_i32 s12, s14, -1
	s_waitcnt lgkmcnt(0)
	v_mul_f32_e32 v6, v5, v2
	v_mul_f32_e32 v7, v4, v2
	v_fma_f32 v6, v4, v1, -v6
	v_fmac_f32_e32 v7, v5, v1
	buffer_store_dword v6, off, s[0:3], 0
	buffer_store_dword v7, off, s[0:3], 0 offset:4
	ds_write_b64 v3, v[6:7]
.LBB150_37:
	s_cmp_eq_u32 s14, 0
	s_cbranch_scc1 .LBB150_46
; %bb.38:
	s_lshl_b32 s13, s12, 7
	s_lshl_b32 s14, s26, 3
	v_lshlrev_b32_e32 v1, 3, v0
	s_add_i32 s14, s13, s14
	v_lshl_or_b32 v1, s26, 7, v1
	s_add_i32 s13, s14, -8
	v_add_u32_e32 v5, 0x780, v1
	s_addk_i32 s14, 0xff78
	s_branch .LBB150_40
.LBB150_39:                             ;   in Loop: Header=BB150_40 Depth=1
	s_addk_i32 s15, 0xff78
	v_mov_b32_e32 v1, s15
	ds_read_b64 v[1:2], v1
	s_add_i32 s15, s12, -2
	s_addk_i32 s13, 0xff00
	s_addk_i32 s14, 0xff00
	s_cmp_lt_i32 s12, 2
	s_waitcnt lgkmcnt(0)
	v_mul_f32_e32 v6, v2, v4
	v_mul_f32_e32 v9, v1, v4
	v_fma_f32 v8, v1, v3, -v6
	v_fmac_f32_e32 v9, v2, v3
	s_mov_b32 s12, s15
	buffer_store_dword v8, off, s[0:3], 0
	buffer_store_dword v9, off, s[0:3], 0 offset:4
	ds_write_b64 v7, v[8:9]
	s_cbranch_scc1 .LBB150_46
.LBB150_40:                             ; =>This Loop Header: Depth=1
                                        ;     Child Loop BB150_41 Depth 2
                                        ;     Child Loop BB150_44 Depth 2
	s_lshl_b32 s20, s12, 7
	v_add_u32_e32 v6, s20, v25
	ds_read_b64 v[1:2], v6
	v_mov_b32_e32 v3, v5
	s_mov_b32 s15, s13
	s_cmp_le_i32 s9, s12
	s_mov_b32 s21, s9
	s_waitcnt lgkmcnt(0)
	buffer_store_dword v2, off, s[0:3], 0 offset:4
	buffer_store_dword v1, off, s[0:3], 0
	s_cbranch_scc1 .LBB150_43
.LBB150_41:                             ;   Parent Loop BB150_40 Depth=1
                                        ; =>  This Inner Loop Header: Depth=2
	v_mov_b32_e32 v4, s15
	ds_read_b64 v[7:8], v3
	ds_read_b64 v[9:10], v4
	s_add_i32 s21, s21, -1
	s_add_i32 s15, s15, -8
	v_add_u32_e32 v3, 0xffffff80, v3
	s_cmp_gt_i32 s21, s12
	s_waitcnt lgkmcnt(0)
	v_mul_f32_e32 v4, v10, v8
	v_mul_f32_e32 v10, v10, v7
	v_fma_f32 v4, v9, v7, -v4
	v_fmac_f32_e32 v10, v9, v8
	v_sub_f32_e32 v1, v1, v4
	v_sub_f32_e32 v2, v2, v10
	s_cbranch_scc1 .LBB150_41
; %bb.42:                               ;   in Loop: Header=BB150_40 Depth=1
	buffer_store_dword v1, off, s[0:3], 0
	buffer_store_dword v2, off, s[0:3], 0 offset:4
.LBB150_43:                             ;   in Loop: Header=BB150_40 Depth=1
	s_mul_i32 s15, s12, 0x88
	v_mov_b32_e32 v3, s15
	ds_read_b64 v[8:9], v3
	s_addk_i32 s20, 0xff80
	v_add_u32_e32 v7, s20, v25
	ds_read_b64 v[3:4], v7
	s_cmp_le_i32 s26, s12
	s_waitcnt lgkmcnt(1)
	v_mul_f32_e32 v10, v9, v2
	v_mul_f32_e32 v11, v8, v2
	v_fma_f32 v10, v8, v1, -v10
	v_fmac_f32_e32 v11, v9, v1
	v_mov_b32_e32 v1, v5
	s_mov_b32 s20, s14
	s_mov_b32 s21, s26
	ds_write_b64 v6, v[10:11]
	s_waitcnt lgkmcnt(1)
	buffer_store_dword v3, off, s[0:3], 0
	buffer_store_dword v4, off, s[0:3], 0 offset:4
	s_cbranch_scc1 .LBB150_39
.LBB150_44:                             ;   Parent Loop BB150_40 Depth=1
                                        ; =>  This Inner Loop Header: Depth=2
	v_mov_b32_e32 v2, s20
	ds_read_b64 v[8:9], v1
	ds_read_b64 v[10:11], v2
	s_add_i32 s21, s21, -1
	s_add_i32 s20, s20, -8
	v_add_u32_e32 v1, 0xffffff80, v1
	s_cmp_gt_i32 s21, s12
	s_waitcnt lgkmcnt(0)
	v_mul_f32_e32 v2, v11, v9
	v_mul_f32_e32 v6, v11, v8
	v_fma_f32 v2, v10, v8, -v2
	v_fmac_f32_e32 v6, v10, v9
	v_sub_f32_e32 v3, v3, v2
	v_sub_f32_e32 v4, v4, v6
	s_cbranch_scc1 .LBB150_44
; %bb.45:                               ;   in Loop: Header=BB150_40 Depth=1
	buffer_store_dword v3, off, s[0:3], 0
	buffer_store_dword v4, off, s[0:3], 0 offset:4
	s_branch .LBB150_39
.LBB150_46:
	s_mov_b64 s[12:13], 0
.LBB150_47:
	s_and_b64 vcc, exec, s[12:13]
	s_cbranch_vccz .LBB150_68
; %bb.48:
	v_mov_b32_e32 v1, 0x800
	s_mov_b32 s13, 0
	v_lshl_or_b32 v3, v0, 3, v1
	s_mov_b32 s12, s13
	s_mov_b32 s9, s13
	s_branch .LBB150_50
.LBB150_49:                             ;   in Loop: Header=BB150_50 Depth=1
	s_cmp_ge_i32 s9, s26
	s_cselect_b64 s[14:15], -1, 0
	s_add_i32 s12, s12, 1
	s_cmp_eq_u32 s12, 3
	s_cselect_b64 s[20:21], -1, 0
	s_or_b64 s[14:15], s[14:15], s[20:21]
	s_and_b64 vcc, exec, s[14:15]
	s_cbranch_vccnz .LBB150_68
.LBB150_50:                             ; =>This Loop Header: Depth=1
                                        ;     Child Loop BB150_53 Depth 2
                                        ;       Child Loop BB150_54 Depth 3
                                        ;       Child Loop BB150_57 Depth 3
                                        ;         Child Loop BB150_58 Depth 4
                                        ;       Child Loop BB150_62 Depth 3
                                        ;         Child Loop BB150_64 Depth 4
	s_lshl_b64 s[14:15], s[12:13], 2
	s_getpc_b64 s[20:21]
	s_add_u32 s20, s20, __const._ZL38rocblas_trsm_small_left_device_sharedBILi16ELi16ELb1E19rocblas_complex_numIfES1_PKS1_PS1_Ev13rocblas_fill_18rocblas_operation_17rocblas_diagonal_iiT3_T4_lilT5_lili.step_sizes@rel32@lo+4
	s_addc_u32 s21, s21, __const._ZL38rocblas_trsm_small_left_device_sharedBILi16ELi16ELb1E19rocblas_complex_numIfES1_PKS1_PS1_Ev13rocblas_fill_18rocblas_operation_17rocblas_diagonal_iiT3_T4_lilT5_lili.step_sizes@rel32@hi+12
	s_add_u32 s14, s20, s14
	s_addc_u32 s15, s21, s15
	s_load_dword s20, s[14:15], 0x0
	s_waitcnt lgkmcnt(0)
	s_add_i32 s21, s20, -1
	s_add_i32 s14, s21, s9
	s_cmp_ge_i32 s14, s26
	s_cbranch_scc1 .LBB150_49
; %bb.51:                               ;   in Loop: Header=BB150_50 Depth=1
	s_max_i32 s22, s20, 1
	v_lshl_add_u32 v4, s9, 7, v3
	s_lshl_b32 s23, s20, 7
	s_lshl_b32 s25, s9, 3
	;; [unrolled: 1-line block ×3, first 2 shown]
	s_mul_i32 s28, s9, 0x88
	s_mul_i32 s29, s20, 0x88
	s_branch .LBB150_53
.LBB150_52:                             ;   in Loop: Header=BB150_53 Depth=2
	s_add_i32 s9, s9, s20
	s_add_i32 s14, s21, s9
	;; [unrolled: 1-line block ×4, first 2 shown]
	s_cmp_ge_i32 s14, s26
	v_add_u32_e32 v4, s23, v4
	s_cbranch_scc1 .LBB150_49
.LBB150_53:                             ;   Parent Loop BB150_50 Depth=1
                                        ; =>  This Loop Header: Depth=2
                                        ;       Child Loop BB150_54 Depth 3
                                        ;       Child Loop BB150_57 Depth 3
                                        ;         Child Loop BB150_58 Depth 4
                                        ;       Child Loop BB150_62 Depth 3
                                        ;         Child Loop BB150_64 Depth 4
	s_mov_b32 s14, 0
	v_mov_b32_e32 v1, v4
	s_mov_b32 s15, s22
.LBB150_54:                             ;   Parent Loop BB150_50 Depth=1
                                        ;     Parent Loop BB150_53 Depth=2
                                        ; =>    This Inner Loop Header: Depth=3
	ds_read_b64 v[5:6], v1
	v_mov_b32_e32 v2, s14
	s_add_i32 s15, s15, -1
	s_add_i32 s14, s14, 8
	v_add_u32_e32 v1, 0x80, v1
	s_cmp_eq_u32 s15, 0
	s_waitcnt lgkmcnt(0)
	buffer_store_dword v6, v2, s[0:3], 0 offen offset:4
	buffer_store_dword v5, v2, s[0:3], 0 offen
	s_cbranch_scc0 .LBB150_54
; %bb.55:                               ;   in Loop: Header=BB150_53 Depth=2
	s_cmp_lt_i32 s9, 1
	s_cbranch_scc1 .LBB150_60
; %bb.56:                               ;   in Loop: Header=BB150_53 Depth=2
	s_mov_b32 s14, 0
	s_mov_b32 s15, s25
.LBB150_57:                             ;   Parent Loop BB150_50 Depth=1
                                        ;     Parent Loop BB150_53 Depth=2
                                        ; =>    This Loop Header: Depth=3
                                        ;         Child Loop BB150_58 Depth 4
	v_lshl_add_u32 v1, s14, 7, v25
	ds_read_b64 v[1:2], v1
	s_mov_b32 s30, 0
	s_mov_b32 s31, s15
	;; [unrolled: 1-line block ×3, first 2 shown]
.LBB150_58:                             ;   Parent Loop BB150_50 Depth=1
                                        ;     Parent Loop BB150_53 Depth=2
                                        ;       Parent Loop BB150_57 Depth=3
                                        ; =>      This Inner Loop Header: Depth=4
	v_mov_b32_e32 v7, s30
	buffer_load_dword v8, v7, s[0:3], 0 offen
	buffer_load_dword v9, v7, s[0:3], 0 offen offset:4
	v_mov_b32_e32 v5, s31
	ds_read_b64 v[5:6], v5
	s_add_i32 s33, s33, -1
	s_add_i32 s31, s31, 8
	s_add_i32 s30, s30, 8
	s_cmp_eq_u32 s33, 0
	s_waitcnt lgkmcnt(0)
	v_mul_f32_e32 v10, v6, v2
	v_mul_f32_e32 v6, v6, v1
	v_fma_f32 v10, v5, v1, -v10
	v_fmac_f32_e32 v6, v5, v2
	s_waitcnt vmcnt(1)
	v_sub_f32_e32 v5, v8, v10
	s_waitcnt vmcnt(0)
	v_sub_f32_e32 v6, v9, v6
	buffer_store_dword v5, v7, s[0:3], 0 offen
	buffer_store_dword v6, v7, s[0:3], 0 offen offset:4
	s_cbranch_scc0 .LBB150_58
; %bb.59:                               ;   in Loop: Header=BB150_57 Depth=3
	s_add_i32 s14, s14, 1
	s_addk_i32 s15, 0x80
	s_cmp_eq_u32 s14, s9
	s_cbranch_scc0 .LBB150_57
.LBB150_60:                             ;   in Loop: Header=BB150_53 Depth=2
	s_mov_b32 s30, 0
	s_mov_b32 s31, s28
	s_branch .LBB150_62
.LBB150_61:                             ;   in Loop: Header=BB150_62 Depth=3
	s_add_i32 s14, s30, s9
	s_mul_i32 s15, s14, 0x88
	v_mov_b32_e32 v5, s15
	ds_read_b64 v[5:6], v5
	s_lshl_b32 s15, s30, 3
	s_add_i32 s30, s30, 1
	s_add_i32 s31, s31, 8
	v_mov_b32_e32 v9, s15
	s_waitcnt vmcnt(0) lgkmcnt(0)
	v_mul_f32_e32 v7, v6, v2
	v_mul_f32_e32 v8, v5, v2
	v_fma_f32 v7, v5, v1, -v7
	v_fmac_f32_e32 v8, v6, v1
	v_lshl_add_u32 v1, s14, 7, v25
	s_cmp_eq_u32 s30, s22
	buffer_store_dword v7, v9, s[0:3], 0 offen
	buffer_store_dword v8, v9, s[0:3], 0 offen offset:4
	ds_write_b64 v1, v[7:8]
	s_cbranch_scc1 .LBB150_52
.LBB150_62:                             ;   Parent Loop BB150_50 Depth=1
                                        ;     Parent Loop BB150_53 Depth=2
                                        ; =>    This Loop Header: Depth=3
                                        ;         Child Loop BB150_64 Depth 4
	s_cmp_lg_u32 s30, 0
	s_cbranch_scc0 .LBB150_66
; %bb.63:                               ;   in Loop: Header=BB150_62 Depth=3
	s_lshl_b32 s14, s30, 3
	v_mov_b32_e32 v5, s14
	buffer_load_dword v1, v5, s[0:3], 0 offen
	buffer_load_dword v2, v5, s[0:3], 0 offen offset:4
	s_mov_b32 s14, 0
	s_mov_b32 s15, s31
	;; [unrolled: 1-line block ×3, first 2 shown]
.LBB150_64:                             ;   Parent Loop BB150_50 Depth=1
                                        ;     Parent Loop BB150_53 Depth=2
                                        ;       Parent Loop BB150_62 Depth=3
                                        ; =>      This Inner Loop Header: Depth=4
	v_mov_b32_e32 v6, s14
	buffer_load_dword v8, v6, s[0:3], 0 offen offset:4
	buffer_load_dword v9, v6, s[0:3], 0 offen
	v_mov_b32_e32 v6, s15
	ds_read_b64 v[6:7], v6
	s_add_i32 s33, s33, -1
	s_addk_i32 s15, 0x80
	s_add_i32 s14, s14, 8
	s_cmp_eq_u32 s33, 0
	s_waitcnt vmcnt(1) lgkmcnt(0)
	v_mul_f32_e32 v10, v7, v8
	v_mul_f32_e32 v8, v6, v8
	s_waitcnt vmcnt(0)
	v_fma_f32 v6, v6, v9, -v10
	v_fmac_f32_e32 v8, v7, v9
	v_sub_f32_e32 v1, v1, v6
	v_sub_f32_e32 v2, v2, v8
	buffer_store_dword v1, v5, s[0:3], 0 offen
	buffer_store_dword v2, v5, s[0:3], 0 offen offset:4
	s_cbranch_scc0 .LBB150_64
; %bb.65:                               ;   in Loop: Header=BB150_62 Depth=3
	s_branch .LBB150_61
.LBB150_66:                             ;   in Loop: Header=BB150_62 Depth=3
                                        ; implicit-def: $vgpr1
                                        ; implicit-def: $vgpr2
	s_cbranch_execz .LBB150_61
; %bb.67:                               ;   in Loop: Header=BB150_62 Depth=3
	buffer_load_dword v1, off, s[0:3], 0
	buffer_load_dword v2, off, s[0:3], 0 offset:4
	s_branch .LBB150_61
.LBB150_68:
	s_waitcnt lgkmcnt(0)
	; wave barrier
	s_and_saveexec_b64 s[12:13], s[4:5]
	s_cbranch_execz .LBB150_72
; %bb.69:
	s_andn2_b64 vcc, exec, s[6:7]
	s_cbranch_vccnz .LBB150_72
; %bb.70:
	s_lshl_b64 s[4:5], s[18:19], 3
	s_add_u32 s6, s10, s4
	s_addc_u32 s7, s11, s5
	s_lshl_b64 s[4:5], s[16:17], 3
	s_add_u32 s9, s6, s4
	s_addc_u32 s10, s7, s5
	v_mad_i64_i32 v[1:2], s[6:7], s24, v0, 0
	s_mul_hi_i32 s5, s24, s8
	s_mul_i32 s4, s24, s8
	s_lshl_b64 s[4:5], s[4:5], 3
	s_add_u32 s4, s9, s4
	v_lshlrev_b64 v[1:2], 3, v[1:2]
	s_addc_u32 s5, s10, s5
	v_mov_b32_e32 v3, s5
	v_add_co_u32_e32 v1, vcc, s4, v1
	v_addc_co_u32_e32 v2, vcc, v3, v2, vcc
	v_mov_b32_e32 v3, 0x800
	v_lshl_or_b32 v0, v0, 3, v3
.LBB150_71:                             ; =>This Inner Loop Header: Depth=1
	ds_read_b64 v[3:4], v0
	s_add_i32 s26, s26, -1
	v_add_u32_e32 v0, 0x80, v0
	s_cmp_lg_u32 s26, 0
	s_waitcnt lgkmcnt(0)
	global_store_dwordx2 v[1:2], v[3:4], off
	v_add_co_u32_e32 v1, vcc, 8, v1
	v_addc_co_u32_e32 v2, vcc, 0, v2, vcc
	s_cbranch_scc1 .LBB150_71
.LBB150_72:
	s_endpgm
	.section	.rodata,"a",@progbits
	.p2align	6, 0x0
	.amdhsa_kernel _ZL38rocblas_trsm_small_left_device_sharedBILi16ELi16ELb1E19rocblas_complex_numIfES1_PKS1_PS1_Ev13rocblas_fill_18rocblas_operation_17rocblas_diagonal_iiT3_T4_lilT5_lili
		.amdhsa_group_segment_fixed_size 4096
		.amdhsa_private_segment_fixed_size 144
		.amdhsa_kernarg_size 360
		.amdhsa_user_sgpr_count 6
		.amdhsa_user_sgpr_private_segment_buffer 1
		.amdhsa_user_sgpr_dispatch_ptr 0
		.amdhsa_user_sgpr_queue_ptr 0
		.amdhsa_user_sgpr_kernarg_segment_ptr 1
		.amdhsa_user_sgpr_dispatch_id 0
		.amdhsa_user_sgpr_flat_scratch_init 0
		.amdhsa_user_sgpr_private_segment_size 0
		.amdhsa_uses_dynamic_stack 0
		.amdhsa_system_sgpr_private_segment_wavefront_offset 1
		.amdhsa_system_sgpr_workgroup_id_x 1
		.amdhsa_system_sgpr_workgroup_id_y 0
		.amdhsa_system_sgpr_workgroup_id_z 1
		.amdhsa_system_sgpr_workgroup_info 0
		.amdhsa_system_vgpr_workitem_id 0
		.amdhsa_next_free_vgpr 58
		.amdhsa_next_free_sgpr 98
		.amdhsa_reserve_vcc 1
		.amdhsa_reserve_flat_scratch 0
		.amdhsa_float_round_mode_32 0
		.amdhsa_float_round_mode_16_64 0
		.amdhsa_float_denorm_mode_32 3
		.amdhsa_float_denorm_mode_16_64 3
		.amdhsa_dx10_clamp 1
		.amdhsa_ieee_mode 1
		.amdhsa_fp16_overflow 0
		.amdhsa_exception_fp_ieee_invalid_op 0
		.amdhsa_exception_fp_denorm_src 0
		.amdhsa_exception_fp_ieee_div_zero 0
		.amdhsa_exception_fp_ieee_overflow 0
		.amdhsa_exception_fp_ieee_underflow 0
		.amdhsa_exception_fp_ieee_inexact 0
		.amdhsa_exception_int_div_zero 0
	.end_amdhsa_kernel
	.section	.text._ZL38rocblas_trsm_small_left_device_sharedBILi16ELi16ELb1E19rocblas_complex_numIfES1_PKS1_PS1_Ev13rocblas_fill_18rocblas_operation_17rocblas_diagonal_iiT3_T4_lilT5_lili,"axG",@progbits,_ZL38rocblas_trsm_small_left_device_sharedBILi16ELi16ELb1E19rocblas_complex_numIfES1_PKS1_PS1_Ev13rocblas_fill_18rocblas_operation_17rocblas_diagonal_iiT3_T4_lilT5_lili,comdat
.Lfunc_end150:
	.size	_ZL38rocblas_trsm_small_left_device_sharedBILi16ELi16ELb1E19rocblas_complex_numIfES1_PKS1_PS1_Ev13rocblas_fill_18rocblas_operation_17rocblas_diagonal_iiT3_T4_lilT5_lili, .Lfunc_end150-_ZL38rocblas_trsm_small_left_device_sharedBILi16ELi16ELb1E19rocblas_complex_numIfES1_PKS1_PS1_Ev13rocblas_fill_18rocblas_operation_17rocblas_diagonal_iiT3_T4_lilT5_lili
                                        ; -- End function
	.set _ZL38rocblas_trsm_small_left_device_sharedBILi16ELi16ELb1E19rocblas_complex_numIfES1_PKS1_PS1_Ev13rocblas_fill_18rocblas_operation_17rocblas_diagonal_iiT3_T4_lilT5_lili.num_vgpr, 58
	.set _ZL38rocblas_trsm_small_left_device_sharedBILi16ELi16ELb1E19rocblas_complex_numIfES1_PKS1_PS1_Ev13rocblas_fill_18rocblas_operation_17rocblas_diagonal_iiT3_T4_lilT5_lili.num_agpr, 0
	.set _ZL38rocblas_trsm_small_left_device_sharedBILi16ELi16ELb1E19rocblas_complex_numIfES1_PKS1_PS1_Ev13rocblas_fill_18rocblas_operation_17rocblas_diagonal_iiT3_T4_lilT5_lili.numbered_sgpr, 34
	.set _ZL38rocblas_trsm_small_left_device_sharedBILi16ELi16ELb1E19rocblas_complex_numIfES1_PKS1_PS1_Ev13rocblas_fill_18rocblas_operation_17rocblas_diagonal_iiT3_T4_lilT5_lili.num_named_barrier, 0
	.set _ZL38rocblas_trsm_small_left_device_sharedBILi16ELi16ELb1E19rocblas_complex_numIfES1_PKS1_PS1_Ev13rocblas_fill_18rocblas_operation_17rocblas_diagonal_iiT3_T4_lilT5_lili.private_seg_size, 144
	.set _ZL38rocblas_trsm_small_left_device_sharedBILi16ELi16ELb1E19rocblas_complex_numIfES1_PKS1_PS1_Ev13rocblas_fill_18rocblas_operation_17rocblas_diagonal_iiT3_T4_lilT5_lili.uses_vcc, 1
	.set _ZL38rocblas_trsm_small_left_device_sharedBILi16ELi16ELb1E19rocblas_complex_numIfES1_PKS1_PS1_Ev13rocblas_fill_18rocblas_operation_17rocblas_diagonal_iiT3_T4_lilT5_lili.uses_flat_scratch, 0
	.set _ZL38rocblas_trsm_small_left_device_sharedBILi16ELi16ELb1E19rocblas_complex_numIfES1_PKS1_PS1_Ev13rocblas_fill_18rocblas_operation_17rocblas_diagonal_iiT3_T4_lilT5_lili.has_dyn_sized_stack, 0
	.set _ZL38rocblas_trsm_small_left_device_sharedBILi16ELi16ELb1E19rocblas_complex_numIfES1_PKS1_PS1_Ev13rocblas_fill_18rocblas_operation_17rocblas_diagonal_iiT3_T4_lilT5_lili.has_recursion, 0
	.set _ZL38rocblas_trsm_small_left_device_sharedBILi16ELi16ELb1E19rocblas_complex_numIfES1_PKS1_PS1_Ev13rocblas_fill_18rocblas_operation_17rocblas_diagonal_iiT3_T4_lilT5_lili.has_indirect_call, 0
	.section	.AMDGPU.csdata,"",@progbits
; Kernel info:
; codeLenInByte = 15420
; TotalNumSgprs: 38
; NumVgprs: 58
; ScratchSize: 144
; MemoryBound: 0
; FloatMode: 240
; IeeeMode: 1
; LDSByteSize: 4096 bytes/workgroup (compile time only)
; SGPRBlocks: 12
; VGPRBlocks: 14
; NumSGPRsForWavesPerEU: 102
; NumVGPRsForWavesPerEU: 58
; Occupancy: 4
; WaveLimiterHint : 1
; COMPUTE_PGM_RSRC2:SCRATCH_EN: 1
; COMPUTE_PGM_RSRC2:USER_SGPR: 6
; COMPUTE_PGM_RSRC2:TRAP_HANDLER: 0
; COMPUTE_PGM_RSRC2:TGID_X_EN: 1
; COMPUTE_PGM_RSRC2:TGID_Y_EN: 0
; COMPUTE_PGM_RSRC2:TGID_Z_EN: 1
; COMPUTE_PGM_RSRC2:TIDIG_COMP_CNT: 0
	.section	.text._ZL30rocblas_trsm_small_left_deviceILi16ELi16ELb1E19rocblas_complex_numIfES1_PKS1_PS1_Ev13rocblas_fill_18rocblas_operation_17rocblas_diagonal_iiT3_T4_lilT5_lili,"axG",@progbits,_ZL30rocblas_trsm_small_left_deviceILi16ELi16ELb1E19rocblas_complex_numIfES1_PKS1_PS1_Ev13rocblas_fill_18rocblas_operation_17rocblas_diagonal_iiT3_T4_lilT5_lili,comdat
	.globl	_ZL30rocblas_trsm_small_left_deviceILi16ELi16ELb1E19rocblas_complex_numIfES1_PKS1_PS1_Ev13rocblas_fill_18rocblas_operation_17rocblas_diagonal_iiT3_T4_lilT5_lili ; -- Begin function _ZL30rocblas_trsm_small_left_deviceILi16ELi16ELb1E19rocblas_complex_numIfES1_PKS1_PS1_Ev13rocblas_fill_18rocblas_operation_17rocblas_diagonal_iiT3_T4_lilT5_lili
	.p2align	8
	.type	_ZL30rocblas_trsm_small_left_deviceILi16ELi16ELb1E19rocblas_complex_numIfES1_PKS1_PS1_Ev13rocblas_fill_18rocblas_operation_17rocblas_diagonal_iiT3_T4_lilT5_lili,@function
_ZL30rocblas_trsm_small_left_deviceILi16ELi16ELb1E19rocblas_complex_numIfES1_PKS1_PS1_Ev13rocblas_fill_18rocblas_operation_17rocblas_diagonal_iiT3_T4_lilT5_lili: ; @_ZL30rocblas_trsm_small_left_deviceILi16ELi16ELb1E19rocblas_complex_numIfES1_PKS1_PS1_Ev13rocblas_fill_18rocblas_operation_17rocblas_diagonal_iiT3_T4_lilT5_lili
; %bb.0:
	s_add_u32 s0, s0, s8
	s_load_dwordx4 s[12:15], s[4:5], 0x4
	s_load_dwordx2 s[16:17], s[4:5], 0x14
	s_load_dwordx4 s[8:11], s[4:5], 0x38
	s_load_dwordx2 s[18:19], s[4:5], 0x48
	s_load_dword s27, s[4:5], 0x68
	s_addc_u32 s1, s1, 0
	s_waitcnt lgkmcnt(0)
	s_min_i32 s26, s14, 16
	v_cmp_gt_i32_e32 vcc, s26, v0
	s_and_saveexec_b64 s[20:21], vcc
	s_cbranch_execz .LBB151_15
; %bb.1:
	s_load_dword s24, s[4:5], 0x30
	s_load_dwordx4 s[28:31], s[4:5], 0x20
	s_mul_i32 s9, s9, s7
	s_mul_hi_u32 s14, s8, s7
	s_mul_i32 s8, s8, s7
	s_waitcnt lgkmcnt(0)
	s_ashr_i32 s25, s24, 31
	s_cmpk_lg_i32 s12, 0x71
	s_cselect_b64 s[22:23], -1, 0
	s_add_i32 s9, s14, s9
	s_lshl_b64 s[8:9], s[8:9], 3
	s_lshl_b64 s[30:31], s[30:31], 3
	s_add_u32 s8, s8, s30
	s_addc_u32 s9, s9, s31
	s_add_u32 s8, s28, s8
	v_lshlrev_b32_e32 v5, 3, v0
	s_addc_u32 s9, s29, s9
	v_mov_b32_e32 v1, s9
	v_add_co_u32_e32 v2, vcc, s8, v5
	v_addc_co_u32_e32 v3, vcc, 0, v1, vcc
	v_add_co_u32_e32 v1, vcc, 4, v2
	s_lshl_b64 s[8:9], s[24:25], 3
	v_addc_co_u32_e32 v2, vcc, 0, v3, vcc
	v_mov_b32_e32 v6, s9
	v_mov_b32_e32 v7, v5
	s_mov_b32 s9, s26
	s_branch .LBB151_3
.LBB151_2:                              ;   in Loop: Header=BB151_3 Depth=1
	global_load_dword v3, v[1:2], off offset:-4
	s_add_i32 s9, s9, -1
	v_add_co_u32_e32 v1, vcc, s8, v1
	v_addc_co_u32_e32 v2, vcc, v2, v6, vcc
	s_cmp_eq_u32 s9, 0
	s_waitcnt vmcnt(0)
	ds_write_b64 v7, v[3:4]
	v_add_u32_e32 v7, 0x80, v7
	s_cbranch_scc1 .LBB151_7
.LBB151_3:                              ; =>This Inner Loop Header: Depth=1
	s_mov_b64 s[24:25], -1
	s_and_b64 vcc, exec, s[22:23]
                                        ; implicit-def: $vgpr4
	s_cbranch_vccz .LBB151_5
; %bb.4:                                ;   in Loop: Header=BB151_3 Depth=1
	global_load_dword v4, v[1:2], off
	s_mov_b64 s[24:25], 0
.LBB151_5:                              ;   in Loop: Header=BB151_3 Depth=1
	s_andn2_b64 vcc, exec, s[24:25]
	s_cbranch_vccnz .LBB151_2
; %bb.6:                                ;   in Loop: Header=BB151_3 Depth=1
	global_load_dword v3, v[1:2], off
	s_waitcnt vmcnt(0)
	v_xor_b32_e32 v4, 0x80000000, v3
	s_branch .LBB151_2
.LBB151_7:
	s_cmpk_lg_i32 s13, 0x84
	v_lshlrev_b32_e32 v6, 7, v0
	s_mov_b64 s[8:9], -1
	s_cbranch_scc0 .LBB151_13
; %bb.8:
	v_add_u32_e32 v7, v5, v6
	ds_read_b64 v[1:2], v7
                                        ; implicit-def: $vgpr3
	s_waitcnt lgkmcnt(0)
	v_cmp_ngt_f32_e64 s[8:9], |v1|, |v2|
	s_and_saveexec_b64 s[22:23], s[8:9]
	s_xor_b64 s[8:9], exec, s[22:23]
	s_cbranch_execz .LBB151_10
; %bb.9:
	v_div_scale_f32 v3, s[22:23], v2, v2, v1
	v_div_scale_f32 v4, vcc, v1, v2, v1
	v_rcp_f32_e32 v8, v3
	v_fma_f32 v9, -v3, v8, 1.0
	v_fmac_f32_e32 v8, v9, v8
	v_mul_f32_e32 v9, v4, v8
	v_fma_f32 v10, -v3, v9, v4
	v_fmac_f32_e32 v9, v10, v8
	v_fma_f32 v3, -v3, v9, v4
	v_div_fmas_f32 v3, v3, v8, v9
	v_div_fixup_f32 v3, v3, v2, v1
	v_fmac_f32_e32 v2, v1, v3
	v_div_scale_f32 v1, s[22:23], v2, v2, 1.0
	v_div_scale_f32 v4, vcc, 1.0, v2, 1.0
	v_rcp_f32_e32 v8, v1
	v_fma_f32 v9, -v1, v8, 1.0
	v_fmac_f32_e32 v8, v9, v8
	v_mul_f32_e32 v9, v4, v8
	v_fma_f32 v10, -v1, v9, v4
	v_fmac_f32_e32 v9, v10, v8
	v_fma_f32 v1, -v1, v9, v4
	v_div_fmas_f32 v1, v1, v8, v9
	v_add_f32_e32 v4, 0, v3
	v_fma_f32 v8, v3, 0, -1.0
	v_div_fixup_f32 v1, v1, v2, 1.0
	v_mul_f32_e32 v3, v4, v1
	v_mul_f32_e32 v4, v8, v1
                                        ; implicit-def: $vgpr1_vgpr2
.LBB151_10:
	s_andn2_saveexec_b64 s[8:9], s[8:9]
	s_cbranch_execz .LBB151_12
; %bb.11:
	v_div_scale_f32 v3, s[22:23], v1, v1, v2
	v_div_scale_f32 v4, vcc, v2, v1, v2
	v_rcp_f32_e32 v8, v3
	v_fma_f32 v9, -v3, v8, 1.0
	v_fmac_f32_e32 v8, v9, v8
	v_mul_f32_e32 v9, v4, v8
	v_fma_f32 v10, -v3, v9, v4
	v_fmac_f32_e32 v9, v10, v8
	v_fma_f32 v3, -v3, v9, v4
	v_div_fmas_f32 v3, v3, v8, v9
	v_div_fixup_f32 v4, v3, v1, v2
	v_fmac_f32_e32 v1, v2, v4
	v_div_scale_f32 v2, s[22:23], v1, v1, 1.0
	v_div_scale_f32 v3, vcc, 1.0, v1, 1.0
	v_rcp_f32_e32 v8, v2
	v_fma_f32 v9, -v2, v8, 1.0
	v_fmac_f32_e32 v8, v9, v8
	v_mul_f32_e32 v9, v3, v8
	v_fma_f32 v10, -v2, v9, v3
	v_fmac_f32_e32 v9, v10, v8
	v_fma_f32 v2, -v2, v9, v3
	v_div_fmas_f32 v2, v2, v8, v9
	v_fma_f32 v3, v4, 0, 1.0
	v_div_fixup_f32 v1, v2, v1, 1.0
	v_mul_f32_e32 v3, v3, v1
	v_mul_f32_e64 v4, -v4, v1
.LBB151_12:
	s_or_b64 exec, exec, s[8:9]
	s_mov_b64 s[8:9], 0
	ds_write_b64 v7, v[3:4]
.LBB151_13:
	s_and_b64 vcc, exec, s[8:9]
	s_cbranch_vccz .LBB151_15
; %bb.14:
	v_add_u32_e32 v3, v5, v6
	v_mov_b32_e32 v1, 1.0
	v_mov_b32_e32 v2, 0
	ds_write_b64 v3, v[1:2]
.LBB151_15:
	s_or_b64 exec, exec, s[20:21]
	s_lshl_b32 s8, s6, 4
	s_add_i32 s27, s27, -1
	s_sub_i32 s9, s15, s8
	s_cmp_ge_u32 s6, s27
	s_cselect_b32 s6, s9, 16
	v_cmp_gt_i32_e32 vcc, s6, v0
	s_waitcnt lgkmcnt(0)
	; wave barrier
	s_and_saveexec_b64 s[14:15], vcc
	s_cbranch_execz .LBB151_58
; %bb.16:
	s_load_dwordx2 s[14:15], s[4:5], 0x58
	s_load_dword s6, s[4:5], 0x50
	v_add_u32_e32 v0, s8, v0
	s_waitcnt lgkmcnt(0)
	s_mul_i32 s5, s15, s7
	s_mul_hi_u32 s8, s14, s7
	s_mul_i32 s4, s14, s7
	s_add_i32 s5, s8, s5
	v_mad_i64_i32 v[0:1], s[6:7], s6, v0, 0
	s_lshl_b64 s[4:5], s[4:5], 3
	s_add_u32 s8, s10, s4
	s_addc_u32 s9, s11, s5
	s_lshl_b64 s[6:7], s[18:19], 3
	s_add_u32 s8, s8, s6
	v_lshlrev_b64 v[0:1], 3, v[0:1]
	s_addc_u32 s9, s9, s7
	v_mov_b32_e32 v2, s9
	v_add_co_u32_e32 v4, vcc, s8, v0
	v_addc_co_u32_e32 v5, vcc, v2, v1, vcc
	s_cmpk_eq_i32 s12, 0x6f
	s_mov_b64 s[8:9], -1
	s_cbranch_scc1 .LBB151_37
; %bb.17:
	s_add_i32 s22, s26, -1
	s_add_u32 s8, s10, s6
	s_addc_u32 s9, s11, s7
	s_add_u32 s8, s8, s4
	s_addc_u32 s9, s9, s5
	v_mov_b32_e32 v2, s9
	v_add_co_u32_e32 v3, vcc, s8, v0
	v_addc_co_u32_e32 v2, vcc, v2, v1, vcc
	v_add_co_u32_e32 v6, vcc, 4, v3
	s_lshl_b32 s23, s26, 3
	s_mov_b32 s9, 0
	v_addc_co_u32_e32 v7, vcc, 0, v2, vcc
	s_add_i32 s23, s23, -8
	s_mov_b32 s8, s9
	s_mov_b32 s12, s22
	s_branch .LBB151_19
.LBB151_18:                             ;   in Loop: Header=BB151_19 Depth=1
	s_cmp_lt_i32 s12, 0
	s_cselect_b64 s[14:15], -1, 0
	s_add_i32 s8, s8, 1
	s_cmp_eq_u32 s8, 3
	s_cselect_b64 s[18:19], -1, 0
	s_or_b64 s[14:15], s[14:15], s[18:19]
	s_andn2_b64 vcc, exec, s[14:15]
	s_cbranch_vccz .LBB151_36
.LBB151_19:                             ; =>This Loop Header: Depth=1
                                        ;     Child Loop BB151_22 Depth 2
                                        ;       Child Loop BB151_23 Depth 3
                                        ;       Child Loop BB151_25 Depth 3
                                        ;         Child Loop BB151_26 Depth 4
                                        ;       Child Loop BB151_30 Depth 3
                                        ;         Child Loop BB151_32 Depth 4
	s_lshl_b64 s[14:15], s[8:9], 2
	s_getpc_b64 s[18:19]
	s_add_u32 s18, s18, __const._ZL30rocblas_trsm_small_left_deviceILi16ELi16ELb1E19rocblas_complex_numIfES1_PKS1_PS1_Ev13rocblas_fill_18rocblas_operation_17rocblas_diagonal_iiT3_T4_lilT5_lili.step_sizes@rel32@lo+4
	s_addc_u32 s19, s19, __const._ZL30rocblas_trsm_small_left_deviceILi16ELi16ELb1E19rocblas_complex_numIfES1_PKS1_PS1_Ev13rocblas_fill_18rocblas_operation_17rocblas_diagonal_iiT3_T4_lilT5_lili.step_sizes@rel32@hi+12
	s_add_u32 s14, s18, s14
	s_addc_u32 s15, s19, s15
	s_load_dword s24, s[14:15], 0x0
	s_waitcnt lgkmcnt(0)
	s_add_i32 s25, s24, -1
	s_cmp_lt_i32 s12, s25
	s_cbranch_scc1 .LBB151_18
; %bb.20:                               ;   in Loop: Header=BB151_19 Depth=1
	s_lshl_b32 s13, s12, 7
	s_add_i32 s28, s23, s13
	s_lshl_b32 s13, s24, 7
	s_max_i32 s27, s24, 1
	s_sub_i32 s29, 0, s13
	s_mul_i32 s30, s12, 0x88
	s_mul_i32 s31, s24, 0xffffff78
	s_branch .LBB151_22
.LBB151_21:                             ;   in Loop: Header=BB151_22 Depth=2
	s_sub_i32 s12, s12, s24
	s_add_i32 s28, s28, s29
	s_add_i32 s30, s30, s31
	s_cmp_lt_i32 s12, s25
	s_cbranch_scc1 .LBB151_18
.LBB151_22:                             ;   Parent Loop BB151_19 Depth=1
                                        ; =>  This Loop Header: Depth=2
                                        ;       Child Loop BB151_23 Depth 3
                                        ;       Child Loop BB151_25 Depth 3
                                        ;         Child Loop BB151_26 Depth 4
                                        ;       Child Loop BB151_30 Depth 3
                                        ;         Child Loop BB151_32 Depth 4
	s_ashr_i32 s13, s12, 31
	s_lshl_b64 s[14:15], s[12:13], 3
	v_mov_b32_e32 v3, s15
	v_add_co_u32_e32 v2, vcc, s14, v6
	v_addc_co_u32_e32 v3, vcc, v7, v3, vcc
	s_mov_b32 s14, 0
	s_mov_b32 s15, s27
.LBB151_23:                             ;   Parent Loop BB151_19 Depth=1
                                        ;     Parent Loop BB151_22 Depth=2
                                        ; =>    This Inner Loop Header: Depth=3
	global_load_dwordx2 v[8:9], v[2:3], off offset:-4
	v_mov_b32_e32 v10, s14
	s_add_i32 s15, s15, -1
	v_add_co_u32_e32 v2, vcc, -8, v2
	s_add_i32 s14, s14, 8
	v_addc_co_u32_e32 v3, vcc, -1, v3, vcc
	s_cmp_eq_u32 s15, 0
	s_waitcnt vmcnt(0)
	v_mul_f32_e32 v11, s17, v9
	v_mul_f32_e32 v9, s16, v9
	v_fma_f32 v11, v8, s16, -v11
	v_fmac_f32_e32 v9, s17, v8
	buffer_store_dword v11, v10, s[0:3], 0 offen
	buffer_store_dword v9, v10, s[0:3], 0 offen offset:4
	s_cbranch_scc0 .LBB151_23
; %bb.24:                               ;   in Loop: Header=BB151_22 Depth=2
	s_cmp_le_i32 s22, s12
	s_mov_b32 s18, s28
	s_mov_b32 s14, s22
	s_cbranch_scc1 .LBB151_28
.LBB151_25:                             ;   Parent Loop BB151_19 Depth=1
                                        ;     Parent Loop BB151_22 Depth=2
                                        ; =>    This Loop Header: Depth=3
                                        ;         Child Loop BB151_26 Depth 4
	s_ashr_i32 s15, s14, 31
	s_lshl_b64 s[20:21], s[14:15], 3
	v_mov_b32_e32 v3, s21
	v_add_co_u32_e32 v2, vcc, s20, v4
	v_addc_co_u32_e32 v3, vcc, v5, v3, vcc
	global_load_dwordx2 v[2:3], v[2:3], off
	s_mov_b32 s15, 0
	s_mov_b32 s19, s18
	s_mov_b32 s20, s27
.LBB151_26:                             ;   Parent Loop BB151_19 Depth=1
                                        ;     Parent Loop BB151_22 Depth=2
                                        ;       Parent Loop BB151_25 Depth=3
                                        ; =>      This Inner Loop Header: Depth=4
	v_mov_b32_e32 v10, s15
	buffer_load_dword v11, v10, s[0:3], 0 offen
	buffer_load_dword v12, v10, s[0:3], 0 offen offset:4
	v_mov_b32_e32 v8, s19
	ds_read_b64 v[8:9], v8
	s_add_i32 s20, s20, -1
	s_addk_i32 s19, 0xff80
	s_add_i32 s15, s15, 8
	s_cmp_eq_u32 s20, 0
	s_waitcnt vmcnt(2) lgkmcnt(0)
	v_mul_f32_e32 v13, v9, v3
	v_mul_f32_e32 v9, v9, v2
	v_fma_f32 v13, v8, v2, -v13
	v_fmac_f32_e32 v9, v8, v3
	s_waitcnt vmcnt(1)
	v_sub_f32_e32 v8, v11, v13
	s_waitcnt vmcnt(0)
	v_sub_f32_e32 v9, v12, v9
	buffer_store_dword v8, v10, s[0:3], 0 offen
	buffer_store_dword v9, v10, s[0:3], 0 offen offset:4
	s_cbranch_scc0 .LBB151_26
; %bb.27:                               ;   in Loop: Header=BB151_25 Depth=3
	s_add_i32 s14, s14, -1
	s_add_i32 s18, s18, -8
	s_cmp_le_i32 s14, s12
	s_cbranch_scc0 .LBB151_25
.LBB151_28:                             ;   in Loop: Header=BB151_22 Depth=2
	s_mov_b32 s33, 0
	s_mov_b32 s34, s30
	s_branch .LBB151_30
.LBB151_29:                             ;   in Loop: Header=BB151_30 Depth=3
	s_mulk_i32 s18, 0x88
	v_mov_b32_e32 v8, s18
	ds_read_b64 v[8:9], v8
	s_lshl_b64 s[14:15], s[14:15], 3
	s_lshl_b32 s18, s33, 3
	s_add_i32 s33, s33, 1
	s_addk_i32 s34, 0xff80
	s_waitcnt vmcnt(0) lgkmcnt(0)
	v_mul_f32_e32 v10, v9, v3
	v_mul_f32_e32 v11, v8, v3
	v_fma_f32 v10, v8, v2, -v10
	v_fmac_f32_e32 v11, v9, v2
	v_mov_b32_e32 v3, s15
	v_add_co_u32_e32 v2, vcc, s14, v4
	v_mov_b32_e32 v12, s18
	v_addc_co_u32_e32 v3, vcc, v5, v3, vcc
	s_cmp_eq_u32 s33, s27
	buffer_store_dword v10, v12, s[0:3], 0 offen
	buffer_store_dword v11, v12, s[0:3], 0 offen offset:4
	global_store_dwordx2 v[2:3], v[10:11], off
	s_cbranch_scc1 .LBB151_21
.LBB151_30:                             ;   Parent Loop BB151_19 Depth=1
                                        ;     Parent Loop BB151_22 Depth=2
                                        ; =>    This Loop Header: Depth=3
                                        ;         Child Loop BB151_32 Depth 4
	s_cmp_lg_u32 s33, 0
	s_cbranch_scc0 .LBB151_34
; %bb.31:                               ;   in Loop: Header=BB151_30 Depth=3
	s_lshl_b32 s14, s33, 3
	v_mov_b32_e32 v8, s14
	buffer_load_dword v2, v8, s[0:3], 0 offen
	buffer_load_dword v3, v8, s[0:3], 0 offen offset:4
	s_mov_b32 s14, 0
	s_mov_b32 s15, s34
	;; [unrolled: 1-line block ×3, first 2 shown]
.LBB151_32:                             ;   Parent Loop BB151_19 Depth=1
                                        ;     Parent Loop BB151_22 Depth=2
                                        ;       Parent Loop BB151_30 Depth=3
                                        ; =>      This Inner Loop Header: Depth=4
	v_mov_b32_e32 v9, s14
	buffer_load_dword v11, v9, s[0:3], 0 offen offset:4
	buffer_load_dword v12, v9, s[0:3], 0 offen
	v_mov_b32_e32 v9, s15
	ds_read_b64 v[9:10], v9
	s_add_i32 s18, s18, -1
	s_add_i32 s15, s15, -8
	s_add_i32 s14, s14, 8
	s_cmp_eq_u32 s18, 0
	s_waitcnt vmcnt(1) lgkmcnt(0)
	v_mul_f32_e32 v13, v10, v11
	v_mul_f32_e32 v11, v9, v11
	s_waitcnt vmcnt(0)
	v_fma_f32 v9, v9, v12, -v13
	v_fmac_f32_e32 v11, v10, v12
	v_sub_f32_e32 v2, v2, v9
	v_sub_f32_e32 v3, v3, v11
	buffer_store_dword v2, v8, s[0:3], 0 offen
	buffer_store_dword v3, v8, s[0:3], 0 offen offset:4
	s_cbranch_scc0 .LBB151_32
; %bb.33:                               ;   in Loop: Header=BB151_30 Depth=3
	s_sub_i32 s18, s12, s33
	s_ashr_i32 s19, s18, 31
	s_mov_b64 s[14:15], s[18:19]
	s_branch .LBB151_29
.LBB151_34:                             ;   in Loop: Header=BB151_30 Depth=3
                                        ; implicit-def: $vgpr2
                                        ; implicit-def: $vgpr3
                                        ; implicit-def: $sgpr18
                                        ; implicit-def: $sgpr14_sgpr15
	s_cbranch_execz .LBB151_29
; %bb.35:                               ;   in Loop: Header=BB151_30 Depth=3
	buffer_load_dword v2, off, s[0:3], 0
	buffer_load_dword v3, off, s[0:3], 0 offset:4
	s_mov_b64 s[14:15], s[12:13]
	s_mov_b32 s18, s12
	s_branch .LBB151_29
.LBB151_36:
	s_mov_b64 s[8:9], 0
.LBB151_37:
	s_and_b64 vcc, exec, s[8:9]
	s_cbranch_vccz .LBB151_58
; %bb.38:
	s_add_u32 s6, s10, s6
	s_addc_u32 s7, s11, s7
	s_add_u32 s4, s6, s4
	s_addc_u32 s5, s7, s5
	v_mov_b32_e32 v2, s5
	v_add_co_u32_e32 v0, vcc, s4, v0
	v_addc_co_u32_e32 v1, vcc, v2, v1, vcc
	v_add_co_u32_e32 v6, vcc, 4, v0
	s_mov_b32 s5, 0
	v_addc_co_u32_e32 v7, vcc, 0, v1, vcc
	s_mov_b32 s6, s5
	s_mov_b32 s8, s5
	s_branch .LBB151_40
.LBB151_39:                             ;   in Loop: Header=BB151_40 Depth=1
	s_cmp_ge_i32 s6, s26
	s_cselect_b64 s[10:11], -1, 0
	s_add_i32 s8, s8, 1
	s_cmp_eq_u32 s8, 3
	s_cselect_b64 s[12:13], -1, 0
	s_or_b64 s[10:11], s[10:11], s[12:13]
	s_and_b64 vcc, exec, s[10:11]
	s_cbranch_vccnz .LBB151_58
.LBB151_40:                             ; =>This Loop Header: Depth=1
                                        ;     Child Loop BB151_43 Depth 2
                                        ;       Child Loop BB151_44 Depth 3
                                        ;       Child Loop BB151_47 Depth 3
                                        ;         Child Loop BB151_48 Depth 4
                                        ;       Child Loop BB151_52 Depth 3
                                        ;         Child Loop BB151_54 Depth 4
	s_mov_b32 s9, s5
	s_lshl_b64 s[10:11], s[8:9], 2
	s_getpc_b64 s[12:13]
	s_add_u32 s12, s12, __const._ZL30rocblas_trsm_small_left_deviceILi16ELi16ELb1E19rocblas_complex_numIfES1_PKS1_PS1_Ev13rocblas_fill_18rocblas_operation_17rocblas_diagonal_iiT3_T4_lilT5_lili.step_sizes@rel32@lo+4
	s_addc_u32 s13, s13, __const._ZL30rocblas_trsm_small_left_deviceILi16ELi16ELb1E19rocblas_complex_numIfES1_PKS1_PS1_Ev13rocblas_fill_18rocblas_operation_17rocblas_diagonal_iiT3_T4_lilT5_lili.step_sizes@rel32@hi+12
	s_add_u32 s10, s12, s10
	s_addc_u32 s11, s13, s11
	s_load_dword s10, s[10:11], 0x0
	s_waitcnt lgkmcnt(0)
	s_add_i32 s9, s10, -1
	s_add_i32 s4, s9, s6
	s_cmp_ge_i32 s4, s26
	s_cbranch_scc1 .LBB151_39
; %bb.41:                               ;   in Loop: Header=BB151_40 Depth=1
	s_ashr_i32 s7, s6, 31
	s_lshl_b64 s[12:13], s[6:7], 3
	v_mov_b32_e32 v1, s13
	v_add_co_u32_e32 v0, vcc, s12, v6
	s_ashr_i32 s11, s10, 31
	s_max_i32 s18, s10, 1
	v_addc_co_u32_e32 v1, vcc, v7, v1, vcc
	s_lshl_b64 s[12:13], s[10:11], 3
	s_lshl_b32 s7, s6, 3
	s_lshl_b32 s11, s10, 3
	s_mul_i32 s19, s6, 0x88
	s_mul_i32 s20, s10, 0x88
	s_branch .LBB151_43
.LBB151_42:                             ;   in Loop: Header=BB151_43 Depth=2
	s_add_i32 s6, s6, s10
	s_add_i32 s4, s9, s6
	v_mov_b32_e32 v2, s13
	s_add_i32 s7, s7, s11
	s_add_i32 s19, s19, s20
	v_add_co_u32_e32 v0, vcc, s12, v0
	s_cmp_ge_i32 s4, s26
	v_addc_co_u32_e32 v1, vcc, v1, v2, vcc
	s_cbranch_scc1 .LBB151_39
.LBB151_43:                             ;   Parent Loop BB151_40 Depth=1
                                        ; =>  This Loop Header: Depth=2
                                        ;       Child Loop BB151_44 Depth 3
                                        ;       Child Loop BB151_47 Depth 3
                                        ;         Child Loop BB151_48 Depth 4
                                        ;       Child Loop BB151_52 Depth 3
                                        ;         Child Loop BB151_54 Depth 4
	v_mov_b32_e32 v3, v1
	s_mov_b32 s4, 0
	v_mov_b32_e32 v2, v0
	s_mov_b32 s14, s18
.LBB151_44:                             ;   Parent Loop BB151_40 Depth=1
                                        ;     Parent Loop BB151_43 Depth=2
                                        ; =>    This Inner Loop Header: Depth=3
	global_load_dwordx2 v[8:9], v[2:3], off offset:-4
	v_mov_b32_e32 v10, s4
	s_add_i32 s14, s14, -1
	v_add_co_u32_e32 v2, vcc, 8, v2
	s_add_i32 s4, s4, 8
	v_addc_co_u32_e32 v3, vcc, 0, v3, vcc
	s_cmp_eq_u32 s14, 0
	s_waitcnt vmcnt(0)
	v_mul_f32_e32 v11, s17, v9
	v_mul_f32_e32 v9, s16, v9
	v_fma_f32 v11, v8, s16, -v11
	v_fmac_f32_e32 v9, s17, v8
	buffer_store_dword v11, v10, s[0:3], 0 offen
	buffer_store_dword v9, v10, s[0:3], 0 offen offset:4
	s_cbranch_scc0 .LBB151_44
; %bb.45:                               ;   in Loop: Header=BB151_43 Depth=2
	s_cmp_lt_i32 s6, 1
	s_cbranch_scc1 .LBB151_50
; %bb.46:                               ;   in Loop: Header=BB151_43 Depth=2
	s_mov_b32 s4, 0
	s_mov_b32 s14, s7
.LBB151_47:                             ;   Parent Loop BB151_40 Depth=1
                                        ;     Parent Loop BB151_43 Depth=2
                                        ; =>    This Loop Header: Depth=3
                                        ;         Child Loop BB151_48 Depth 4
	s_lshl_b64 s[22:23], s[4:5], 3
	v_mov_b32_e32 v3, s23
	v_add_co_u32_e32 v2, vcc, s22, v4
	v_addc_co_u32_e32 v3, vcc, v5, v3, vcc
	global_load_dwordx2 v[2:3], v[2:3], off
	s_mov_b32 s15, 0
	s_mov_b32 s21, s14
	s_mov_b32 s22, s18
.LBB151_48:                             ;   Parent Loop BB151_40 Depth=1
                                        ;     Parent Loop BB151_43 Depth=2
                                        ;       Parent Loop BB151_47 Depth=3
                                        ; =>      This Inner Loop Header: Depth=4
	v_mov_b32_e32 v10, s15
	buffer_load_dword v11, v10, s[0:3], 0 offen
	buffer_load_dword v12, v10, s[0:3], 0 offen offset:4
	v_mov_b32_e32 v8, s21
	ds_read_b64 v[8:9], v8
	s_add_i32 s22, s22, -1
	s_add_i32 s21, s21, 8
	s_add_i32 s15, s15, 8
	s_cmp_eq_u32 s22, 0
	s_waitcnt vmcnt(2) lgkmcnt(0)
	v_mul_f32_e32 v13, v9, v3
	v_mul_f32_e32 v9, v9, v2
	v_fma_f32 v13, v8, v2, -v13
	v_fmac_f32_e32 v9, v8, v3
	s_waitcnt vmcnt(1)
	v_sub_f32_e32 v8, v11, v13
	s_waitcnt vmcnt(0)
	v_sub_f32_e32 v9, v12, v9
	buffer_store_dword v8, v10, s[0:3], 0 offen
	buffer_store_dword v9, v10, s[0:3], 0 offen offset:4
	s_cbranch_scc0 .LBB151_48
; %bb.49:                               ;   in Loop: Header=BB151_47 Depth=3
	s_add_i32 s4, s4, 1
	s_addk_i32 s14, 0x80
	s_cmp_eq_u32 s4, s6
	s_cbranch_scc0 .LBB151_47
.LBB151_50:                             ;   in Loop: Header=BB151_43 Depth=2
	s_mov_b32 s4, 0
	s_mov_b32 s21, s19
	s_branch .LBB151_52
.LBB151_51:                             ;   in Loop: Header=BB151_52 Depth=3
	s_add_i32 s14, s4, s6
	s_mul_i32 s15, s14, 0x88
	v_mov_b32_e32 v8, s15
	ds_read_b64 v[8:9], v8
	s_lshl_b32 s15, s4, 3
	v_mov_b32_e32 v12, s15
	s_ashr_i32 s15, s14, 31
	s_lshl_b64 s[14:15], s[14:15], 3
	s_waitcnt vmcnt(0) lgkmcnt(0)
	v_mul_f32_e32 v10, v9, v3
	v_mul_f32_e32 v11, v8, v3
	v_fma_f32 v10, v8, v2, -v10
	v_fmac_f32_e32 v11, v9, v2
	v_mov_b32_e32 v3, s15
	v_add_co_u32_e32 v2, vcc, s14, v4
	s_add_i32 s4, s4, 1
	s_add_i32 s21, s21, 8
	v_addc_co_u32_e32 v3, vcc, v5, v3, vcc
	s_cmp_eq_u32 s4, s18
	buffer_store_dword v10, v12, s[0:3], 0 offen
	buffer_store_dword v11, v12, s[0:3], 0 offen offset:4
	global_store_dwordx2 v[2:3], v[10:11], off
	s_cbranch_scc1 .LBB151_42
.LBB151_52:                             ;   Parent Loop BB151_40 Depth=1
                                        ;     Parent Loop BB151_43 Depth=2
                                        ; =>    This Loop Header: Depth=3
                                        ;         Child Loop BB151_54 Depth 4
	s_cmp_lg_u32 s4, 0
	s_cbranch_scc0 .LBB151_56
; %bb.53:                               ;   in Loop: Header=BB151_52 Depth=3
	s_lshl_b32 s14, s4, 3
	v_mov_b32_e32 v8, s14
	buffer_load_dword v2, v8, s[0:3], 0 offen
	buffer_load_dword v3, v8, s[0:3], 0 offen offset:4
	s_mov_b32 s14, 0
	s_mov_b32 s15, s21
	;; [unrolled: 1-line block ×3, first 2 shown]
.LBB151_54:                             ;   Parent Loop BB151_40 Depth=1
                                        ;     Parent Loop BB151_43 Depth=2
                                        ;       Parent Loop BB151_52 Depth=3
                                        ; =>      This Inner Loop Header: Depth=4
	v_mov_b32_e32 v9, s14
	buffer_load_dword v11, v9, s[0:3], 0 offen offset:4
	buffer_load_dword v12, v9, s[0:3], 0 offen
	v_mov_b32_e32 v9, s15
	ds_read_b64 v[9:10], v9
	s_add_i32 s22, s22, -1
	s_addk_i32 s15, 0x80
	s_add_i32 s14, s14, 8
	s_cmp_eq_u32 s22, 0
	s_waitcnt vmcnt(1) lgkmcnt(0)
	v_mul_f32_e32 v13, v10, v11
	v_mul_f32_e32 v11, v9, v11
	s_waitcnt vmcnt(0)
	v_fma_f32 v9, v9, v12, -v13
	v_fmac_f32_e32 v11, v10, v12
	v_sub_f32_e32 v2, v2, v9
	v_sub_f32_e32 v3, v3, v11
	buffer_store_dword v2, v8, s[0:3], 0 offen
	buffer_store_dword v3, v8, s[0:3], 0 offen offset:4
	s_cbranch_scc0 .LBB151_54
; %bb.55:                               ;   in Loop: Header=BB151_52 Depth=3
	s_branch .LBB151_51
.LBB151_56:                             ;   in Loop: Header=BB151_52 Depth=3
                                        ; implicit-def: $vgpr2
                                        ; implicit-def: $vgpr3
	s_cbranch_execz .LBB151_51
; %bb.57:                               ;   in Loop: Header=BB151_52 Depth=3
	buffer_load_dword v2, off, s[0:3], 0
	buffer_load_dword v3, off, s[0:3], 0 offset:4
	s_branch .LBB151_51
.LBB151_58:
	s_endpgm
	.section	.rodata,"a",@progbits
	.p2align	6, 0x0
	.amdhsa_kernel _ZL30rocblas_trsm_small_left_deviceILi16ELi16ELb1E19rocblas_complex_numIfES1_PKS1_PS1_Ev13rocblas_fill_18rocblas_operation_17rocblas_diagonal_iiT3_T4_lilT5_lili
		.amdhsa_group_segment_fixed_size 2048
		.amdhsa_private_segment_fixed_size 144
		.amdhsa_kernarg_size 360
		.amdhsa_user_sgpr_count 6
		.amdhsa_user_sgpr_private_segment_buffer 1
		.amdhsa_user_sgpr_dispatch_ptr 0
		.amdhsa_user_sgpr_queue_ptr 0
		.amdhsa_user_sgpr_kernarg_segment_ptr 1
		.amdhsa_user_sgpr_dispatch_id 0
		.amdhsa_user_sgpr_flat_scratch_init 0
		.amdhsa_user_sgpr_private_segment_size 0
		.amdhsa_uses_dynamic_stack 0
		.amdhsa_system_sgpr_private_segment_wavefront_offset 1
		.amdhsa_system_sgpr_workgroup_id_x 1
		.amdhsa_system_sgpr_workgroup_id_y 0
		.amdhsa_system_sgpr_workgroup_id_z 1
		.amdhsa_system_sgpr_workgroup_info 0
		.amdhsa_system_vgpr_workitem_id 0
		.amdhsa_next_free_vgpr 29
		.amdhsa_next_free_sgpr 61
		.amdhsa_reserve_vcc 1
		.amdhsa_reserve_flat_scratch 0
		.amdhsa_float_round_mode_32 0
		.amdhsa_float_round_mode_16_64 0
		.amdhsa_float_denorm_mode_32 3
		.amdhsa_float_denorm_mode_16_64 3
		.amdhsa_dx10_clamp 1
		.amdhsa_ieee_mode 1
		.amdhsa_fp16_overflow 0
		.amdhsa_exception_fp_ieee_invalid_op 0
		.amdhsa_exception_fp_denorm_src 0
		.amdhsa_exception_fp_ieee_div_zero 0
		.amdhsa_exception_fp_ieee_overflow 0
		.amdhsa_exception_fp_ieee_underflow 0
		.amdhsa_exception_fp_ieee_inexact 0
		.amdhsa_exception_int_div_zero 0
	.end_amdhsa_kernel
	.section	.text._ZL30rocblas_trsm_small_left_deviceILi16ELi16ELb1E19rocblas_complex_numIfES1_PKS1_PS1_Ev13rocblas_fill_18rocblas_operation_17rocblas_diagonal_iiT3_T4_lilT5_lili,"axG",@progbits,_ZL30rocblas_trsm_small_left_deviceILi16ELi16ELb1E19rocblas_complex_numIfES1_PKS1_PS1_Ev13rocblas_fill_18rocblas_operation_17rocblas_diagonal_iiT3_T4_lilT5_lili,comdat
.Lfunc_end151:
	.size	_ZL30rocblas_trsm_small_left_deviceILi16ELi16ELb1E19rocblas_complex_numIfES1_PKS1_PS1_Ev13rocblas_fill_18rocblas_operation_17rocblas_diagonal_iiT3_T4_lilT5_lili, .Lfunc_end151-_ZL30rocblas_trsm_small_left_deviceILi16ELi16ELb1E19rocblas_complex_numIfES1_PKS1_PS1_Ev13rocblas_fill_18rocblas_operation_17rocblas_diagonal_iiT3_T4_lilT5_lili
                                        ; -- End function
	.set _ZL30rocblas_trsm_small_left_deviceILi16ELi16ELb1E19rocblas_complex_numIfES1_PKS1_PS1_Ev13rocblas_fill_18rocblas_operation_17rocblas_diagonal_iiT3_T4_lilT5_lili.num_vgpr, 14
	.set _ZL30rocblas_trsm_small_left_deviceILi16ELi16ELb1E19rocblas_complex_numIfES1_PKS1_PS1_Ev13rocblas_fill_18rocblas_operation_17rocblas_diagonal_iiT3_T4_lilT5_lili.num_agpr, 0
	.set _ZL30rocblas_trsm_small_left_deviceILi16ELi16ELb1E19rocblas_complex_numIfES1_PKS1_PS1_Ev13rocblas_fill_18rocblas_operation_17rocblas_diagonal_iiT3_T4_lilT5_lili.numbered_sgpr, 35
	.set _ZL30rocblas_trsm_small_left_deviceILi16ELi16ELb1E19rocblas_complex_numIfES1_PKS1_PS1_Ev13rocblas_fill_18rocblas_operation_17rocblas_diagonal_iiT3_T4_lilT5_lili.num_named_barrier, 0
	.set _ZL30rocblas_trsm_small_left_deviceILi16ELi16ELb1E19rocblas_complex_numIfES1_PKS1_PS1_Ev13rocblas_fill_18rocblas_operation_17rocblas_diagonal_iiT3_T4_lilT5_lili.private_seg_size, 144
	.set _ZL30rocblas_trsm_small_left_deviceILi16ELi16ELb1E19rocblas_complex_numIfES1_PKS1_PS1_Ev13rocblas_fill_18rocblas_operation_17rocblas_diagonal_iiT3_T4_lilT5_lili.uses_vcc, 1
	.set _ZL30rocblas_trsm_small_left_deviceILi16ELi16ELb1E19rocblas_complex_numIfES1_PKS1_PS1_Ev13rocblas_fill_18rocblas_operation_17rocblas_diagonal_iiT3_T4_lilT5_lili.uses_flat_scratch, 0
	.set _ZL30rocblas_trsm_small_left_deviceILi16ELi16ELb1E19rocblas_complex_numIfES1_PKS1_PS1_Ev13rocblas_fill_18rocblas_operation_17rocblas_diagonal_iiT3_T4_lilT5_lili.has_dyn_sized_stack, 0
	.set _ZL30rocblas_trsm_small_left_deviceILi16ELi16ELb1E19rocblas_complex_numIfES1_PKS1_PS1_Ev13rocblas_fill_18rocblas_operation_17rocblas_diagonal_iiT3_T4_lilT5_lili.has_recursion, 0
	.set _ZL30rocblas_trsm_small_left_deviceILi16ELi16ELb1E19rocblas_complex_numIfES1_PKS1_PS1_Ev13rocblas_fill_18rocblas_operation_17rocblas_diagonal_iiT3_T4_lilT5_lili.has_indirect_call, 0
	.section	.AMDGPU.csdata,"",@progbits
; Kernel info:
; codeLenInByte = 2512
; TotalNumSgprs: 39
; NumVgprs: 14
; ScratchSize: 144
; MemoryBound: 0
; FloatMode: 240
; IeeeMode: 1
; LDSByteSize: 2048 bytes/workgroup (compile time only)
; SGPRBlocks: 8
; VGPRBlocks: 7
; NumSGPRsForWavesPerEU: 65
; NumVGPRsForWavesPerEU: 29
; Occupancy: 8
; WaveLimiterHint : 0
; COMPUTE_PGM_RSRC2:SCRATCH_EN: 1
; COMPUTE_PGM_RSRC2:USER_SGPR: 6
; COMPUTE_PGM_RSRC2:TRAP_HANDLER: 0
; COMPUTE_PGM_RSRC2:TGID_X_EN: 1
; COMPUTE_PGM_RSRC2:TGID_Y_EN: 0
; COMPUTE_PGM_RSRC2:TGID_Z_EN: 1
; COMPUTE_PGM_RSRC2:TIDIG_COMP_CNT: 0
	.section	.text._ZL31rocblas_trsm_small_right_deviceI19rocblas_complex_numIfES1_PKS1_PS1_Li16EEv13rocblas_fill_18rocblas_operation_17rocblas_diagonal_iiT0_T1_lilT2_lili,"axG",@progbits,_ZL31rocblas_trsm_small_right_deviceI19rocblas_complex_numIfES1_PKS1_PS1_Li16EEv13rocblas_fill_18rocblas_operation_17rocblas_diagonal_iiT0_T1_lilT2_lili,comdat
	.globl	_ZL31rocblas_trsm_small_right_deviceI19rocblas_complex_numIfES1_PKS1_PS1_Li16EEv13rocblas_fill_18rocblas_operation_17rocblas_diagonal_iiT0_T1_lilT2_lili ; -- Begin function _ZL31rocblas_trsm_small_right_deviceI19rocblas_complex_numIfES1_PKS1_PS1_Li16EEv13rocblas_fill_18rocblas_operation_17rocblas_diagonal_iiT0_T1_lilT2_lili
	.p2align	8
	.type	_ZL31rocblas_trsm_small_right_deviceI19rocblas_complex_numIfES1_PKS1_PS1_Li16EEv13rocblas_fill_18rocblas_operation_17rocblas_diagonal_iiT0_T1_lilT2_lili,@function
_ZL31rocblas_trsm_small_right_deviceI19rocblas_complex_numIfES1_PKS1_PS1_Li16EEv13rocblas_fill_18rocblas_operation_17rocblas_diagonal_iiT0_T1_lilT2_lili: ; @_ZL31rocblas_trsm_small_right_deviceI19rocblas_complex_numIfES1_PKS1_PS1_Li16EEv13rocblas_fill_18rocblas_operation_17rocblas_diagonal_iiT0_T1_lilT2_lili
; %bb.0:
	s_load_dwordx8 s[8:15], s[4:5], 0x0
	s_load_dwordx4 s[0:3], s[4:5], 0x38
	s_load_dwordx2 s[16:17], s[4:5], 0x48
	s_waitcnt lgkmcnt(0)
	s_min_i32 s24, s12, 16
	v_cmp_gt_i32_e32 vcc, s24, v0
	s_and_saveexec_b64 s[18:19], vcc
	s_cbranch_execz .LBB152_9
; %bb.1:
	s_load_dword s22, s[4:5], 0x30
	s_load_dwordx4 s[28:31], s[4:5], 0x20
	s_mul_i32 s1, s1, s7
	s_mul_hi_u32 s15, s0, s7
	s_mul_i32 s0, s0, s7
	s_waitcnt lgkmcnt(0)
	s_ashr_i32 s23, s22, 31
	s_cmpk_lg_i32 s9, 0x71
	s_cselect_b64 s[20:21], -1, 0
	s_add_i32 s1, s15, s1
	s_lshl_b64 s[0:1], s[0:1], 3
	s_lshl_b64 s[26:27], s[30:31], 3
	s_add_u32 s0, s0, s26
	s_addc_u32 s1, s1, s27
	s_add_u32 s0, s28, s0
	v_lshlrev_b32_e32 v5, 3, v0
	s_addc_u32 s1, s29, s1
	v_mov_b32_e32 v1, s1
	v_add_co_u32_e32 v2, vcc, s0, v5
	v_addc_co_u32_e32 v3, vcc, 0, v1, vcc
	v_add_co_u32_e32 v1, vcc, 4, v2
	s_lshl_b64 s[0:1], s[22:23], 3
	v_addc_co_u32_e32 v2, vcc, 0, v3, vcc
	v_mov_b32_e32 v6, s1
	v_mov_b32_e32 v7, v5
	s_mov_b32 s1, s24
	s_branch .LBB152_3
.LBB152_2:                              ;   in Loop: Header=BB152_3 Depth=1
	global_load_dword v3, v[1:2], off offset:-4
	s_add_i32 s1, s1, -1
	v_add_co_u32_e32 v1, vcc, s0, v1
	v_addc_co_u32_e32 v2, vcc, v2, v6, vcc
	s_cmp_eq_u32 s1, 0
	s_waitcnt vmcnt(0)
	ds_write_b64 v7, v[3:4]
	v_add_u32_e32 v7, 0x80, v7
	s_cbranch_scc1 .LBB152_7
.LBB152_3:                              ; =>This Inner Loop Header: Depth=1
	s_mov_b64 s[22:23], -1
	s_and_b64 vcc, exec, s[20:21]
                                        ; implicit-def: $vgpr4
	s_cbranch_vccz .LBB152_5
; %bb.4:                                ;   in Loop: Header=BB152_3 Depth=1
	global_load_dword v4, v[1:2], off
	s_mov_b64 s[22:23], 0
.LBB152_5:                              ;   in Loop: Header=BB152_3 Depth=1
	s_andn2_b64 vcc, exec, s[22:23]
	s_cbranch_vccnz .LBB152_2
; %bb.6:                                ;   in Loop: Header=BB152_3 Depth=1
	global_load_dword v3, v[1:2], off
	s_waitcnt vmcnt(0)
	v_xor_b32_e32 v4, 0x80000000, v3
	s_branch .LBB152_2
.LBB152_7:
	s_cmpk_eq_i32 s10, 0x84
	s_cbranch_scc0 .LBB152_9
; %bb.8:
	v_lshl_or_b32 v3, v0, 7, v5
	v_mov_b32_e32 v1, 1.0
	v_mov_b32_e32 v2, 0
	ds_write_b64 v3, v[1:2]
.LBB152_9:
	s_or_b64 exec, exec, s[18:19]
	s_load_dword s0, s[4:5], 0x68
	s_load_dwordx2 s[18:19], s[4:5], 0x58
	s_load_dword s10, s[4:5], 0x50
	s_waitcnt lgkmcnt(0)
	s_add_i32 s0, s0, -1
	s_mul_i32 s1, s19, s7
	s_mul_hi_u32 s5, s18, s7
	s_add_i32 s5, s5, s1
	s_lshl_b32 s1, s6, 4
	s_sub_i32 s1, s11, s1
	s_cmp_ge_u32 s6, s0
	s_mul_i32 s4, s18, s7
	s_cselect_b32 s0, s1, 16
	s_ashr_i32 s7, s6, 31
	s_lshl_b64 s[6:7], s[6:7], 7
	v_cmp_gt_i32_e64 s[0:1], s0, v0
	s_and_saveexec_b64 s[18:19], s[0:1]
	s_cbranch_execz .LBB152_13
; %bb.10:
	s_cmp_lt_i32 s12, 1
	s_cbranch_scc1 .LBB152_13
; %bb.11:
	s_ashr_i32 s11, s10, 31
	s_lshl_b64 s[20:21], s[4:5], 3
	s_add_u32 s15, s20, s6
	s_addc_u32 s22, s21, s7
	s_lshl_b64 s[20:21], s[16:17], 3
	s_add_u32 s15, s15, s20
	s_addc_u32 s20, s22, s21
	s_add_u32 s15, s2, s15
	v_lshlrev_b32_e32 v3, 3, v0
	s_addc_u32 s20, s3, s20
	v_mov_b32_e32 v1, s20
	v_add_co_u32_e32 v2, vcc, s15, v3
	v_addc_co_u32_e32 v4, vcc, 0, v1, vcc
	v_add_co_u32_e32 v1, vcc, 4, v2
	s_lshl_b64 s[20:21], s[10:11], 3
	v_addc_co_u32_e32 v2, vcc, 0, v4, vcc
	v_or_b32_e32 v3, 0x800, v3
	v_mov_b32_e32 v4, s21
	s_mov_b32 s11, s12
.LBB152_12:                             ; =>This Inner Loop Header: Depth=1
	global_load_dwordx2 v[5:6], v[1:2], off offset:-4
	s_add_i32 s11, s11, -1
	v_add_co_u32_e32 v1, vcc, s20, v1
	v_addc_co_u32_e32 v2, vcc, v2, v4, vcc
	s_cmp_lg_u32 s11, 0
	s_waitcnt vmcnt(0)
	v_mul_f32_e32 v8, s14, v6
	v_mul_f32_e32 v7, s13, v6
	v_fma_f32 v6, s13, v5, -v8
	v_fmac_f32_e32 v7, s14, v5
	ds_write_b64 v3, v[6:7]
	v_add_u32_e32 v3, 0x80, v3
	s_cbranch_scc1 .LBB152_12
.LBB152_13:
	s_or_b64 exec, exec, s[18:19]
	s_cmpk_eq_i32 s9, 0x6f
	s_cselect_b64 s[18:19], -1, 0
	s_cmpk_lg_i32 s8, 0x79
	s_cselect_b64 s[14:15], -1, 0
	s_cmpk_eq_i32 s8, 0x79
	s_cselect_b64 s[20:21], -1, 0
	s_and_b64 s[20:21], s[20:21], s[18:19]
	s_andn2_b64 vcc, exec, s[20:21]
	s_mov_b64 s[20:21], -1
	s_waitcnt lgkmcnt(0)
	; wave barrier
	s_cbranch_vccz .LBB152_114
; %bb.14:
	s_cmpk_lg_i32 s8, 0x7a
	s_cselect_b64 s[8:9], -1, 0
	s_xor_b64 s[18:19], s[18:19], -1
	s_add_i32 s11, s24, -1
	s_or_b64 s[18:19], s[8:9], s[18:19]
	v_mov_b32_e32 v1, 0x800
	s_cmp_gt_i32 s12, 3
	v_lshl_or_b32 v13, v0, 3, v1
	s_cselect_b64 s[8:9], -1, 0
	s_and_b64 vcc, exec, s[18:19]
	s_cbranch_vccz .LBB152_81
; %bb.15:
	s_andn2_b64 vcc, exec, s[14:15]
	s_mov_b64 s[14:15], -1
	s_cbranch_vccnz .LBB152_48
; %bb.16:
	s_andn2_b64 vcc, exec, s[8:9]
	s_mov_b32 s19, 0
	s_cbranch_vccnz .LBB152_38
; %bb.17:
	v_mov_b32_e32 v1, 0x800
	v_lshl_or_b32 v14, v0, 3, v1
	s_mov_b32 s13, 0
	s_mov_b32 s18, 0
.LBB152_18:                             ; =>This Loop Header: Depth=1
                                        ;     Child Loop BB152_19 Depth 2
	s_lshl_b32 s14, s18, 7
	v_add_u32_e32 v18, s14, v13
	s_or_b32 s21, s18, 1
	s_or_b32 s19, s18, 2
	;; [unrolled: 1-line block ×3, first 2 shown]
	v_lshl_add_u32 v17, s21, 7, v13
	v_lshl_add_u32 v16, s19, 7, v13
	v_add_u32_e32 v15, s15, v13
	ds_read_b64 v[1:2], v18
	ds_read_b64 v[11:12], v17
	ds_read_b64 v[7:8], v16
	ds_read_b64 v[5:6], v15
	s_cmp_eq_u32 s18, 0
	v_mov_b32_e32 v3, v14
	s_mov_b32 s15, s13
	s_mov_b32 s20, s18
	s_cbranch_scc1 .LBB152_20
.LBB152_19:                             ;   Parent Loop BB152_18 Depth=1
                                        ; =>  This Inner Loop Header: Depth=2
	v_mov_b32_e32 v4, s15
	ds_read_b64 v[9:10], v3
	ds_read_b128 v[19:22], v4
	ds_read_b128 v[23:26], v4 offset:16
	s_add_i32 s20, s20, -1
	s_addk_i32 s15, 0x80
	v_add_u32_e32 v3, 0x80, v3
	s_waitcnt lgkmcnt(1)
	v_mul_f32_e32 v4, v20, v10
	v_mul_f32_e32 v27, v19, v10
	;; [unrolled: 1-line block ×4, first 2 shown]
	s_waitcnt lgkmcnt(0)
	v_mul_f32_e32 v29, v24, v10
	v_mul_f32_e32 v24, v24, v9
	;; [unrolled: 1-line block ×4, first 2 shown]
	v_fma_f32 v4, v19, v9, -v4
	v_fmac_f32_e32 v27, v20, v9
	v_fma_f32 v19, v21, v9, -v28
	v_fmac_f32_e32 v22, v21, v10
	v_fma_f32 v20, v23, v9, -v29
	v_fmac_f32_e32 v24, v23, v10
	v_fma_f32 v9, v25, v9, -v30
	v_fmac_f32_e32 v26, v25, v10
	s_cmp_eq_u32 s20, 0
	v_sub_f32_e32 v1, v1, v4
	v_sub_f32_e32 v2, v2, v27
	;; [unrolled: 1-line block ×8, first 2 shown]
	s_cbranch_scc0 .LBB152_19
.LBB152_20:                             ;   in Loop: Header=BB152_18 Depth=1
	s_lshl_b32 s20, s18, 3
	s_add_i32 s22, s20, s14
	v_mov_b32_e32 v3, s22
	ds_read_b64 v[3:4], v3
	s_mov_b64 s[14:15], -1
                                        ; implicit-def: $vgpr10
	s_waitcnt lgkmcnt(0)
	v_cmp_ngt_f32_e64 s[26:27], |v3|, |v4|
	s_and_b64 vcc, exec, s[26:27]
	s_cbranch_vccz .LBB152_22
; %bb.21:                               ;   in Loop: Header=BB152_18 Depth=1
	v_div_scale_f32 v9, s[14:15], v4, v4, v3
	v_div_scale_f32 v10, vcc, v3, v4, v3
	v_rcp_f32_e32 v19, v9
	v_fma_f32 v20, -v9, v19, 1.0
	v_fmac_f32_e32 v19, v20, v19
	v_mul_f32_e32 v20, v10, v19
	v_fma_f32 v21, -v9, v20, v10
	v_fmac_f32_e32 v20, v21, v19
	v_fma_f32 v9, -v9, v20, v10
	v_div_fmas_f32 v9, v9, v19, v20
	v_div_fixup_f32 v9, v9, v4, v3
	v_fma_f32 v10, v3, v9, v4
	v_div_scale_f32 v19, s[14:15], v10, v10, 1.0
	v_div_scale_f32 v20, vcc, 1.0, v10, 1.0
	s_mov_b64 s[14:15], 0
	v_rcp_f32_e32 v21, v19
	v_fma_f32 v22, -v19, v21, 1.0
	v_fmac_f32_e32 v21, v22, v21
	v_mul_f32_e32 v22, v20, v21
	v_fma_f32 v23, -v19, v22, v20
	v_fmac_f32_e32 v22, v23, v21
	v_fma_f32 v19, -v19, v22, v20
	v_div_fmas_f32 v19, v19, v21, v22
	v_fma_f32 v20, v1, v9, v2
	v_fma_f32 v21, v2, v9, -v1
	v_div_fixup_f32 v10, v19, v10, 1.0
	v_mul_f32_e32 v9, v20, v10
	v_mul_f32_e32 v10, v21, v10
.LBB152_22:                             ;   in Loop: Header=BB152_18 Depth=1
	s_andn2_b64 vcc, exec, s[14:15]
	s_cbranch_vccnz .LBB152_24
; %bb.23:                               ;   in Loop: Header=BB152_18 Depth=1
	v_div_scale_f32 v9, s[14:15], v3, v3, v4
	v_div_scale_f32 v10, vcc, v4, v3, v4
	v_rcp_f32_e32 v19, v9
	v_fma_f32 v20, -v9, v19, 1.0
	v_fmac_f32_e32 v19, v20, v19
	v_mul_f32_e32 v20, v10, v19
	v_fma_f32 v21, -v9, v20, v10
	v_fmac_f32_e32 v20, v21, v19
	v_fma_f32 v9, -v9, v20, v10
	v_div_fmas_f32 v9, v9, v19, v20
	v_div_fixup_f32 v9, v9, v3, v4
	v_fmac_f32_e32 v3, v4, v9
	v_div_scale_f32 v4, s[14:15], v3, v3, 1.0
	v_div_scale_f32 v10, vcc, 1.0, v3, 1.0
	v_rcp_f32_e32 v19, v4
	v_fma_f32 v20, -v4, v19, 1.0
	v_fmac_f32_e32 v19, v20, v19
	v_mul_f32_e32 v20, v10, v19
	v_fma_f32 v21, -v4, v20, v10
	v_fmac_f32_e32 v20, v21, v19
	v_fma_f32 v4, -v4, v20, v10
	v_div_fmas_f32 v4, v4, v19, v20
	v_fma_f32 v10, v2, v9, v1
	v_fma_f32 v1, -v1, v9, v2
	v_div_fixup_f32 v2, v4, v3, 1.0
	v_mul_f32_e32 v9, v10, v2
	v_mul_f32_e32 v10, v1, v2
.LBB152_24:                             ;   in Loop: Header=BB152_18 Depth=1
	v_mov_b32_e32 v1, s22
	ds_read2_b64 v[1:4], v1 offset0:1 offset1:17
	ds_write_b64 v18, v[9:10]
	s_mov_b64 s[14:15], -1
	s_waitcnt lgkmcnt(1)
	v_mul_f32_e32 v18, v10, v2
	v_mul_f32_e32 v2, v9, v2
	v_fma_f32 v18, v9, v1, -v18
	v_fmac_f32_e32 v2, v10, v1
	v_cmp_ngt_f32_e64 s[26:27], |v3|, |v4|
	v_sub_f32_e32 v1, v11, v18
	v_sub_f32_e32 v2, v12, v2
	s_and_b64 vcc, exec, s[26:27]
                                        ; implicit-def: $vgpr12
	s_cbranch_vccz .LBB152_26
; %bb.25:                               ;   in Loop: Header=BB152_18 Depth=1
	v_div_scale_f32 v11, s[14:15], v4, v4, v3
	v_div_scale_f32 v12, vcc, v3, v4, v3
	v_rcp_f32_e32 v18, v11
	v_fma_f32 v19, -v11, v18, 1.0
	v_fmac_f32_e32 v18, v19, v18
	v_mul_f32_e32 v19, v12, v18
	v_fma_f32 v20, -v11, v19, v12
	v_fmac_f32_e32 v19, v20, v18
	v_fma_f32 v11, -v11, v19, v12
	v_div_fmas_f32 v11, v11, v18, v19
	v_div_fixup_f32 v11, v11, v4, v3
	v_fma_f32 v12, v3, v11, v4
	v_div_scale_f32 v18, s[14:15], v12, v12, 1.0
	v_div_scale_f32 v19, vcc, 1.0, v12, 1.0
	s_mov_b64 s[14:15], 0
	v_rcp_f32_e32 v20, v18
	v_fma_f32 v21, -v18, v20, 1.0
	v_fmac_f32_e32 v20, v21, v20
	v_mul_f32_e32 v21, v19, v20
	v_fma_f32 v22, -v18, v21, v19
	v_fmac_f32_e32 v21, v22, v20
	v_fma_f32 v18, -v18, v21, v19
	v_div_fmas_f32 v18, v18, v20, v21
	v_fma_f32 v19, v11, v1, v2
	v_fma_f32 v20, v11, v2, -v1
	v_div_fixup_f32 v12, v18, v12, 1.0
	v_mul_f32_e32 v11, v19, v12
	v_mul_f32_e32 v12, v20, v12
.LBB152_26:                             ;   in Loop: Header=BB152_18 Depth=1
	s_andn2_b64 vcc, exec, s[14:15]
	s_cbranch_vccnz .LBB152_28
; %bb.27:                               ;   in Loop: Header=BB152_18 Depth=1
	v_div_scale_f32 v11, s[14:15], v3, v3, v4
	v_div_scale_f32 v12, vcc, v4, v3, v4
	v_rcp_f32_e32 v18, v11
	v_fma_f32 v19, -v11, v18, 1.0
	v_fmac_f32_e32 v18, v19, v18
	v_mul_f32_e32 v19, v12, v18
	v_fma_f32 v20, -v11, v19, v12
	v_fmac_f32_e32 v19, v20, v18
	v_fma_f32 v11, -v11, v19, v12
	v_div_fmas_f32 v11, v11, v18, v19
	v_div_fixup_f32 v11, v11, v3, v4
	v_fmac_f32_e32 v3, v4, v11
	v_div_scale_f32 v4, s[14:15], v3, v3, 1.0
	v_div_scale_f32 v12, vcc, 1.0, v3, 1.0
	v_rcp_f32_e32 v18, v4
	v_fma_f32 v19, -v4, v18, 1.0
	v_fmac_f32_e32 v18, v19, v18
	v_mul_f32_e32 v19, v12, v18
	v_fma_f32 v20, -v4, v19, v12
	v_fmac_f32_e32 v19, v20, v18
	v_fma_f32 v4, -v4, v19, v12
	v_div_fmas_f32 v4, v4, v18, v19
	v_fma_f32 v12, v11, v2, v1
	v_fma_f32 v1, -v11, v1, v2
	v_div_fixup_f32 v2, v4, v3, 1.0
	v_mul_f32_e32 v11, v12, v2
	v_mul_f32_e32 v12, v1, v2
.LBB152_28:                             ;   in Loop: Header=BB152_18 Depth=1
	v_mov_b32_e32 v1, s22
	ds_read2_b64 v[1:4], v1 offset0:2 offset1:34
	s_add_i32 s23, s22, 0x88
	s_lshl_b32 s14, s21, 3
	s_sub_i32 s21, s23, s14
	ds_write_b64 v17, v[11:12]
	s_waitcnt lgkmcnt(1)
	v_mul_f32_e32 v17, v10, v2
	s_add_i32 s21, s21, s20
	v_fma_f32 v19, v9, v1, -v17
	v_mov_b32_e32 v17, s21
	ds_read_b64 v[17:18], v17 offset:16
	v_mul_f32_e32 v2, v9, v2
	v_fmac_f32_e32 v2, v10, v1
	v_sub_f32_e32 v1, v7, v19
	v_sub_f32_e32 v2, v8, v2
	s_waitcnt lgkmcnt(0)
	v_mul_f32_e32 v7, v12, v18
	v_mul_f32_e32 v8, v11, v18
	v_fma_f32 v7, v11, v17, -v7
	v_fmac_f32_e32 v8, v12, v17
	v_cmp_ngt_f32_e64 s[26:27], |v3|, |v4|
	v_sub_f32_e32 v1, v1, v7
	v_sub_f32_e32 v2, v2, v8
	s_mov_b64 s[14:15], -1
	s_and_b64 vcc, exec, s[26:27]
                                        ; implicit-def: $vgpr8
	s_cbranch_vccz .LBB152_30
; %bb.29:                               ;   in Loop: Header=BB152_18 Depth=1
	v_div_scale_f32 v7, s[14:15], v4, v4, v3
	v_div_scale_f32 v8, vcc, v3, v4, v3
	v_rcp_f32_e32 v17, v7
	v_fma_f32 v18, -v7, v17, 1.0
	v_fmac_f32_e32 v17, v18, v17
	v_mul_f32_e32 v18, v8, v17
	v_fma_f32 v19, -v7, v18, v8
	v_fmac_f32_e32 v18, v19, v17
	v_fma_f32 v7, -v7, v18, v8
	v_div_fmas_f32 v7, v7, v17, v18
	v_div_fixup_f32 v7, v7, v4, v3
	v_fma_f32 v8, v3, v7, v4
	v_div_scale_f32 v17, s[14:15], v8, v8, 1.0
	v_div_scale_f32 v18, vcc, 1.0, v8, 1.0
	s_mov_b64 s[14:15], 0
	v_rcp_f32_e32 v19, v17
	v_fma_f32 v20, -v17, v19, 1.0
	v_fmac_f32_e32 v19, v20, v19
	v_mul_f32_e32 v20, v18, v19
	v_fma_f32 v21, -v17, v20, v18
	v_fmac_f32_e32 v20, v21, v19
	v_fma_f32 v17, -v17, v20, v18
	v_div_fmas_f32 v17, v17, v19, v20
	v_fma_f32 v18, v7, v1, v2
	v_fma_f32 v19, v7, v2, -v1
	v_div_fixup_f32 v8, v17, v8, 1.0
	v_mul_f32_e32 v7, v18, v8
	v_mul_f32_e32 v8, v19, v8
.LBB152_30:                             ;   in Loop: Header=BB152_18 Depth=1
	s_andn2_b64 vcc, exec, s[14:15]
	s_cbranch_vccnz .LBB152_32
; %bb.31:                               ;   in Loop: Header=BB152_18 Depth=1
	v_div_scale_f32 v7, s[14:15], v3, v3, v4
	v_div_scale_f32 v8, vcc, v4, v3, v4
	v_rcp_f32_e32 v17, v7
	v_fma_f32 v18, -v7, v17, 1.0
	v_fmac_f32_e32 v17, v18, v17
	v_mul_f32_e32 v18, v8, v17
	v_fma_f32 v19, -v7, v18, v8
	v_fmac_f32_e32 v18, v19, v17
	v_fma_f32 v7, -v7, v18, v8
	v_div_fmas_f32 v7, v7, v17, v18
	v_div_fixup_f32 v7, v7, v3, v4
	v_fmac_f32_e32 v3, v4, v7
	v_div_scale_f32 v4, s[14:15], v3, v3, 1.0
	v_div_scale_f32 v8, vcc, 1.0, v3, 1.0
	v_rcp_f32_e32 v17, v4
	v_fma_f32 v18, -v4, v17, 1.0
	v_fmac_f32_e32 v17, v18, v17
	v_mul_f32_e32 v18, v8, v17
	v_fma_f32 v19, -v4, v18, v8
	v_fmac_f32_e32 v18, v19, v17
	v_fma_f32 v4, -v4, v18, v8
	v_div_fmas_f32 v4, v4, v17, v18
	v_fma_f32 v8, v7, v2, v1
	v_fma_f32 v1, -v7, v1, v2
	v_div_fixup_f32 v2, v4, v3, 1.0
	v_mul_f32_e32 v7, v8, v2
	v_mul_f32_e32 v8, v1, v2
.LBB152_32:                             ;   in Loop: Header=BB152_18 Depth=1
	v_mov_b32_e32 v1, s22
	ds_read2_b64 v[1:4], v1 offset0:3 offset1:51
	s_lshl_b32 s14, s19, 3
	ds_write_b64 v16, v[7:8]
	s_sub_i32 s14, s23, s14
	s_add_i32 s14, s14, s20
	s_waitcnt lgkmcnt(1)
	v_mul_f32_e32 v16, v10, v2
	v_mul_f32_e32 v17, v9, v2
	v_fma_f32 v2, v9, v1, -v16
	v_fmac_f32_e32 v17, v10, v1
	v_mov_b32_e32 v1, s21
	v_sub_f32_e32 v9, v5, v2
	ds_read_b64 v[1:2], v1 offset:24
	v_mov_b32_e32 v5, s14
	v_sub_f32_e32 v10, v6, v17
	ds_read_b64 v[5:6], v5 offset:160
	v_cmp_ngt_f32_e64 s[20:21], |v3|, |v4|
	s_waitcnt lgkmcnt(1)
	v_mul_f32_e32 v16, v12, v2
	v_fma_f32 v16, v11, v1, -v16
	v_mul_f32_e32 v2, v11, v2
	v_fmac_f32_e32 v2, v12, v1
	v_sub_f32_e32 v1, v9, v16
	s_waitcnt lgkmcnt(0)
	v_mul_f32_e32 v9, v8, v6
	v_mul_f32_e32 v6, v7, v6
	v_sub_f32_e32 v2, v10, v2
	v_fma_f32 v9, v7, v5, -v9
	v_fmac_f32_e32 v6, v8, v5
	v_sub_f32_e32 v5, v1, v9
	v_sub_f32_e32 v6, v2, v6
	s_mov_b64 s[14:15], -1
	s_and_b64 vcc, exec, s[20:21]
                                        ; implicit-def: $vgpr2
	s_cbranch_vccz .LBB152_34
; %bb.33:                               ;   in Loop: Header=BB152_18 Depth=1
	v_div_scale_f32 v1, s[14:15], v4, v4, v3
	v_div_scale_f32 v2, vcc, v3, v4, v3
	v_rcp_f32_e32 v7, v1
	v_fma_f32 v8, -v1, v7, 1.0
	v_fmac_f32_e32 v7, v8, v7
	v_mul_f32_e32 v8, v2, v7
	v_fma_f32 v9, -v1, v8, v2
	v_fmac_f32_e32 v8, v9, v7
	v_fma_f32 v1, -v1, v8, v2
	v_div_fmas_f32 v1, v1, v7, v8
	v_div_fixup_f32 v1, v1, v4, v3
	v_fma_f32 v2, v3, v1, v4
	v_div_scale_f32 v7, s[14:15], v2, v2, 1.0
	v_div_scale_f32 v8, vcc, 1.0, v2, 1.0
	s_mov_b64 s[14:15], 0
	v_rcp_f32_e32 v9, v7
	v_fma_f32 v10, -v7, v9, 1.0
	v_fmac_f32_e32 v9, v10, v9
	v_mul_f32_e32 v10, v8, v9
	v_fma_f32 v11, -v7, v10, v8
	v_fmac_f32_e32 v10, v11, v9
	v_fma_f32 v7, -v7, v10, v8
	v_div_fmas_f32 v7, v7, v9, v10
	v_fma_f32 v8, v1, v5, v6
	v_fma_f32 v9, v1, v6, -v5
	v_div_fixup_f32 v2, v7, v2, 1.0
	v_mul_f32_e32 v1, v8, v2
	v_mul_f32_e32 v2, v9, v2
.LBB152_34:                             ;   in Loop: Header=BB152_18 Depth=1
	s_andn2_b64 vcc, exec, s[14:15]
	s_cbranch_vccnz .LBB152_36
; %bb.35:                               ;   in Loop: Header=BB152_18 Depth=1
	v_div_scale_f32 v1, s[14:15], v3, v3, v4
	v_div_scale_f32 v2, vcc, v4, v3, v4
	v_rcp_f32_e32 v7, v1
	v_fma_f32 v8, -v1, v7, 1.0
	v_fmac_f32_e32 v7, v8, v7
	v_mul_f32_e32 v8, v2, v7
	v_fma_f32 v9, -v1, v8, v2
	v_fmac_f32_e32 v8, v9, v7
	v_fma_f32 v1, -v1, v8, v2
	v_div_fmas_f32 v1, v1, v7, v8
	v_div_fixup_f32 v1, v1, v3, v4
	v_fmac_f32_e32 v3, v4, v1
	v_div_scale_f32 v2, s[14:15], v3, v3, 1.0
	v_div_scale_f32 v4, vcc, 1.0, v3, 1.0
	v_rcp_f32_e32 v7, v2
	v_fma_f32 v8, -v2, v7, 1.0
	v_fmac_f32_e32 v7, v8, v7
	v_mul_f32_e32 v8, v4, v7
	v_fma_f32 v9, -v2, v8, v4
	v_fmac_f32_e32 v8, v9, v7
	v_fma_f32 v2, -v2, v8, v4
	v_div_fmas_f32 v2, v2, v7, v8
	v_fma_f32 v4, v1, v6, v5
	v_fma_f32 v5, -v1, v5, v6
	v_div_fixup_f32 v2, v2, v3, 1.0
	v_mul_f32_e32 v1, v4, v2
	v_mul_f32_e32 v2, v5, v2
.LBB152_36:                             ;   in Loop: Header=BB152_18 Depth=1
	s_add_i32 s19, s18, 4
	s_add_i32 s14, s18, 7
	;; [unrolled: 1-line block ×3, first 2 shown]
	s_cmp_ge_i32 s14, s24
	ds_write_b64 v15, v[1:2]
	s_cbranch_scc1 .LBB152_38
; %bb.37:                               ;   in Loop: Header=BB152_18 Depth=1
	s_mov_b32 s18, s19
	s_branch .LBB152_18
.LBB152_38:
	s_cmp_ge_i32 s19, s24
	s_cbranch_scc1 .LBB152_47
; %bb.39:
	v_mov_b32_e32 v1, 0x800
	s_lshl_b32 s13, s19, 3
	v_lshl_or_b32 v7, v0, 3, v1
	s_branch .LBB152_41
.LBB152_40:                             ;   in Loop: Header=BB152_41 Depth=1
	s_add_i32 s19, s19, 1
	s_add_i32 s13, s13, 8
	s_cmp_ge_i32 s19, s24
	ds_write_b64 v8, v[5:6]
	s_cbranch_scc1 .LBB152_47
.LBB152_41:                             ; =>This Loop Header: Depth=1
                                        ;     Child Loop BB152_42 Depth 2
	s_lshl_b32 s14, s19, 7
	v_add_u32_e32 v8, s14, v13
	ds_read_b64 v[1:2], v8
	s_cmp_eq_u32 s19, 0
	v_mov_b32_e32 v3, v7
	s_mov_b32 s15, s13
	s_mov_b32 s18, s19
	s_cbranch_scc1 .LBB152_43
.LBB152_42:                             ;   Parent Loop BB152_41 Depth=1
                                        ; =>  This Inner Loop Header: Depth=2
	v_mov_b32_e32 v6, s15
	ds_read_b64 v[4:5], v3
	ds_read_b64 v[9:10], v6
	s_add_i32 s18, s18, -1
	s_addk_i32 s15, 0x80
	v_add_u32_e32 v3, 0x80, v3
	s_cmp_eq_u32 s18, 0
	s_waitcnt lgkmcnt(0)
	v_mul_f32_e32 v6, v10, v5
	v_mul_f32_e32 v5, v9, v5
	v_fma_f32 v6, v9, v4, -v6
	v_fmac_f32_e32 v5, v10, v4
	v_sub_f32_e32 v1, v1, v6
	v_sub_f32_e32 v2, v2, v5
	s_cbranch_scc0 .LBB152_42
.LBB152_43:                             ;   in Loop: Header=BB152_41 Depth=1
	s_lshl_b32 s15, s19, 3
	s_add_i32 s14, s15, s14
	v_mov_b32_e32 v3, s14
	ds_read_b64 v[3:4], v3
	s_mov_b64 s[14:15], -1
                                        ; implicit-def: $vgpr5
	s_waitcnt lgkmcnt(0)
	v_cmp_ngt_f32_e64 s[20:21], |v3|, |v4|
	s_and_b64 vcc, exec, s[20:21]
	s_cbranch_vccz .LBB152_45
; %bb.44:                               ;   in Loop: Header=BB152_41 Depth=1
	v_div_scale_f32 v5, s[14:15], v4, v4, v3
	v_div_scale_f32 v6, vcc, v3, v4, v3
	v_rcp_f32_e32 v9, v5
	v_fma_f32 v10, -v5, v9, 1.0
	v_fmac_f32_e32 v9, v10, v9
	v_mul_f32_e32 v10, v6, v9
	v_fma_f32 v11, -v5, v10, v6
	v_fmac_f32_e32 v10, v11, v9
	v_fma_f32 v5, -v5, v10, v6
	v_div_fmas_f32 v5, v5, v9, v10
	v_div_fixup_f32 v5, v5, v4, v3
	v_fma_f32 v6, v3, v5, v4
	v_div_scale_f32 v9, s[14:15], v6, v6, 1.0
	v_div_scale_f32 v10, vcc, 1.0, v6, 1.0
	s_mov_b64 s[14:15], 0
	v_rcp_f32_e32 v11, v9
	v_fma_f32 v12, -v9, v11, 1.0
	v_fmac_f32_e32 v11, v12, v11
	v_mul_f32_e32 v12, v10, v11
	v_fma_f32 v14, -v9, v12, v10
	v_fmac_f32_e32 v12, v14, v11
	v_fma_f32 v9, -v9, v12, v10
	v_div_fmas_f32 v9, v9, v11, v12
	v_fma_f32 v10, v1, v5, v2
	v_fma_f32 v11, v2, v5, -v1
	v_div_fixup_f32 v6, v9, v6, 1.0
	v_mul_f32_e32 v5, v10, v6
	v_mul_f32_e32 v6, v11, v6
.LBB152_45:                             ;   in Loop: Header=BB152_41 Depth=1
	s_andn2_b64 vcc, exec, s[14:15]
	s_cbranch_vccnz .LBB152_40
; %bb.46:                               ;   in Loop: Header=BB152_41 Depth=1
	v_div_scale_f32 v5, s[14:15], v3, v3, v4
	v_div_scale_f32 v6, vcc, v4, v3, v4
	v_rcp_f32_e32 v9, v5
	v_fma_f32 v10, -v5, v9, 1.0
	v_fmac_f32_e32 v9, v10, v9
	v_mul_f32_e32 v10, v6, v9
	v_fma_f32 v11, -v5, v10, v6
	v_fmac_f32_e32 v10, v11, v9
	v_fma_f32 v5, -v5, v10, v6
	v_div_fmas_f32 v5, v5, v9, v10
	v_div_fixup_f32 v5, v5, v3, v4
	v_fmac_f32_e32 v3, v4, v5
	v_div_scale_f32 v4, s[14:15], v3, v3, 1.0
	v_div_scale_f32 v6, vcc, 1.0, v3, 1.0
	v_rcp_f32_e32 v9, v4
	v_fma_f32 v10, -v4, v9, 1.0
	v_fmac_f32_e32 v9, v10, v9
	v_mul_f32_e32 v10, v6, v9
	v_fma_f32 v11, -v4, v10, v6
	v_fmac_f32_e32 v10, v11, v9
	v_fma_f32 v4, -v4, v10, v6
	v_div_fmas_f32 v4, v4, v9, v10
	v_fma_f32 v6, v2, v5, v1
	v_fma_f32 v1, -v1, v5, v2
	v_div_fixup_f32 v2, v4, v3, 1.0
	v_mul_f32_e32 v5, v6, v2
	v_mul_f32_e32 v6, v1, v2
	s_branch .LBB152_40
.LBB152_47:
	s_mov_b64 s[14:15], 0
.LBB152_48:
	s_and_b64 vcc, exec, s[14:15]
	s_cbranch_vccz .LBB152_80
; %bb.49:
	s_andn2_b64 vcc, exec, s[8:9]
	s_mov_b32 s19, s11
	s_cbranch_vccnz .LBB152_71
; %bb.50:
	v_lshlrev_b32_e32 v1, 3, v0
	s_mul_i32 s13, s24, 0x88
	v_lshl_or_b32 v1, s24, 7, v1
	s_addk_i32 s13, 0xff60
	v_add_u32_e32 v14, 0x780, v1
	s_mov_b32 s18, s11
.LBB152_51:                             ; =>This Loop Header: Depth=1
                                        ;     Child Loop BB152_52 Depth 2
	s_add_i32 s19, s18, -3
	v_lshl_add_u32 v18, s18, 7, v13
	s_add_i32 s20, s18, -1
	s_add_i32 s22, s18, -2
	s_lshl_b32 s14, s19, 7
	v_lshl_add_u32 v17, s20, 7, v13
	v_lshl_add_u32 v16, s22, 7, v13
	v_add_u32_e32 v15, s14, v13
	ds_read_b64 v[9:10], v18
	ds_read_b64 v[7:8], v17
	;; [unrolled: 1-line block ×4, first 2 shown]
	s_cmp_le_i32 s11, s18
	v_mov_b32_e32 v5, v14
	s_mov_b32 s14, s13
	s_mov_b32 s15, s11
	s_cbranch_scc1 .LBB152_53
.LBB152_52:                             ;   Parent Loop BB152_51 Depth=1
                                        ; =>  This Inner Loop Header: Depth=2
	v_mov_b32_e32 v6, s14
	ds_read_b64 v[11:12], v5
	ds_read2_b64 v[19:22], v6 offset0:2 offset1:3
	ds_read2_b64 v[23:26], v6 offset1:1
	s_add_i32 s15, s15, -1
	s_addk_i32 s14, 0xff80
	v_add_u32_e32 v5, 0xffffff80, v5
	s_waitcnt lgkmcnt(1)
	v_mul_f32_e32 v6, v22, v12
	v_mul_f32_e32 v27, v21, v12
	;; [unrolled: 1-line block ×4, first 2 shown]
	s_waitcnt lgkmcnt(0)
	v_mul_f32_e32 v29, v26, v12
	v_mul_f32_e32 v26, v26, v11
	;; [unrolled: 1-line block ×4, first 2 shown]
	v_fma_f32 v6, v21, v11, -v6
	v_fmac_f32_e32 v27, v22, v11
	v_fma_f32 v21, v19, v11, -v28
	v_fmac_f32_e32 v20, v19, v12
	;; [unrolled: 2-line block ×4, first 2 shown]
	s_cmp_le_i32 s15, s18
	v_sub_f32_e32 v9, v9, v6
	v_sub_f32_e32 v10, v10, v27
	v_sub_f32_e32 v7, v7, v21
	v_sub_f32_e32 v8, v8, v20
	v_sub_f32_e32 v3, v3, v19
	v_sub_f32_e32 v4, v4, v26
	v_sub_f32_e32 v1, v1, v11
	v_sub_f32_e32 v2, v2, v24
	s_cbranch_scc0 .LBB152_52
.LBB152_53:                             ;   in Loop: Header=BB152_51 Depth=1
	s_lshl_b32 s23, s18, 3
	s_lshl_b32 s14, s18, 7
	s_add_i32 s21, s23, s14
	v_mov_b32_e32 v5, s21
	ds_read_b64 v[11:12], v5
	s_mov_b64 s[14:15], -1
                                        ; implicit-def: $vgpr6
	s_waitcnt lgkmcnt(0)
	v_cmp_ngt_f32_e64 s[26:27], |v11|, |v12|
	s_and_b64 vcc, exec, s[26:27]
	s_cbranch_vccz .LBB152_55
; %bb.54:                               ;   in Loop: Header=BB152_51 Depth=1
	v_div_scale_f32 v5, s[14:15], v12, v12, v11
	v_div_scale_f32 v6, vcc, v11, v12, v11
	v_rcp_f32_e32 v19, v5
	v_fma_f32 v20, -v5, v19, 1.0
	v_fmac_f32_e32 v19, v20, v19
	v_mul_f32_e32 v20, v6, v19
	v_fma_f32 v21, -v5, v20, v6
	v_fmac_f32_e32 v20, v21, v19
	v_fma_f32 v5, -v5, v20, v6
	v_div_fmas_f32 v5, v5, v19, v20
	v_div_fixup_f32 v5, v5, v12, v11
	v_fma_f32 v6, v11, v5, v12
	v_div_scale_f32 v19, s[14:15], v6, v6, 1.0
	v_div_scale_f32 v20, vcc, 1.0, v6, 1.0
	s_mov_b64 s[14:15], 0
	v_rcp_f32_e32 v21, v19
	v_fma_f32 v22, -v19, v21, 1.0
	v_fmac_f32_e32 v21, v22, v21
	v_mul_f32_e32 v22, v20, v21
	v_fma_f32 v23, -v19, v22, v20
	v_fmac_f32_e32 v22, v23, v21
	v_fma_f32 v19, -v19, v22, v20
	v_div_fmas_f32 v19, v19, v21, v22
	v_fma_f32 v20, v9, v5, v10
	v_fma_f32 v21, v10, v5, -v9
	v_div_fixup_f32 v6, v19, v6, 1.0
	v_mul_f32_e32 v5, v20, v6
	v_mul_f32_e32 v6, v21, v6
.LBB152_55:                             ;   in Loop: Header=BB152_51 Depth=1
	s_andn2_b64 vcc, exec, s[14:15]
	s_cbranch_vccnz .LBB152_57
; %bb.56:                               ;   in Loop: Header=BB152_51 Depth=1
	v_div_scale_f32 v5, s[14:15], v11, v11, v12
	v_div_scale_f32 v6, vcc, v12, v11, v12
	v_rcp_f32_e32 v19, v5
	v_fma_f32 v20, -v5, v19, 1.0
	v_fmac_f32_e32 v19, v20, v19
	v_mul_f32_e32 v20, v6, v19
	v_fma_f32 v21, -v5, v20, v6
	v_fmac_f32_e32 v20, v21, v19
	v_fma_f32 v5, -v5, v20, v6
	v_div_fmas_f32 v5, v5, v19, v20
	v_div_fixup_f32 v5, v5, v11, v12
	v_fmac_f32_e32 v11, v12, v5
	v_div_scale_f32 v6, s[14:15], v11, v11, 1.0
	v_div_scale_f32 v12, vcc, 1.0, v11, 1.0
	v_rcp_f32_e32 v19, v6
	v_fma_f32 v20, -v6, v19, 1.0
	v_fmac_f32_e32 v19, v20, v19
	v_mul_f32_e32 v20, v12, v19
	v_fma_f32 v21, -v6, v20, v12
	v_fmac_f32_e32 v20, v21, v19
	v_fma_f32 v6, -v6, v20, v12
	v_div_fmas_f32 v6, v6, v19, v20
	v_fma_f32 v12, v10, v5, v9
	v_fma_f32 v9, -v9, v5, v10
	v_div_fixup_f32 v6, v6, v11, 1.0
	v_mul_f32_e32 v5, v12, v6
	v_mul_f32_e32 v6, v9, v6
.LBB152_57:                             ;   in Loop: Header=BB152_51 Depth=1
	s_lshl_b32 s14, s20, 7
	s_add_i32 s25, s23, s14
	s_add_i32 s14, s21, -8
	v_mov_b32_e32 v9, s14
	s_add_i32 s25, s25, -8
	ds_read_b64 v[11:12], v9
	v_mov_b32_e32 v9, s25
	ds_read_b64 v[9:10], v9
	ds_write_b64 v18, v[5:6]
	s_mov_b64 s[14:15], -1
	s_waitcnt lgkmcnt(2)
	v_mul_f32_e32 v18, v6, v12
	v_mul_f32_e32 v12, v5, v12
	v_fma_f32 v18, v5, v11, -v18
	v_fmac_f32_e32 v12, v6, v11
	s_waitcnt lgkmcnt(1)
	v_cmp_ngt_f32_e64 s[26:27], |v9|, |v10|
	v_sub_f32_e32 v11, v7, v18
	v_sub_f32_e32 v12, v8, v12
	s_and_b64 vcc, exec, s[26:27]
                                        ; implicit-def: $vgpr8
	s_cbranch_vccz .LBB152_59
; %bb.58:                               ;   in Loop: Header=BB152_51 Depth=1
	v_div_scale_f32 v7, s[14:15], v10, v10, v9
	v_div_scale_f32 v8, vcc, v9, v10, v9
	v_rcp_f32_e32 v18, v7
	v_fma_f32 v19, -v7, v18, 1.0
	v_fmac_f32_e32 v18, v19, v18
	v_mul_f32_e32 v19, v8, v18
	v_fma_f32 v20, -v7, v19, v8
	v_fmac_f32_e32 v19, v20, v18
	v_fma_f32 v7, -v7, v19, v8
	v_div_fmas_f32 v7, v7, v18, v19
	v_div_fixup_f32 v7, v7, v10, v9
	v_fma_f32 v8, v9, v7, v10
	v_div_scale_f32 v18, s[14:15], v8, v8, 1.0
	v_div_scale_f32 v19, vcc, 1.0, v8, 1.0
	s_mov_b64 s[14:15], 0
	v_rcp_f32_e32 v20, v18
	v_fma_f32 v21, -v18, v20, 1.0
	v_fmac_f32_e32 v20, v21, v20
	v_mul_f32_e32 v21, v19, v20
	v_fma_f32 v22, -v18, v21, v19
	v_fmac_f32_e32 v21, v22, v20
	v_fma_f32 v18, -v18, v21, v19
	v_div_fmas_f32 v18, v18, v20, v21
	v_fma_f32 v19, v7, v11, v12
	v_fma_f32 v20, v7, v12, -v11
	v_div_fixup_f32 v8, v18, v8, 1.0
	v_mul_f32_e32 v7, v19, v8
	v_mul_f32_e32 v8, v20, v8
.LBB152_59:                             ;   in Loop: Header=BB152_51 Depth=1
	s_andn2_b64 vcc, exec, s[14:15]
	s_cbranch_vccnz .LBB152_61
; %bb.60:                               ;   in Loop: Header=BB152_51 Depth=1
	v_div_scale_f32 v7, s[14:15], v9, v9, v10
	v_div_scale_f32 v8, vcc, v10, v9, v10
	v_rcp_f32_e32 v18, v7
	v_fma_f32 v19, -v7, v18, 1.0
	v_fmac_f32_e32 v18, v19, v18
	v_mul_f32_e32 v19, v8, v18
	v_fma_f32 v20, -v7, v19, v8
	v_fmac_f32_e32 v19, v20, v18
	v_fma_f32 v7, -v7, v19, v8
	v_div_fmas_f32 v7, v7, v18, v19
	v_div_fixup_f32 v7, v7, v9, v10
	v_fmac_f32_e32 v9, v10, v7
	v_div_scale_f32 v8, s[14:15], v9, v9, 1.0
	v_div_scale_f32 v10, vcc, 1.0, v9, 1.0
	v_rcp_f32_e32 v18, v8
	v_fma_f32 v19, -v8, v18, 1.0
	v_fmac_f32_e32 v18, v19, v18
	v_mul_f32_e32 v19, v10, v18
	v_fma_f32 v20, -v8, v19, v10
	v_fmac_f32_e32 v19, v20, v18
	v_fma_f32 v8, -v8, v19, v10
	v_div_fmas_f32 v8, v8, v18, v19
	v_fma_f32 v10, v7, v12, v11
	v_fma_f32 v11, -v7, v11, v12
	v_div_fixup_f32 v8, v8, v9, 1.0
	v_mul_f32_e32 v7, v10, v8
	v_mul_f32_e32 v8, v11, v8
.LBB152_61:                             ;   in Loop: Header=BB152_51 Depth=1
	s_add_i32 s15, s21, -16
	s_lshl_b32 s14, s22, 7
	v_mov_b32_e32 v9, s15
	s_lshl_b32 s15, s20, 3
	s_add_i32 s14, s23, s14
	ds_read_b64 v[11:12], v9
	s_sub_i32 s23, s25, s15
	s_lshl_b32 s22, s22, 3
	s_add_i32 s15, s23, s22
	s_add_i32 s20, s14, -16
	ds_write_b64 v17, v[7:8]
	v_mov_b32_e32 v9, s15
	v_mov_b32_e32 v10, s20
	ds_read_b64 v[17:18], v9
	ds_read_b64 v[9:10], v10
	s_waitcnt lgkmcnt(3)
	v_mul_f32_e32 v19, v6, v12
	v_mul_f32_e32 v12, v5, v12
	v_fmac_f32_e32 v12, v6, v11
	v_fma_f32 v19, v5, v11, -v19
	v_sub_f32_e32 v4, v4, v12
	s_waitcnt lgkmcnt(1)
	v_mul_f32_e32 v11, v8, v18
	v_mul_f32_e32 v12, v7, v18
	v_sub_f32_e32 v3, v3, v19
	v_fma_f32 v11, v7, v17, -v11
	v_fmac_f32_e32 v12, v8, v17
	s_waitcnt lgkmcnt(0)
	v_cmp_ngt_f32_e64 s[26:27], |v9|, |v10|
	v_sub_f32_e32 v3, v3, v11
	v_sub_f32_e32 v4, v4, v12
	s_mov_b64 s[14:15], -1
	s_and_b64 vcc, exec, s[26:27]
                                        ; implicit-def: $vgpr12
	s_cbranch_vccz .LBB152_63
; %bb.62:                               ;   in Loop: Header=BB152_51 Depth=1
	v_div_scale_f32 v11, s[14:15], v10, v10, v9
	v_div_scale_f32 v12, vcc, v9, v10, v9
	v_rcp_f32_e32 v17, v11
	v_fma_f32 v18, -v11, v17, 1.0
	v_fmac_f32_e32 v17, v18, v17
	v_mul_f32_e32 v18, v12, v17
	v_fma_f32 v19, -v11, v18, v12
	v_fmac_f32_e32 v18, v19, v17
	v_fma_f32 v11, -v11, v18, v12
	v_div_fmas_f32 v11, v11, v17, v18
	v_div_fixup_f32 v11, v11, v10, v9
	v_fma_f32 v12, v9, v11, v10
	v_div_scale_f32 v17, s[14:15], v12, v12, 1.0
	v_div_scale_f32 v18, vcc, 1.0, v12, 1.0
	s_mov_b64 s[14:15], 0
	v_rcp_f32_e32 v19, v17
	v_fma_f32 v20, -v17, v19, 1.0
	v_fmac_f32_e32 v19, v20, v19
	v_mul_f32_e32 v20, v18, v19
	v_fma_f32 v21, -v17, v20, v18
	v_fmac_f32_e32 v20, v21, v19
	v_fma_f32 v17, -v17, v20, v18
	v_div_fmas_f32 v17, v17, v19, v20
	v_fma_f32 v18, v11, v3, v4
	v_fma_f32 v19, v11, v4, -v3
	v_div_fixup_f32 v12, v17, v12, 1.0
	v_mul_f32_e32 v11, v18, v12
	v_mul_f32_e32 v12, v19, v12
.LBB152_63:                             ;   in Loop: Header=BB152_51 Depth=1
	s_andn2_b64 vcc, exec, s[14:15]
	s_cbranch_vccnz .LBB152_65
; %bb.64:                               ;   in Loop: Header=BB152_51 Depth=1
	v_div_scale_f32 v11, s[14:15], v9, v9, v10
	v_div_scale_f32 v12, vcc, v10, v9, v10
	v_rcp_f32_e32 v17, v11
	v_fma_f32 v18, -v11, v17, 1.0
	v_fmac_f32_e32 v17, v18, v17
	v_mul_f32_e32 v18, v12, v17
	v_fma_f32 v19, -v11, v18, v12
	v_fmac_f32_e32 v18, v19, v17
	v_fma_f32 v11, -v11, v18, v12
	v_div_fmas_f32 v11, v11, v17, v18
	v_div_fixup_f32 v11, v11, v9, v10
	v_fmac_f32_e32 v9, v10, v11
	v_div_scale_f32 v10, s[14:15], v9, v9, 1.0
	v_div_scale_f32 v12, vcc, 1.0, v9, 1.0
	v_rcp_f32_e32 v17, v10
	v_fma_f32 v18, -v10, v17, 1.0
	v_fmac_f32_e32 v17, v18, v17
	v_mul_f32_e32 v18, v12, v17
	v_fma_f32 v19, -v10, v18, v12
	v_fmac_f32_e32 v18, v19, v17
	v_fma_f32 v10, -v10, v18, v12
	v_div_fmas_f32 v10, v10, v17, v18
	v_fma_f32 v12, v11, v4, v3
	v_fma_f32 v3, -v11, v3, v4
	v_div_fixup_f32 v4, v10, v9, 1.0
	v_mul_f32_e32 v11, v12, v4
	v_mul_f32_e32 v12, v3, v4
.LBB152_65:                             ;   in Loop: Header=BB152_51 Depth=1
	s_sub_i32 s14, s21, 24
	v_mov_b32_e32 v3, s14
	s_lshl_b32 s14, s19, 3
	ds_read_b64 v[9:10], v3
	s_add_i32 s15, s23, s14
	v_mov_b32_e32 v3, s15
	s_sub_i32 s15, s20, s22
	s_add_i32 s14, s15, s14
	v_mov_b32_e32 v4, s14
	s_add_i32 s14, s20, 0xffffff78
	ds_write_b64 v16, v[11:12]
	v_mov_b32_e32 v20, s14
	ds_read_b64 v[16:17], v3
	ds_read_b64 v[18:19], v4
	;; [unrolled: 1-line block ×3, first 2 shown]
	s_waitcnt lgkmcnt(4)
	v_mul_f32_e32 v20, v6, v10
	v_fma_f32 v20, v5, v9, -v20
	v_mul_f32_e32 v5, v5, v10
	v_fmac_f32_e32 v5, v6, v9
	v_sub_f32_e32 v2, v2, v5
	s_waitcnt lgkmcnt(2)
	v_mul_f32_e32 v5, v8, v17
	v_mul_f32_e32 v6, v7, v17
	v_sub_f32_e32 v1, v1, v20
	v_fma_f32 v5, v7, v16, -v5
	v_fmac_f32_e32 v6, v8, v16
	v_sub_f32_e32 v1, v1, v5
	v_sub_f32_e32 v2, v2, v6
	s_waitcnt lgkmcnt(1)
	v_mul_f32_e32 v5, v12, v19
	v_mul_f32_e32 v6, v11, v19
	v_fma_f32 v5, v11, v18, -v5
	v_fmac_f32_e32 v6, v12, v18
	s_waitcnt lgkmcnt(0)
	v_cmp_ngt_f32_e64 s[20:21], |v3|, |v4|
	v_sub_f32_e32 v5, v1, v5
	v_sub_f32_e32 v6, v2, v6
	s_mov_b64 s[14:15], -1
	s_and_b64 vcc, exec, s[20:21]
                                        ; implicit-def: $vgpr2
	s_cbranch_vccz .LBB152_67
; %bb.66:                               ;   in Loop: Header=BB152_51 Depth=1
	v_div_scale_f32 v1, s[14:15], v4, v4, v3
	v_div_scale_f32 v2, vcc, v3, v4, v3
	v_rcp_f32_e32 v7, v1
	v_fma_f32 v8, -v1, v7, 1.0
	v_fmac_f32_e32 v7, v8, v7
	v_mul_f32_e32 v8, v2, v7
	v_fma_f32 v9, -v1, v8, v2
	v_fmac_f32_e32 v8, v9, v7
	v_fma_f32 v1, -v1, v8, v2
	v_div_fmas_f32 v1, v1, v7, v8
	v_div_fixup_f32 v1, v1, v4, v3
	v_fma_f32 v2, v3, v1, v4
	v_div_scale_f32 v7, s[14:15], v2, v2, 1.0
	v_div_scale_f32 v8, vcc, 1.0, v2, 1.0
	s_mov_b64 s[14:15], 0
	v_rcp_f32_e32 v9, v7
	v_fma_f32 v10, -v7, v9, 1.0
	v_fmac_f32_e32 v9, v10, v9
	v_mul_f32_e32 v10, v8, v9
	v_fma_f32 v11, -v7, v10, v8
	v_fmac_f32_e32 v10, v11, v9
	v_fma_f32 v7, -v7, v10, v8
	v_div_fmas_f32 v7, v7, v9, v10
	v_fma_f32 v8, v1, v5, v6
	v_fma_f32 v9, v1, v6, -v5
	v_div_fixup_f32 v2, v7, v2, 1.0
	v_mul_f32_e32 v1, v8, v2
	v_mul_f32_e32 v2, v9, v2
.LBB152_67:                             ;   in Loop: Header=BB152_51 Depth=1
	s_andn2_b64 vcc, exec, s[14:15]
	s_cbranch_vccnz .LBB152_69
; %bb.68:                               ;   in Loop: Header=BB152_51 Depth=1
	v_div_scale_f32 v1, s[14:15], v3, v3, v4
	v_div_scale_f32 v2, vcc, v4, v3, v4
	v_rcp_f32_e32 v7, v1
	v_fma_f32 v8, -v1, v7, 1.0
	v_fmac_f32_e32 v7, v8, v7
	v_mul_f32_e32 v8, v2, v7
	v_fma_f32 v9, -v1, v8, v2
	v_fmac_f32_e32 v8, v9, v7
	v_fma_f32 v1, -v1, v8, v2
	v_div_fmas_f32 v1, v1, v7, v8
	v_div_fixup_f32 v1, v1, v3, v4
	v_fmac_f32_e32 v3, v4, v1
	v_div_scale_f32 v2, s[14:15], v3, v3, 1.0
	v_div_scale_f32 v4, vcc, 1.0, v3, 1.0
	v_rcp_f32_e32 v7, v2
	v_fma_f32 v8, -v2, v7, 1.0
	v_fmac_f32_e32 v7, v8, v7
	v_mul_f32_e32 v8, v4, v7
	v_fma_f32 v9, -v2, v8, v4
	v_fmac_f32_e32 v8, v9, v7
	v_fma_f32 v2, -v2, v8, v4
	v_div_fmas_f32 v2, v2, v7, v8
	v_fma_f32 v4, v1, v6, v5
	v_fma_f32 v5, -v1, v5, v6
	v_div_fixup_f32 v2, v2, v3, 1.0
	v_mul_f32_e32 v1, v4, v2
	v_mul_f32_e32 v2, v5, v2
.LBB152_69:                             ;   in Loop: Header=BB152_51 Depth=1
	s_add_i32 s19, s18, -4
	s_sub_i32 s13, s13, 32
	s_cmp_lt_i32 s18, 7
	ds_write_b64 v15, v[1:2]
	s_cbranch_scc1 .LBB152_71
; %bb.70:                               ;   in Loop: Header=BB152_51 Depth=1
	s_mov_b32 s18, s19
	s_branch .LBB152_51
.LBB152_71:
	s_cmp_lt_i32 s19, 0
	s_cbranch_scc1 .LBB152_80
; %bb.72:
	s_lshl_b32 s14, s24, 7
	s_lshl_b32 s13, s19, 3
	s_add_i32 s13, s14, s13
	v_lshl_or_b32 v1, v0, 3, s14
	s_addk_i32 s13, 0xff80
	v_add_u32_e32 v7, 0x780, v1
	s_branch .LBB152_74
.LBB152_73:                             ;   in Loop: Header=BB152_74 Depth=1
	v_sub_co_u32_e64 v1, s[14:15], s19, 1
	v_readfirstlane_b32 s19, v1
	s_add_i32 s13, s13, -8
	s_and_b64 vcc, exec, s[14:15]
	ds_write_b64 v8, v[5:6]
	s_cbranch_vccnz .LBB152_80
.LBB152_74:                             ; =>This Loop Header: Depth=1
                                        ;     Child Loop BB152_75 Depth 2
	s_lshl_b32 s14, s19, 7
	v_add_u32_e32 v8, s14, v13
	ds_read_b64 v[1:2], v8
	s_cmp_le_i32 s11, s19
	v_mov_b32_e32 v3, v7
	s_mov_b32 s15, s13
	s_mov_b32 s18, s11
	s_cbranch_scc1 .LBB152_76
.LBB152_75:                             ;   Parent Loop BB152_74 Depth=1
                                        ; =>  This Inner Loop Header: Depth=2
	v_mov_b32_e32 v6, s15
	ds_read_b64 v[4:5], v3
	ds_read_b64 v[9:10], v6
	s_add_i32 s18, s18, -1
	s_addk_i32 s15, 0xff80
	v_add_u32_e32 v3, 0xffffff80, v3
	s_cmp_le_u32 s18, s19
	s_waitcnt lgkmcnt(0)
	v_mul_f32_e32 v6, v10, v5
	v_mul_f32_e32 v5, v9, v5
	v_fma_f32 v6, v9, v4, -v6
	v_fmac_f32_e32 v5, v10, v4
	v_sub_f32_e32 v1, v1, v6
	v_sub_f32_e32 v2, v2, v5
	s_cbranch_scc0 .LBB152_75
.LBB152_76:                             ;   in Loop: Header=BB152_74 Depth=1
	s_lshl_b32 s15, s19, 3
	s_add_i32 s14, s15, s14
	v_mov_b32_e32 v3, s14
	ds_read_b64 v[3:4], v3
	s_mov_b64 s[14:15], -1
                                        ; implicit-def: $vgpr5
	s_waitcnt lgkmcnt(0)
	v_cmp_ngt_f32_e64 s[20:21], |v3|, |v4|
	s_and_b64 vcc, exec, s[20:21]
	s_cbranch_vccz .LBB152_78
; %bb.77:                               ;   in Loop: Header=BB152_74 Depth=1
	v_div_scale_f32 v5, s[14:15], v4, v4, v3
	v_div_scale_f32 v6, vcc, v3, v4, v3
	v_rcp_f32_e32 v9, v5
	v_fma_f32 v10, -v5, v9, 1.0
	v_fmac_f32_e32 v9, v10, v9
	v_mul_f32_e32 v10, v6, v9
	v_fma_f32 v11, -v5, v10, v6
	v_fmac_f32_e32 v10, v11, v9
	v_fma_f32 v5, -v5, v10, v6
	v_div_fmas_f32 v5, v5, v9, v10
	v_div_fixup_f32 v5, v5, v4, v3
	v_fma_f32 v6, v3, v5, v4
	v_div_scale_f32 v9, s[14:15], v6, v6, 1.0
	v_div_scale_f32 v10, vcc, 1.0, v6, 1.0
	s_mov_b64 s[14:15], 0
	v_rcp_f32_e32 v11, v9
	v_fma_f32 v12, -v9, v11, 1.0
	v_fmac_f32_e32 v11, v12, v11
	v_mul_f32_e32 v12, v10, v11
	v_fma_f32 v14, -v9, v12, v10
	v_fmac_f32_e32 v12, v14, v11
	v_fma_f32 v9, -v9, v12, v10
	v_div_fmas_f32 v9, v9, v11, v12
	v_fma_f32 v10, v1, v5, v2
	v_fma_f32 v11, v2, v5, -v1
	v_div_fixup_f32 v6, v9, v6, 1.0
	v_mul_f32_e32 v5, v10, v6
	v_mul_f32_e32 v6, v11, v6
.LBB152_78:                             ;   in Loop: Header=BB152_74 Depth=1
	s_andn2_b64 vcc, exec, s[14:15]
	s_cbranch_vccnz .LBB152_73
; %bb.79:                               ;   in Loop: Header=BB152_74 Depth=1
	v_div_scale_f32 v5, s[14:15], v3, v3, v4
	v_div_scale_f32 v6, vcc, v4, v3, v4
	v_rcp_f32_e32 v9, v5
	v_fma_f32 v10, -v5, v9, 1.0
	v_fmac_f32_e32 v9, v10, v9
	v_mul_f32_e32 v10, v6, v9
	v_fma_f32 v11, -v5, v10, v6
	v_fmac_f32_e32 v10, v11, v9
	v_fma_f32 v5, -v5, v10, v6
	v_div_fmas_f32 v5, v5, v9, v10
	v_div_fixup_f32 v5, v5, v3, v4
	v_fmac_f32_e32 v3, v4, v5
	v_div_scale_f32 v4, s[14:15], v3, v3, 1.0
	v_div_scale_f32 v6, vcc, 1.0, v3, 1.0
	v_rcp_f32_e32 v9, v4
	v_fma_f32 v10, -v4, v9, 1.0
	v_fmac_f32_e32 v9, v10, v9
	v_mul_f32_e32 v10, v6, v9
	v_fma_f32 v11, -v4, v10, v6
	v_fmac_f32_e32 v10, v11, v9
	v_fma_f32 v4, -v4, v10, v6
	v_div_fmas_f32 v4, v4, v9, v10
	v_fma_f32 v6, v2, v5, v1
	v_fma_f32 v1, -v1, v5, v2
	v_div_fixup_f32 v2, v4, v3, 1.0
	v_mul_f32_e32 v5, v6, v2
	v_mul_f32_e32 v6, v1, v2
	s_branch .LBB152_73
.LBB152_80:
	s_mov_b64 s[20:21], 0
.LBB152_81:
	s_andn2_b64 vcc, exec, s[20:21]
	s_cbranch_vccnz .LBB152_113
; %bb.82:
	s_andn2_b64 vcc, exec, s[8:9]
	s_mov_b32 s15, s11
	s_cbranch_vccnz .LBB152_104
; %bb.83:
	v_lshlrev_b32_e32 v1, 3, v0
	v_lshl_or_b32 v1, s24, 7, v1
	s_mul_i32 s8, s24, 0x88
	v_add_u32_e32 v14, 0x780, v1
	s_add_i32 s13, s8, 0xfffffdf8
	s_mov_b32 s14, s11
.LBB152_84:                             ; =>This Loop Header: Depth=1
                                        ;     Child Loop BB152_85 Depth 2
	v_lshl_add_u32 v18, s14, 7, v13
	s_add_i32 s20, s14, -1
	s_add_i32 s18, s14, -2
	;; [unrolled: 1-line block ×3, first 2 shown]
	v_lshl_add_u32 v17, s20, 7, v13
	v_lshl_add_u32 v16, s18, 7, v13
	;; [unrolled: 1-line block ×3, first 2 shown]
	ds_read_b64 v[1:2], v18
	ds_read_b64 v[11:12], v17
	;; [unrolled: 1-line block ×4, first 2 shown]
	s_cmp_le_i32 s11, s14
	s_mov_b32 s8, s13
	v_mov_b32_e32 v3, v14
	s_mov_b32 s9, s11
	s_cbranch_scc1 .LBB152_86
.LBB152_85:                             ;   Parent Loop BB152_84 Depth=1
                                        ; =>  This Inner Loop Header: Depth=2
	v_mov_b32_e32 v4, s8
	ds_read_b64 v[9:10], v3
	ds_read2_b64 v[19:22], v4 offset0:32 offset1:48
	ds_read2_b64 v[23:26], v4 offset1:16
	s_add_i32 s9, s9, -1
	s_add_i32 s8, s8, -8
	v_add_u32_e32 v3, 0xffffff80, v3
	s_waitcnt lgkmcnt(1)
	v_mul_f32_e32 v4, v22, v10
	v_mul_f32_e32 v27, v21, v10
	;; [unrolled: 1-line block ×4, first 2 shown]
	s_waitcnt lgkmcnt(0)
	v_mul_f32_e32 v29, v26, v10
	v_mul_f32_e32 v26, v26, v9
	;; [unrolled: 1-line block ×4, first 2 shown]
	v_fma_f32 v4, v21, v9, -v4
	v_fmac_f32_e32 v27, v22, v9
	v_fma_f32 v21, v19, v9, -v28
	v_fmac_f32_e32 v20, v19, v10
	;; [unrolled: 2-line block ×4, first 2 shown]
	s_cmp_le_i32 s9, s14
	v_sub_f32_e32 v1, v1, v4
	v_sub_f32_e32 v2, v2, v27
	;; [unrolled: 1-line block ×8, first 2 shown]
	s_cbranch_scc0 .LBB152_85
.LBB152_86:                             ;   in Loop: Header=BB152_84 Depth=1
	s_mul_i32 s8, s14, 0x88
	v_mov_b32_e32 v3, s8
	ds_read_b64 v[3:4], v3
	s_lshl_b32 s22, s20, 4
	s_lshl_b32 s21, s18, 4
	;; [unrolled: 1-line block ×3, first 2 shown]
	s_mov_b64 s[8:9], -1
	s_waitcnt lgkmcnt(0)
	v_cmp_ngt_f32_e64 s[26:27], |v3|, |v4|
	s_and_b64 vcc, exec, s[26:27]
                                        ; implicit-def: $vgpr10
	s_cbranch_vccz .LBB152_88
; %bb.87:                               ;   in Loop: Header=BB152_84 Depth=1
	v_div_scale_f32 v9, s[8:9], v4, v4, v3
	v_div_scale_f32 v10, vcc, v3, v4, v3
	v_rcp_f32_e32 v19, v9
	v_fma_f32 v20, -v9, v19, 1.0
	v_fmac_f32_e32 v19, v20, v19
	v_mul_f32_e32 v20, v10, v19
	v_fma_f32 v21, -v9, v20, v10
	v_fmac_f32_e32 v20, v21, v19
	v_fma_f32 v9, -v9, v20, v10
	v_div_fmas_f32 v9, v9, v19, v20
	v_div_fixup_f32 v9, v9, v4, v3
	v_fma_f32 v10, v3, v9, v4
	v_div_scale_f32 v19, s[8:9], v10, v10, 1.0
	v_div_scale_f32 v20, vcc, 1.0, v10, 1.0
	s_mov_b64 s[8:9], 0
	v_rcp_f32_e32 v21, v19
	v_fma_f32 v22, -v19, v21, 1.0
	v_fmac_f32_e32 v21, v22, v21
	v_mul_f32_e32 v22, v20, v21
	v_fma_f32 v23, -v19, v22, v20
	v_fmac_f32_e32 v22, v23, v21
	v_fma_f32 v19, -v19, v22, v20
	v_div_fmas_f32 v19, v19, v21, v22
	v_fma_f32 v20, v1, v9, v2
	v_fma_f32 v21, v2, v9, -v1
	v_div_fixup_f32 v10, v19, v10, 1.0
	v_mul_f32_e32 v9, v20, v10
	v_mul_f32_e32 v10, v21, v10
.LBB152_88:                             ;   in Loop: Header=BB152_84 Depth=1
	s_andn2_b64 vcc, exec, s[8:9]
	s_cbranch_vccnz .LBB152_90
; %bb.89:                               ;   in Loop: Header=BB152_84 Depth=1
	v_div_scale_f32 v9, s[8:9], v3, v3, v4
	v_div_scale_f32 v10, vcc, v4, v3, v4
	v_rcp_f32_e32 v19, v9
	v_fma_f32 v20, -v9, v19, 1.0
	v_fmac_f32_e32 v19, v20, v19
	v_mul_f32_e32 v20, v10, v19
	v_fma_f32 v21, -v9, v20, v10
	v_fmac_f32_e32 v20, v21, v19
	v_fma_f32 v9, -v9, v20, v10
	v_div_fmas_f32 v9, v9, v19, v20
	v_div_fixup_f32 v9, v9, v3, v4
	v_fmac_f32_e32 v3, v4, v9
	v_div_scale_f32 v4, s[8:9], v3, v3, 1.0
	v_div_scale_f32 v10, vcc, 1.0, v3, 1.0
	v_rcp_f32_e32 v19, v4
	v_fma_f32 v20, -v4, v19, 1.0
	v_fmac_f32_e32 v19, v20, v19
	v_mul_f32_e32 v20, v10, v19
	v_fma_f32 v21, -v4, v20, v10
	v_fmac_f32_e32 v20, v21, v19
	v_fma_f32 v4, -v4, v20, v10
	v_div_fmas_f32 v4, v4, v19, v20
	v_fma_f32 v10, v2, v9, v1
	v_fma_f32 v1, -v1, v9, v2
	v_div_fixup_f32 v2, v4, v3, 1.0
	v_mul_f32_e32 v9, v10, v2
	v_mul_f32_e32 v10, v1, v2
.LBB152_90:                             ;   in Loop: Header=BB152_84 Depth=1
	s_lshl_b32 s8, s22, 3
	s_lshl_b32 s9, s20, 3
	s_add_i32 s8, s8, s9
	v_mov_b32_e32 v1, s8
	ds_read2_b64 v[1:4], v1 offset1:1
	ds_write_b64 v18, v[9:10]
	s_mov_b64 s[8:9], -1
	s_waitcnt lgkmcnt(1)
	v_mul_f32_e32 v18, v10, v4
	v_mul_f32_e32 v4, v9, v4
	v_fma_f32 v18, v9, v3, -v18
	v_fmac_f32_e32 v4, v10, v3
	v_cmp_ngt_f32_e64 s[22:23], |v1|, |v2|
	v_sub_f32_e32 v3, v11, v18
	v_sub_f32_e32 v4, v12, v4
	s_and_b64 vcc, exec, s[22:23]
                                        ; implicit-def: $vgpr12
	s_cbranch_vccz .LBB152_92
; %bb.91:                               ;   in Loop: Header=BB152_84 Depth=1
	v_div_scale_f32 v11, s[8:9], v2, v2, v1
	v_div_scale_f32 v12, vcc, v1, v2, v1
	v_rcp_f32_e32 v18, v11
	v_fma_f32 v19, -v11, v18, 1.0
	v_fmac_f32_e32 v18, v19, v18
	v_mul_f32_e32 v19, v12, v18
	v_fma_f32 v20, -v11, v19, v12
	v_fmac_f32_e32 v19, v20, v18
	v_fma_f32 v11, -v11, v19, v12
	v_div_fmas_f32 v11, v11, v18, v19
	v_div_fixup_f32 v11, v11, v2, v1
	v_fma_f32 v12, v1, v11, v2
	v_div_scale_f32 v18, s[8:9], v12, v12, 1.0
	v_div_scale_f32 v19, vcc, 1.0, v12, 1.0
	s_mov_b64 s[8:9], 0
	v_rcp_f32_e32 v20, v18
	v_fma_f32 v21, -v18, v20, 1.0
	v_fmac_f32_e32 v20, v21, v20
	v_mul_f32_e32 v21, v19, v20
	v_fma_f32 v22, -v18, v21, v19
	v_fmac_f32_e32 v21, v22, v20
	v_fma_f32 v18, -v18, v21, v19
	v_div_fmas_f32 v18, v18, v20, v21
	v_fma_f32 v19, v11, v3, v4
	v_fma_f32 v20, v11, v4, -v3
	v_div_fixup_f32 v12, v18, v12, 1.0
	v_mul_f32_e32 v11, v19, v12
	v_mul_f32_e32 v12, v20, v12
.LBB152_92:                             ;   in Loop: Header=BB152_84 Depth=1
	s_andn2_b64 vcc, exec, s[8:9]
	s_cbranch_vccnz .LBB152_94
; %bb.93:                               ;   in Loop: Header=BB152_84 Depth=1
	v_div_scale_f32 v11, s[8:9], v1, v1, v2
	v_div_scale_f32 v12, vcc, v2, v1, v2
	v_rcp_f32_e32 v18, v11
	v_fma_f32 v19, -v11, v18, 1.0
	v_fmac_f32_e32 v18, v19, v18
	v_mul_f32_e32 v19, v12, v18
	v_fma_f32 v20, -v11, v19, v12
	v_fmac_f32_e32 v19, v20, v18
	v_fma_f32 v11, -v11, v19, v12
	v_div_fmas_f32 v11, v11, v18, v19
	v_div_fixup_f32 v11, v11, v1, v2
	v_fmac_f32_e32 v1, v2, v11
	v_div_scale_f32 v2, s[8:9], v1, v1, 1.0
	v_div_scale_f32 v12, vcc, 1.0, v1, 1.0
	v_rcp_f32_e32 v18, v2
	v_fma_f32 v19, -v2, v18, 1.0
	v_fmac_f32_e32 v18, v19, v18
	v_mul_f32_e32 v19, v12, v18
	v_fma_f32 v20, -v2, v19, v12
	v_fmac_f32_e32 v19, v20, v18
	v_fma_f32 v2, -v2, v19, v12
	v_div_fmas_f32 v2, v2, v18, v19
	v_fma_f32 v12, v11, v4, v3
	v_fma_f32 v3, -v11, v3, v4
	v_div_fixup_f32 v1, v2, v1, 1.0
	v_mul_f32_e32 v11, v12, v1
	v_mul_f32_e32 v12, v3, v1
.LBB152_94:                             ;   in Loop: Header=BB152_84 Depth=1
	s_lshl_b32 s8, s21, 3
	s_lshl_b32 s20, s14, 3
	s_add_i32 s9, s8, s20
	v_mov_b32_e32 v1, s9
	s_lshl_b32 s9, s18, 3
	s_add_i32 s8, s8, s9
	ds_write_b64 v17, v[11:12]
	ds_read_b64 v[17:18], v1
	v_mov_b32_e32 v1, s8
	ds_read2_b64 v[1:4], v1 offset1:1
	s_mov_b64 s[8:9], -1
	s_waitcnt lgkmcnt(1)
	v_mul_f32_e32 v19, v10, v18
	v_mul_f32_e32 v18, v9, v18
	v_fma_f32 v19, v9, v17, -v19
	v_fmac_f32_e32 v18, v10, v17
	s_waitcnt lgkmcnt(0)
	v_mul_f32_e32 v17, v12, v4
	v_mul_f32_e32 v4, v11, v4
	v_sub_f32_e32 v7, v7, v19
	v_sub_f32_e32 v8, v8, v18
	v_fma_f32 v17, v11, v3, -v17
	v_fmac_f32_e32 v4, v12, v3
	v_cmp_ngt_f32_e64 s[22:23], |v1|, |v2|
	v_sub_f32_e32 v3, v7, v17
	v_sub_f32_e32 v4, v8, v4
	s_and_b64 vcc, exec, s[22:23]
                                        ; implicit-def: $vgpr8
	s_cbranch_vccz .LBB152_96
; %bb.95:                               ;   in Loop: Header=BB152_84 Depth=1
	v_div_scale_f32 v7, s[8:9], v2, v2, v1
	v_div_scale_f32 v8, vcc, v1, v2, v1
	v_rcp_f32_e32 v17, v7
	v_fma_f32 v18, -v7, v17, 1.0
	v_fmac_f32_e32 v17, v18, v17
	v_mul_f32_e32 v18, v8, v17
	v_fma_f32 v19, -v7, v18, v8
	v_fmac_f32_e32 v18, v19, v17
	v_fma_f32 v7, -v7, v18, v8
	v_div_fmas_f32 v7, v7, v17, v18
	v_div_fixup_f32 v7, v7, v2, v1
	v_fma_f32 v8, v1, v7, v2
	v_div_scale_f32 v17, s[8:9], v8, v8, 1.0
	v_div_scale_f32 v18, vcc, 1.0, v8, 1.0
	s_mov_b64 s[8:9], 0
	v_rcp_f32_e32 v19, v17
	v_fma_f32 v20, -v17, v19, 1.0
	v_fmac_f32_e32 v19, v20, v19
	v_mul_f32_e32 v20, v18, v19
	v_fma_f32 v21, -v17, v20, v18
	v_fmac_f32_e32 v20, v21, v19
	v_fma_f32 v17, -v17, v20, v18
	v_div_fmas_f32 v17, v17, v19, v20
	v_fma_f32 v18, v7, v3, v4
	v_fma_f32 v19, v7, v4, -v3
	v_div_fixup_f32 v8, v17, v8, 1.0
	v_mul_f32_e32 v7, v18, v8
	v_mul_f32_e32 v8, v19, v8
.LBB152_96:                             ;   in Loop: Header=BB152_84 Depth=1
	s_andn2_b64 vcc, exec, s[8:9]
	s_cbranch_vccnz .LBB152_98
; %bb.97:                               ;   in Loop: Header=BB152_84 Depth=1
	v_div_scale_f32 v7, s[8:9], v1, v1, v2
	v_div_scale_f32 v8, vcc, v2, v1, v2
	v_rcp_f32_e32 v17, v7
	v_fma_f32 v18, -v7, v17, 1.0
	v_fmac_f32_e32 v17, v18, v17
	v_mul_f32_e32 v18, v8, v17
	v_fma_f32 v19, -v7, v18, v8
	v_fmac_f32_e32 v18, v19, v17
	v_fma_f32 v7, -v7, v18, v8
	v_div_fmas_f32 v7, v7, v17, v18
	v_div_fixup_f32 v7, v7, v1, v2
	v_fmac_f32_e32 v1, v2, v7
	v_div_scale_f32 v2, s[8:9], v1, v1, 1.0
	v_div_scale_f32 v8, vcc, 1.0, v1, 1.0
	v_rcp_f32_e32 v17, v2
	v_fma_f32 v18, -v2, v17, 1.0
	v_fmac_f32_e32 v17, v18, v17
	v_mul_f32_e32 v18, v8, v17
	v_fma_f32 v19, -v2, v18, v8
	v_fmac_f32_e32 v18, v19, v17
	v_fma_f32 v2, -v2, v18, v8
	v_div_fmas_f32 v2, v2, v17, v18
	v_fma_f32 v8, v7, v4, v3
	v_fma_f32 v3, -v7, v3, v4
	v_div_fixup_f32 v1, v2, v1, 1.0
	v_mul_f32_e32 v7, v8, v1
	v_mul_f32_e32 v8, v3, v1
.LBB152_98:                             ;   in Loop: Header=BB152_84 Depth=1
	s_lshl_b32 s8, s19, 3
	s_add_i32 s9, s8, s20
	s_add_i32 s9, s9, -8
	v_mov_b32_e32 v1, s9
	ds_write_b64 v16, v[7:8]
	ds_read2_b64 v[16:19], v1 offset1:1
	s_lshl_b32 s9, s15, 3
	s_add_i32 s8, s8, s9
	v_mov_b32_e32 v1, s8
	ds_read2_b64 v[1:4], v1 offset1:1
	s_waitcnt lgkmcnt(1)
	v_mul_f32_e32 v20, v10, v19
	v_fma_f32 v20, v9, v18, -v20
	v_mul_f32_e32 v9, v9, v19
	v_fmac_f32_e32 v9, v10, v18
	v_sub_f32_e32 v6, v6, v9
	v_mul_f32_e32 v9, v12, v17
	v_sub_f32_e32 v5, v5, v20
	v_fma_f32 v9, v11, v16, -v9
	v_mul_f32_e32 v10, v11, v17
	v_fmac_f32_e32 v10, v12, v16
	v_sub_f32_e32 v5, v5, v9
	s_waitcnt lgkmcnt(0)
	v_mul_f32_e32 v9, v8, v4
	v_mul_f32_e32 v4, v7, v4
	v_sub_f32_e32 v6, v6, v10
	v_fma_f32 v9, v7, v3, -v9
	v_fmac_f32_e32 v4, v8, v3
	v_cmp_ngt_f32_e64 s[18:19], |v1|, |v2|
	v_sub_f32_e32 v5, v5, v9
	v_sub_f32_e32 v6, v6, v4
	s_mov_b64 s[8:9], -1
	s_and_b64 vcc, exec, s[18:19]
                                        ; implicit-def: $vgpr4
	s_cbranch_vccz .LBB152_100
; %bb.99:                               ;   in Loop: Header=BB152_84 Depth=1
	v_div_scale_f32 v3, s[8:9], v2, v2, v1
	v_div_scale_f32 v4, vcc, v1, v2, v1
	v_rcp_f32_e32 v7, v3
	v_fma_f32 v8, -v3, v7, 1.0
	v_fmac_f32_e32 v7, v8, v7
	v_mul_f32_e32 v8, v4, v7
	v_fma_f32 v9, -v3, v8, v4
	v_fmac_f32_e32 v8, v9, v7
	v_fma_f32 v3, -v3, v8, v4
	v_div_fmas_f32 v3, v3, v7, v8
	v_div_fixup_f32 v3, v3, v2, v1
	v_fma_f32 v4, v1, v3, v2
	v_div_scale_f32 v7, s[8:9], v4, v4, 1.0
	v_div_scale_f32 v8, vcc, 1.0, v4, 1.0
	s_mov_b64 s[8:9], 0
	v_rcp_f32_e32 v9, v7
	v_fma_f32 v10, -v7, v9, 1.0
	v_fmac_f32_e32 v9, v10, v9
	v_mul_f32_e32 v10, v8, v9
	v_fma_f32 v11, -v7, v10, v8
	v_fmac_f32_e32 v10, v11, v9
	v_fma_f32 v7, -v7, v10, v8
	v_div_fmas_f32 v7, v7, v9, v10
	v_fma_f32 v8, v3, v5, v6
	v_fma_f32 v9, v3, v6, -v5
	v_div_fixup_f32 v4, v7, v4, 1.0
	v_mul_f32_e32 v3, v8, v4
	v_mul_f32_e32 v4, v9, v4
.LBB152_100:                            ;   in Loop: Header=BB152_84 Depth=1
	s_andn2_b64 vcc, exec, s[8:9]
	s_cbranch_vccnz .LBB152_102
; %bb.101:                              ;   in Loop: Header=BB152_84 Depth=1
	v_div_scale_f32 v3, s[8:9], v1, v1, v2
	v_div_scale_f32 v4, vcc, v2, v1, v2
	v_rcp_f32_e32 v7, v3
	v_fma_f32 v8, -v3, v7, 1.0
	v_fmac_f32_e32 v7, v8, v7
	v_mul_f32_e32 v8, v4, v7
	v_fma_f32 v9, -v3, v8, v4
	v_fmac_f32_e32 v8, v9, v7
	v_fma_f32 v3, -v3, v8, v4
	v_div_fmas_f32 v3, v3, v7, v8
	v_div_fixup_f32 v3, v3, v1, v2
	v_fmac_f32_e32 v1, v2, v3
	v_div_scale_f32 v2, s[8:9], v1, v1, 1.0
	v_div_scale_f32 v4, vcc, 1.0, v1, 1.0
	v_rcp_f32_e32 v7, v2
	v_fma_f32 v8, -v2, v7, 1.0
	v_fmac_f32_e32 v7, v8, v7
	v_mul_f32_e32 v8, v4, v7
	v_fma_f32 v9, -v2, v8, v4
	v_fmac_f32_e32 v8, v9, v7
	v_fma_f32 v2, -v2, v8, v4
	v_div_fmas_f32 v2, v2, v7, v8
	v_fma_f32 v4, v3, v6, v5
	v_fma_f32 v5, -v3, v5, v6
	v_div_fixup_f32 v1, v2, v1, 1.0
	v_mul_f32_e32 v3, v4, v1
	v_mul_f32_e32 v4, v5, v1
.LBB152_102:                            ;   in Loop: Header=BB152_84 Depth=1
	s_add_i32 s15, s14, -4
	s_addk_i32 s13, 0xfe00
	s_cmp_lt_i32 s14, 7
	ds_write_b64 v15, v[3:4]
	s_cbranch_scc1 .LBB152_104
; %bb.103:                              ;   in Loop: Header=BB152_84 Depth=1
	s_mov_b32 s14, s15
	s_branch .LBB152_84
.LBB152_104:
	s_cmp_lt_i32 s15, 0
	s_cbranch_scc1 .LBB152_113
; %bb.105:
	v_lshlrev_b32_e32 v1, 3, v0
	s_lshl_b32 s8, s15, 7
	s_lshl_b32 s9, s24, 3
	v_lshl_or_b32 v1, s24, 7, v1
	s_add_i32 s8, s8, s9
	v_add_u32_e32 v7, 0x780, v1
	s_add_i32 s13, s8, -8
	s_branch .LBB152_107
.LBB152_106:                            ;   in Loop: Header=BB152_107 Depth=1
	v_sub_co_u32_e64 v1, s[8:9], s15, 1
	v_readfirstlane_b32 s15, v1
	s_addk_i32 s13, 0xff80
	s_and_b64 vcc, exec, s[8:9]
	ds_write_b64 v8, v[5:6]
	s_cbranch_vccnz .LBB152_113
.LBB152_107:                            ; =>This Loop Header: Depth=1
                                        ;     Child Loop BB152_108 Depth 2
	v_lshl_add_u32 v8, s15, 7, v13
	ds_read_b64 v[1:2], v8
	s_cmp_le_i32 s11, s15
	s_mov_b32 s8, s13
	v_mov_b32_e32 v3, v7
	s_mov_b32 s9, s11
	s_cbranch_scc1 .LBB152_109
.LBB152_108:                            ;   Parent Loop BB152_107 Depth=1
                                        ; =>  This Inner Loop Header: Depth=2
	v_mov_b32_e32 v6, s8
	ds_read_b64 v[4:5], v3
	ds_read_b64 v[9:10], v6
	s_add_i32 s9, s9, -1
	s_add_i32 s8, s8, -8
	v_add_u32_e32 v3, 0xffffff80, v3
	s_cmp_le_u32 s9, s15
	s_waitcnt lgkmcnt(0)
	v_mul_f32_e32 v6, v10, v5
	v_mul_f32_e32 v5, v9, v5
	v_fma_f32 v6, v9, v4, -v6
	v_fmac_f32_e32 v5, v10, v4
	v_sub_f32_e32 v1, v1, v6
	v_sub_f32_e32 v2, v2, v5
	s_cbranch_scc0 .LBB152_108
.LBB152_109:                            ;   in Loop: Header=BB152_107 Depth=1
	s_mul_i32 s8, s15, 0x88
	v_mov_b32_e32 v3, s8
	ds_read_b64 v[3:4], v3
	s_mov_b64 s[8:9], -1
                                        ; implicit-def: $vgpr5
	s_waitcnt lgkmcnt(0)
	v_cmp_ngt_f32_e64 s[18:19], |v3|, |v4|
	s_and_b64 vcc, exec, s[18:19]
	s_cbranch_vccz .LBB152_111
; %bb.110:                              ;   in Loop: Header=BB152_107 Depth=1
	v_div_scale_f32 v5, s[8:9], v4, v4, v3
	v_div_scale_f32 v6, vcc, v3, v4, v3
	v_rcp_f32_e32 v9, v5
	v_fma_f32 v10, -v5, v9, 1.0
	v_fmac_f32_e32 v9, v10, v9
	v_mul_f32_e32 v10, v6, v9
	v_fma_f32 v11, -v5, v10, v6
	v_fmac_f32_e32 v10, v11, v9
	v_fma_f32 v5, -v5, v10, v6
	v_div_fmas_f32 v5, v5, v9, v10
	v_div_fixup_f32 v5, v5, v4, v3
	v_fma_f32 v6, v3, v5, v4
	v_div_scale_f32 v9, s[8:9], v6, v6, 1.0
	v_div_scale_f32 v10, vcc, 1.0, v6, 1.0
	s_mov_b64 s[8:9], 0
	v_rcp_f32_e32 v11, v9
	v_fma_f32 v12, -v9, v11, 1.0
	v_fmac_f32_e32 v11, v12, v11
	v_mul_f32_e32 v12, v10, v11
	v_fma_f32 v14, -v9, v12, v10
	v_fmac_f32_e32 v12, v14, v11
	v_fma_f32 v9, -v9, v12, v10
	v_div_fmas_f32 v9, v9, v11, v12
	v_fma_f32 v10, v1, v5, v2
	v_fma_f32 v11, v2, v5, -v1
	v_div_fixup_f32 v6, v9, v6, 1.0
	v_mul_f32_e32 v5, v10, v6
	v_mul_f32_e32 v6, v11, v6
.LBB152_111:                            ;   in Loop: Header=BB152_107 Depth=1
	s_andn2_b64 vcc, exec, s[8:9]
	s_cbranch_vccnz .LBB152_106
; %bb.112:                              ;   in Loop: Header=BB152_107 Depth=1
	v_div_scale_f32 v5, s[8:9], v3, v3, v4
	v_div_scale_f32 v6, vcc, v4, v3, v4
	v_rcp_f32_e32 v9, v5
	v_fma_f32 v10, -v5, v9, 1.0
	v_fmac_f32_e32 v9, v10, v9
	v_mul_f32_e32 v10, v6, v9
	v_fma_f32 v11, -v5, v10, v6
	v_fmac_f32_e32 v10, v11, v9
	v_fma_f32 v5, -v5, v10, v6
	v_div_fmas_f32 v5, v5, v9, v10
	v_div_fixup_f32 v5, v5, v3, v4
	v_fmac_f32_e32 v3, v4, v5
	v_div_scale_f32 v4, s[8:9], v3, v3, 1.0
	v_div_scale_f32 v6, vcc, 1.0, v3, 1.0
	v_rcp_f32_e32 v9, v4
	v_fma_f32 v10, -v4, v9, 1.0
	v_fmac_f32_e32 v9, v10, v9
	v_mul_f32_e32 v10, v6, v9
	v_fma_f32 v11, -v4, v10, v6
	v_fmac_f32_e32 v10, v11, v9
	v_fma_f32 v4, -v4, v10, v6
	v_div_fmas_f32 v4, v4, v9, v10
	v_fma_f32 v6, v2, v5, v1
	v_fma_f32 v1, -v1, v5, v2
	v_div_fixup_f32 v2, v4, v3, 1.0
	v_mul_f32_e32 v5, v6, v2
	v_mul_f32_e32 v6, v1, v2
	s_branch .LBB152_106
.LBB152_113:
	s_mov_b64 s[20:21], 0
.LBB152_114:
	s_andn2_b64 vcc, exec, s[20:21]
	s_cbranch_vccnz .LBB152_146
; %bb.115:
	v_mov_b32_e32 v1, 0x800
	v_lshl_or_b32 v13, v0, 3, v1
	s_cmp_lt_i32 s12, 4
	s_mov_b32 s14, 0
	s_cbranch_scc1 .LBB152_137
; %bb.116:
	s_mov_b32 s11, 0
	s_mov_b32 s13, 0
.LBB152_117:                            ; =>This Loop Header: Depth=1
                                        ;     Child Loop BB152_118 Depth 2
	s_or_b32 s8, s13, 3
	v_lshl_add_u32 v17, s13, 7, v13
	s_or_b32 s9, s13, 1
	s_or_b32 s14, s13, 2
	v_lshl_add_u32 v16, s9, 7, v13
	v_lshl_add_u32 v15, s14, 7, v13
	;; [unrolled: 1-line block ×3, first 2 shown]
	ds_read_b64 v[1:2], v17
	ds_read_b64 v[11:12], v16
	;; [unrolled: 1-line block ×4, first 2 shown]
	s_cmp_eq_u32 s13, 0
	s_mov_b32 s15, s11
	v_mov_b32_e32 v3, v13
	s_mov_b32 s18, s13
	s_cbranch_scc1 .LBB152_119
.LBB152_118:                            ;   Parent Loop BB152_117 Depth=1
                                        ; =>  This Inner Loop Header: Depth=2
	v_mov_b32_e32 v4, s15
	ds_read_b64 v[9:10], v3
	ds_read2_b64 v[18:21], v4 offset1:16
	ds_read2_b64 v[22:25], v4 offset0:32 offset1:48
	s_add_i32 s18, s18, -1
	s_add_i32 s15, s15, 8
	v_add_u32_e32 v3, 0x80, v3
	s_waitcnt lgkmcnt(1)
	v_mul_f32_e32 v4, v19, v10
	v_mul_f32_e32 v26, v18, v10
	;; [unrolled: 1-line block ×4, first 2 shown]
	s_waitcnt lgkmcnt(0)
	v_mul_f32_e32 v28, v23, v10
	v_mul_f32_e32 v23, v23, v9
	;; [unrolled: 1-line block ×4, first 2 shown]
	v_fma_f32 v4, v18, v9, -v4
	v_fmac_f32_e32 v26, v19, v9
	v_fma_f32 v18, v20, v9, -v27
	v_fmac_f32_e32 v21, v20, v10
	;; [unrolled: 2-line block ×4, first 2 shown]
	s_cmp_eq_u32 s18, 0
	v_sub_f32_e32 v1, v1, v4
	v_sub_f32_e32 v2, v2, v26
	;; [unrolled: 1-line block ×8, first 2 shown]
	s_cbranch_scc0 .LBB152_118
.LBB152_119:                            ;   in Loop: Header=BB152_117 Depth=1
	s_lshl_b32 s15, s8, 4
	s_mul_i32 s8, s13, 0x88
	v_mov_b32_e32 v3, s8
	ds_read_b64 v[3:4], v3
	s_lshl_b32 s18, s9, 4
	s_lshl_b32 s19, s14, 4
	s_mov_b64 s[8:9], -1
                                        ; implicit-def: $vgpr10
	s_waitcnt lgkmcnt(0)
	v_cmp_ngt_f32_e64 s[20:21], |v3|, |v4|
	s_and_b64 vcc, exec, s[20:21]
	s_cbranch_vccz .LBB152_121
; %bb.120:                              ;   in Loop: Header=BB152_117 Depth=1
	v_div_scale_f32 v9, s[8:9], v4, v4, v3
	v_div_scale_f32 v10, vcc, v3, v4, v3
	v_rcp_f32_e32 v18, v9
	v_fma_f32 v19, -v9, v18, 1.0
	v_fmac_f32_e32 v18, v19, v18
	v_mul_f32_e32 v19, v10, v18
	v_fma_f32 v20, -v9, v19, v10
	v_fmac_f32_e32 v19, v20, v18
	v_fma_f32 v9, -v9, v19, v10
	v_div_fmas_f32 v9, v9, v18, v19
	v_div_fixup_f32 v9, v9, v4, v3
	v_fma_f32 v10, v3, v9, v4
	v_div_scale_f32 v18, s[8:9], v10, v10, 1.0
	v_div_scale_f32 v19, vcc, 1.0, v10, 1.0
	s_mov_b64 s[8:9], 0
	v_rcp_f32_e32 v20, v18
	v_fma_f32 v21, -v18, v20, 1.0
	v_fmac_f32_e32 v20, v21, v20
	v_mul_f32_e32 v21, v19, v20
	v_fma_f32 v22, -v18, v21, v19
	v_fmac_f32_e32 v21, v22, v20
	v_fma_f32 v18, -v18, v21, v19
	v_div_fmas_f32 v18, v18, v20, v21
	v_fma_f32 v19, v1, v9, v2
	v_fma_f32 v20, v2, v9, -v1
	v_div_fixup_f32 v10, v18, v10, 1.0
	v_mul_f32_e32 v9, v19, v10
	v_mul_f32_e32 v10, v20, v10
.LBB152_121:                            ;   in Loop: Header=BB152_117 Depth=1
	s_andn2_b64 vcc, exec, s[8:9]
	s_cbranch_vccnz .LBB152_123
; %bb.122:                              ;   in Loop: Header=BB152_117 Depth=1
	v_div_scale_f32 v9, s[8:9], v3, v3, v4
	v_div_scale_f32 v10, vcc, v4, v3, v4
	v_rcp_f32_e32 v18, v9
	v_fma_f32 v19, -v9, v18, 1.0
	v_fmac_f32_e32 v18, v19, v18
	v_mul_f32_e32 v19, v10, v18
	v_fma_f32 v20, -v9, v19, v10
	v_fmac_f32_e32 v19, v20, v18
	v_fma_f32 v9, -v9, v19, v10
	v_div_fmas_f32 v9, v9, v18, v19
	v_div_fixup_f32 v9, v9, v3, v4
	v_fmac_f32_e32 v3, v4, v9
	v_div_scale_f32 v4, s[8:9], v3, v3, 1.0
	v_div_scale_f32 v10, vcc, 1.0, v3, 1.0
	v_rcp_f32_e32 v18, v4
	v_fma_f32 v19, -v4, v18, 1.0
	v_fmac_f32_e32 v18, v19, v18
	v_mul_f32_e32 v19, v10, v18
	v_fma_f32 v20, -v4, v19, v10
	v_fmac_f32_e32 v19, v20, v18
	v_fma_f32 v4, -v4, v19, v10
	v_div_fmas_f32 v4, v4, v18, v19
	v_fma_f32 v10, v2, v9, v1
	v_fma_f32 v1, -v1, v9, v2
	v_div_fixup_f32 v2, v4, v3, 1.0
	v_mul_f32_e32 v9, v10, v2
	v_mul_f32_e32 v10, v1, v2
.LBB152_123:                            ;   in Loop: Header=BB152_117 Depth=1
	s_lshl_b32 s8, s18, 3
	s_lshl_b32 s18, s13, 3
	s_add_i32 s8, s8, s18
	v_mov_b32_e32 v1, s8
	ds_read_b128 v[1:4], v1
	ds_write_b64 v17, v[9:10]
	s_mov_b64 s[8:9], -1
	s_waitcnt lgkmcnt(1)
	v_mul_f32_e32 v17, v10, v2
	v_mul_f32_e32 v2, v9, v2
	v_fma_f32 v17, v9, v1, -v17
	v_fmac_f32_e32 v2, v10, v1
	v_cmp_ngt_f32_e64 s[20:21], |v3|, |v4|
	v_sub_f32_e32 v1, v11, v17
	v_sub_f32_e32 v2, v12, v2
	s_and_b64 vcc, exec, s[20:21]
                                        ; implicit-def: $vgpr12
	s_cbranch_vccz .LBB152_125
; %bb.124:                              ;   in Loop: Header=BB152_117 Depth=1
	v_div_scale_f32 v11, s[8:9], v4, v4, v3
	v_div_scale_f32 v12, vcc, v3, v4, v3
	v_rcp_f32_e32 v17, v11
	v_fma_f32 v18, -v11, v17, 1.0
	v_fmac_f32_e32 v17, v18, v17
	v_mul_f32_e32 v18, v12, v17
	v_fma_f32 v19, -v11, v18, v12
	v_fmac_f32_e32 v18, v19, v17
	v_fma_f32 v11, -v11, v18, v12
	v_div_fmas_f32 v11, v11, v17, v18
	v_div_fixup_f32 v11, v11, v4, v3
	v_fma_f32 v12, v3, v11, v4
	v_div_scale_f32 v17, s[8:9], v12, v12, 1.0
	v_div_scale_f32 v18, vcc, 1.0, v12, 1.0
	s_mov_b64 s[8:9], 0
	v_rcp_f32_e32 v19, v17
	v_fma_f32 v20, -v17, v19, 1.0
	v_fmac_f32_e32 v19, v20, v19
	v_mul_f32_e32 v20, v18, v19
	v_fma_f32 v21, -v17, v20, v18
	v_fmac_f32_e32 v20, v21, v19
	v_fma_f32 v17, -v17, v20, v18
	v_div_fmas_f32 v17, v17, v19, v20
	v_fma_f32 v18, v11, v1, v2
	v_fma_f32 v19, v11, v2, -v1
	v_div_fixup_f32 v12, v17, v12, 1.0
	v_mul_f32_e32 v11, v18, v12
	v_mul_f32_e32 v12, v19, v12
.LBB152_125:                            ;   in Loop: Header=BB152_117 Depth=1
	s_andn2_b64 vcc, exec, s[8:9]
	s_cbranch_vccnz .LBB152_127
; %bb.126:                              ;   in Loop: Header=BB152_117 Depth=1
	v_div_scale_f32 v11, s[8:9], v3, v3, v4
	v_div_scale_f32 v12, vcc, v4, v3, v4
	v_rcp_f32_e32 v17, v11
	v_fma_f32 v18, -v11, v17, 1.0
	v_fmac_f32_e32 v17, v18, v17
	v_mul_f32_e32 v18, v12, v17
	v_fma_f32 v19, -v11, v18, v12
	v_fmac_f32_e32 v18, v19, v17
	v_fma_f32 v11, -v11, v18, v12
	v_div_fmas_f32 v11, v11, v17, v18
	v_div_fixup_f32 v11, v11, v3, v4
	v_fmac_f32_e32 v3, v4, v11
	v_div_scale_f32 v4, s[8:9], v3, v3, 1.0
	v_div_scale_f32 v12, vcc, 1.0, v3, 1.0
	v_rcp_f32_e32 v17, v4
	v_fma_f32 v18, -v4, v17, 1.0
	v_fmac_f32_e32 v17, v18, v17
	v_mul_f32_e32 v18, v12, v17
	v_fma_f32 v19, -v4, v18, v12
	v_fmac_f32_e32 v18, v19, v17
	v_fma_f32 v4, -v4, v18, v12
	v_div_fmas_f32 v4, v4, v17, v18
	v_fma_f32 v12, v11, v2, v1
	v_fma_f32 v1, -v11, v1, v2
	v_div_fixup_f32 v2, v4, v3, 1.0
	v_mul_f32_e32 v11, v12, v2
	v_mul_f32_e32 v12, v1, v2
.LBB152_127:                            ;   in Loop: Header=BB152_117 Depth=1
	s_lshl_b32 s8, s19, 3
	s_add_i32 s9, s8, s18
	v_mov_b32_e32 v1, s9
	ds_write_b64 v16, v[11:12]
	ds_read_b128 v[16:19], v1
	s_lshl_b32 s9, s14, 3
	s_add_i32 s8, s8, s9
	v_mov_b32_e32 v1, s8
	ds_read_b64 v[1:2], v1
	s_waitcnt lgkmcnt(1)
	v_mul_f32_e32 v3, v10, v17
	v_mul_f32_e32 v4, v9, v17
	v_fma_f32 v3, v9, v16, -v3
	v_fmac_f32_e32 v4, v10, v16
	v_sub_f32_e32 v3, v7, v3
	v_sub_f32_e32 v4, v8, v4
	v_mul_f32_e32 v7, v12, v19
	v_mul_f32_e32 v8, v11, v19
	v_fma_f32 v7, v11, v18, -v7
	v_fmac_f32_e32 v8, v12, v18
	s_waitcnt lgkmcnt(0)
	v_cmp_ngt_f32_e64 s[20:21], |v1|, |v2|
	v_sub_f32_e32 v3, v3, v7
	v_sub_f32_e32 v4, v4, v8
	s_mov_b64 s[8:9], -1
	s_and_b64 vcc, exec, s[20:21]
                                        ; implicit-def: $vgpr8
	s_cbranch_vccz .LBB152_129
; %bb.128:                              ;   in Loop: Header=BB152_117 Depth=1
	v_div_scale_f32 v7, s[8:9], v2, v2, v1
	v_div_scale_f32 v8, vcc, v1, v2, v1
	v_rcp_f32_e32 v16, v7
	v_fma_f32 v17, -v7, v16, 1.0
	v_fmac_f32_e32 v16, v17, v16
	v_mul_f32_e32 v17, v8, v16
	v_fma_f32 v18, -v7, v17, v8
	v_fmac_f32_e32 v17, v18, v16
	v_fma_f32 v7, -v7, v17, v8
	v_div_fmas_f32 v7, v7, v16, v17
	v_div_fixup_f32 v7, v7, v2, v1
	v_fma_f32 v8, v1, v7, v2
	v_div_scale_f32 v16, s[8:9], v8, v8, 1.0
	v_div_scale_f32 v17, vcc, 1.0, v8, 1.0
	s_mov_b64 s[8:9], 0
	v_rcp_f32_e32 v18, v16
	v_fma_f32 v19, -v16, v18, 1.0
	v_fmac_f32_e32 v18, v19, v18
	v_mul_f32_e32 v19, v17, v18
	v_fma_f32 v20, -v16, v19, v17
	v_fmac_f32_e32 v19, v20, v18
	v_fma_f32 v16, -v16, v19, v17
	v_div_fmas_f32 v16, v16, v18, v19
	v_fma_f32 v17, v7, v3, v4
	v_fma_f32 v18, v7, v4, -v3
	v_div_fixup_f32 v8, v16, v8, 1.0
	v_mul_f32_e32 v7, v17, v8
	v_mul_f32_e32 v8, v18, v8
.LBB152_129:                            ;   in Loop: Header=BB152_117 Depth=1
	s_andn2_b64 vcc, exec, s[8:9]
	s_cbranch_vccnz .LBB152_131
; %bb.130:                              ;   in Loop: Header=BB152_117 Depth=1
	v_div_scale_f32 v7, s[8:9], v1, v1, v2
	v_div_scale_f32 v8, vcc, v2, v1, v2
	v_rcp_f32_e32 v16, v7
	v_fma_f32 v17, -v7, v16, 1.0
	v_fmac_f32_e32 v16, v17, v16
	v_mul_f32_e32 v17, v8, v16
	v_fma_f32 v18, -v7, v17, v8
	v_fmac_f32_e32 v17, v18, v16
	v_fma_f32 v7, -v7, v17, v8
	v_div_fmas_f32 v7, v7, v16, v17
	v_div_fixup_f32 v7, v7, v1, v2
	v_fmac_f32_e32 v1, v2, v7
	v_div_scale_f32 v2, s[8:9], v1, v1, 1.0
	v_div_scale_f32 v8, vcc, 1.0, v1, 1.0
	v_rcp_f32_e32 v16, v2
	v_fma_f32 v17, -v2, v16, 1.0
	v_fmac_f32_e32 v16, v17, v16
	v_mul_f32_e32 v17, v8, v16
	v_fma_f32 v18, -v2, v17, v8
	v_fmac_f32_e32 v17, v18, v16
	v_fma_f32 v2, -v2, v17, v8
	v_div_fmas_f32 v2, v2, v16, v17
	v_fma_f32 v8, v7, v4, v3
	v_fma_f32 v3, -v7, v3, v4
	v_div_fixup_f32 v1, v2, v1, 1.0
	v_mul_f32_e32 v7, v8, v1
	v_mul_f32_e32 v8, v3, v1
.LBB152_131:                            ;   in Loop: Header=BB152_117 Depth=1
	s_lshl_b32 s8, s15, 3
	s_add_i32 s8, s8, s18
	v_mov_b32_e32 v1, s8
	ds_read_b128 v[16:19], v1
	ds_read_b128 v[1:4], v1 offset:16
	ds_write_b64 v15, v[7:8]
	s_mov_b64 s[8:9], -1
	s_waitcnt lgkmcnt(2)
	v_mul_f32_e32 v15, v10, v17
	v_mul_f32_e32 v17, v9, v17
	v_fma_f32 v9, v9, v16, -v15
	v_sub_f32_e32 v5, v5, v9
	v_mul_f32_e32 v9, v12, v19
	v_fmac_f32_e32 v17, v10, v16
	v_fma_f32 v9, v11, v18, -v9
	v_mul_f32_e32 v10, v11, v19
	v_sub_f32_e32 v6, v6, v17
	v_fmac_f32_e32 v10, v12, v18
	v_sub_f32_e32 v5, v5, v9
	s_waitcnt lgkmcnt(1)
	v_mul_f32_e32 v9, v8, v2
	v_mul_f32_e32 v2, v7, v2
	v_sub_f32_e32 v6, v6, v10
	v_fma_f32 v9, v7, v1, -v9
	v_fmac_f32_e32 v2, v8, v1
	v_cmp_ngt_f32_e64 s[14:15], |v3|, |v4|
	v_sub_f32_e32 v5, v5, v9
	v_sub_f32_e32 v6, v6, v2
	s_and_b64 vcc, exec, s[14:15]
                                        ; implicit-def: $vgpr2
	s_cbranch_vccz .LBB152_133
; %bb.132:                              ;   in Loop: Header=BB152_117 Depth=1
	v_div_scale_f32 v1, s[8:9], v4, v4, v3
	v_div_scale_f32 v2, vcc, v3, v4, v3
	v_rcp_f32_e32 v7, v1
	v_fma_f32 v8, -v1, v7, 1.0
	v_fmac_f32_e32 v7, v8, v7
	v_mul_f32_e32 v8, v2, v7
	v_fma_f32 v9, -v1, v8, v2
	v_fmac_f32_e32 v8, v9, v7
	v_fma_f32 v1, -v1, v8, v2
	v_div_fmas_f32 v1, v1, v7, v8
	v_div_fixup_f32 v1, v1, v4, v3
	v_fma_f32 v2, v3, v1, v4
	v_div_scale_f32 v7, s[8:9], v2, v2, 1.0
	v_div_scale_f32 v8, vcc, 1.0, v2, 1.0
	s_mov_b64 s[8:9], 0
	v_rcp_f32_e32 v9, v7
	v_fma_f32 v10, -v7, v9, 1.0
	v_fmac_f32_e32 v9, v10, v9
	v_mul_f32_e32 v10, v8, v9
	v_fma_f32 v11, -v7, v10, v8
	v_fmac_f32_e32 v10, v11, v9
	v_fma_f32 v7, -v7, v10, v8
	v_div_fmas_f32 v7, v7, v9, v10
	v_fma_f32 v8, v1, v5, v6
	v_fma_f32 v9, v1, v6, -v5
	v_div_fixup_f32 v2, v7, v2, 1.0
	v_mul_f32_e32 v1, v8, v2
	v_mul_f32_e32 v2, v9, v2
.LBB152_133:                            ;   in Loop: Header=BB152_117 Depth=1
	s_andn2_b64 vcc, exec, s[8:9]
	s_cbranch_vccnz .LBB152_135
; %bb.134:                              ;   in Loop: Header=BB152_117 Depth=1
	v_div_scale_f32 v1, s[8:9], v3, v3, v4
	v_div_scale_f32 v2, vcc, v4, v3, v4
	v_rcp_f32_e32 v7, v1
	v_fma_f32 v8, -v1, v7, 1.0
	v_fmac_f32_e32 v7, v8, v7
	v_mul_f32_e32 v8, v2, v7
	v_fma_f32 v9, -v1, v8, v2
	v_fmac_f32_e32 v8, v9, v7
	v_fma_f32 v1, -v1, v8, v2
	v_div_fmas_f32 v1, v1, v7, v8
	v_div_fixup_f32 v1, v1, v3, v4
	v_fmac_f32_e32 v3, v4, v1
	v_div_scale_f32 v2, s[8:9], v3, v3, 1.0
	v_div_scale_f32 v4, vcc, 1.0, v3, 1.0
	v_rcp_f32_e32 v7, v2
	v_fma_f32 v8, -v2, v7, 1.0
	v_fmac_f32_e32 v7, v8, v7
	v_mul_f32_e32 v8, v4, v7
	v_fma_f32 v9, -v2, v8, v4
	v_fmac_f32_e32 v8, v9, v7
	v_fma_f32 v2, -v2, v8, v4
	v_div_fmas_f32 v2, v2, v7, v8
	v_fma_f32 v4, v1, v6, v5
	v_fma_f32 v5, -v1, v5, v6
	v_div_fixup_f32 v2, v2, v3, 1.0
	v_mul_f32_e32 v1, v4, v2
	v_mul_f32_e32 v2, v5, v2
.LBB152_135:                            ;   in Loop: Header=BB152_117 Depth=1
	s_add_i32 s14, s13, 4
	s_add_i32 s8, s13, 7
	s_addk_i32 s11, 0x200
	s_cmp_ge_i32 s8, s24
	ds_write_b64 v14, v[1:2]
	s_cbranch_scc1 .LBB152_137
; %bb.136:                              ;   in Loop: Header=BB152_117 Depth=1
	s_mov_b32 s13, s14
	s_branch .LBB152_117
.LBB152_137:
	s_cmp_ge_i32 s14, s24
	s_cbranch_scc1 .LBB152_146
; %bb.138:
	v_mov_b32_e32 v1, 0x800
	v_lshl_or_b32 v7, v0, 3, v1
	s_lshl_b32 s11, s14, 7
	s_branch .LBB152_140
.LBB152_139:                            ;   in Loop: Header=BB152_140 Depth=1
	s_add_i32 s14, s14, 1
	s_addk_i32 s11, 0x80
	s_cmp_ge_i32 s14, s24
	ds_write_b64 v8, v[5:6]
	s_cbranch_scc1 .LBB152_146
.LBB152_140:                            ; =>This Loop Header: Depth=1
                                        ;     Child Loop BB152_141 Depth 2
	v_lshl_add_u32 v8, s14, 7, v13
	ds_read_b64 v[1:2], v8
	s_cmp_eq_u32 s14, 0
	s_mov_b32 s8, s11
	v_mov_b32_e32 v3, v7
	s_mov_b32 s9, s14
	s_cbranch_scc1 .LBB152_142
.LBB152_141:                            ;   Parent Loop BB152_140 Depth=1
                                        ; =>  This Inner Loop Header: Depth=2
	v_mov_b32_e32 v6, s8
	ds_read_b64 v[4:5], v3
	ds_read_b64 v[9:10], v6
	s_add_i32 s9, s9, -1
	s_add_i32 s8, s8, 8
	v_add_u32_e32 v3, 0x80, v3
	s_cmp_eq_u32 s9, 0
	s_waitcnt lgkmcnt(0)
	v_mul_f32_e32 v6, v10, v5
	v_mul_f32_e32 v5, v9, v5
	v_fma_f32 v6, v9, v4, -v6
	v_fmac_f32_e32 v5, v10, v4
	v_sub_f32_e32 v1, v1, v6
	v_sub_f32_e32 v2, v2, v5
	s_cbranch_scc0 .LBB152_141
.LBB152_142:                            ;   in Loop: Header=BB152_140 Depth=1
	s_mul_i32 s8, s14, 0x88
	v_mov_b32_e32 v3, s8
	ds_read_b64 v[3:4], v3
	s_mov_b64 s[8:9], -1
                                        ; implicit-def: $vgpr5
	s_waitcnt lgkmcnt(0)
	v_cmp_ngt_f32_e64 s[18:19], |v3|, |v4|
	s_and_b64 vcc, exec, s[18:19]
	s_cbranch_vccz .LBB152_144
; %bb.143:                              ;   in Loop: Header=BB152_140 Depth=1
	v_div_scale_f32 v5, s[8:9], v4, v4, v3
	v_div_scale_f32 v6, vcc, v3, v4, v3
	v_rcp_f32_e32 v9, v5
	v_fma_f32 v10, -v5, v9, 1.0
	v_fmac_f32_e32 v9, v10, v9
	v_mul_f32_e32 v10, v6, v9
	v_fma_f32 v11, -v5, v10, v6
	v_fmac_f32_e32 v10, v11, v9
	v_fma_f32 v5, -v5, v10, v6
	v_div_fmas_f32 v5, v5, v9, v10
	v_div_fixup_f32 v5, v5, v4, v3
	v_fma_f32 v6, v3, v5, v4
	v_div_scale_f32 v9, s[8:9], v6, v6, 1.0
	v_div_scale_f32 v10, vcc, 1.0, v6, 1.0
	s_mov_b64 s[8:9], 0
	v_rcp_f32_e32 v11, v9
	v_fma_f32 v12, -v9, v11, 1.0
	v_fmac_f32_e32 v11, v12, v11
	v_mul_f32_e32 v12, v10, v11
	v_fma_f32 v14, -v9, v12, v10
	v_fmac_f32_e32 v12, v14, v11
	v_fma_f32 v9, -v9, v12, v10
	v_div_fmas_f32 v9, v9, v11, v12
	v_fma_f32 v10, v1, v5, v2
	v_fma_f32 v11, v2, v5, -v1
	v_div_fixup_f32 v6, v9, v6, 1.0
	v_mul_f32_e32 v5, v10, v6
	v_mul_f32_e32 v6, v11, v6
.LBB152_144:                            ;   in Loop: Header=BB152_140 Depth=1
	s_andn2_b64 vcc, exec, s[8:9]
	s_cbranch_vccnz .LBB152_139
; %bb.145:                              ;   in Loop: Header=BB152_140 Depth=1
	v_div_scale_f32 v5, s[8:9], v3, v3, v4
	v_div_scale_f32 v6, vcc, v4, v3, v4
	v_rcp_f32_e32 v9, v5
	v_fma_f32 v10, -v5, v9, 1.0
	v_fmac_f32_e32 v9, v10, v9
	v_mul_f32_e32 v10, v6, v9
	v_fma_f32 v11, -v5, v10, v6
	v_fmac_f32_e32 v10, v11, v9
	v_fma_f32 v5, -v5, v10, v6
	v_div_fmas_f32 v5, v5, v9, v10
	v_div_fixup_f32 v5, v5, v3, v4
	v_fmac_f32_e32 v3, v4, v5
	v_div_scale_f32 v4, s[8:9], v3, v3, 1.0
	v_div_scale_f32 v6, vcc, 1.0, v3, 1.0
	v_rcp_f32_e32 v9, v4
	v_fma_f32 v10, -v4, v9, 1.0
	v_fmac_f32_e32 v9, v10, v9
	v_mul_f32_e32 v10, v6, v9
	v_fma_f32 v11, -v4, v10, v6
	v_fmac_f32_e32 v10, v11, v9
	v_fma_f32 v4, -v4, v10, v6
	v_div_fmas_f32 v4, v4, v9, v10
	v_fma_f32 v6, v2, v5, v1
	v_fma_f32 v1, -v1, v5, v2
	v_div_fixup_f32 v2, v4, v3, 1.0
	v_mul_f32_e32 v5, v6, v2
	v_mul_f32_e32 v6, v1, v2
	s_branch .LBB152_139
.LBB152_146:
	s_and_saveexec_b64 s[8:9], s[0:1]
	s_cbranch_execz .LBB152_150
; %bb.147:
	s_cmp_lt_i32 s12, 1
	s_cbranch_scc1 .LBB152_150
; %bb.148:
	s_lshl_b64 s[0:1], s[4:5], 3
	s_add_u32 s2, s2, s0
	s_addc_u32 s3, s3, s1
	s_lshl_b64 s[0:1], s[16:17], 3
	s_add_u32 s0, s2, s0
	s_addc_u32 s1, s3, s1
	s_add_u32 s0, s0, s6
	s_addc_u32 s1, s1, s7
	s_ashr_i32 s11, s10, 31
	v_lshlrev_b32_e32 v2, 3, v0
	v_mov_b32_e32 v1, s1
	v_add_co_u32_e32 v0, vcc, s0, v2
	s_lshl_b64 s[0:1], s[10:11], 3
	v_addc_co_u32_e32 v1, vcc, 0, v1, vcc
	v_or_b32_e32 v2, 0x800, v2
	v_mov_b32_e32 v3, s1
.LBB152_149:                            ; =>This Inner Loop Header: Depth=1
	ds_read_b64 v[4:5], v2
	s_add_i32 s12, s12, -1
	v_add_u32_e32 v2, 0x80, v2
	s_cmp_lg_u32 s12, 0
	s_waitcnt lgkmcnt(0)
	global_store_dwordx2 v[0:1], v[4:5], off
	v_add_co_u32_e32 v0, vcc, s0, v0
	v_addc_co_u32_e32 v1, vcc, v1, v3, vcc
	s_cbranch_scc1 .LBB152_149
.LBB152_150:
	s_endpgm
	.section	.rodata,"a",@progbits
	.p2align	6, 0x0
	.amdhsa_kernel _ZL31rocblas_trsm_small_right_deviceI19rocblas_complex_numIfES1_PKS1_PS1_Li16EEv13rocblas_fill_18rocblas_operation_17rocblas_diagonal_iiT0_T1_lilT2_lili
		.amdhsa_group_segment_fixed_size 4096
		.amdhsa_private_segment_fixed_size 0
		.amdhsa_kernarg_size 360
		.amdhsa_user_sgpr_count 6
		.amdhsa_user_sgpr_private_segment_buffer 1
		.amdhsa_user_sgpr_dispatch_ptr 0
		.amdhsa_user_sgpr_queue_ptr 0
		.amdhsa_user_sgpr_kernarg_segment_ptr 1
		.amdhsa_user_sgpr_dispatch_id 0
		.amdhsa_user_sgpr_flat_scratch_init 0
		.amdhsa_user_sgpr_private_segment_size 0
		.amdhsa_uses_dynamic_stack 0
		.amdhsa_system_sgpr_private_segment_wavefront_offset 0
		.amdhsa_system_sgpr_workgroup_id_x 1
		.amdhsa_system_sgpr_workgroup_id_y 0
		.amdhsa_system_sgpr_workgroup_id_z 1
		.amdhsa_system_sgpr_workgroup_info 0
		.amdhsa_system_vgpr_workitem_id 0
		.amdhsa_next_free_vgpr 49
		.amdhsa_next_free_sgpr 98
		.amdhsa_reserve_vcc 1
		.amdhsa_reserve_flat_scratch 0
		.amdhsa_float_round_mode_32 0
		.amdhsa_float_round_mode_16_64 0
		.amdhsa_float_denorm_mode_32 3
		.amdhsa_float_denorm_mode_16_64 3
		.amdhsa_dx10_clamp 1
		.amdhsa_ieee_mode 1
		.amdhsa_fp16_overflow 0
		.amdhsa_exception_fp_ieee_invalid_op 0
		.amdhsa_exception_fp_denorm_src 0
		.amdhsa_exception_fp_ieee_div_zero 0
		.amdhsa_exception_fp_ieee_overflow 0
		.amdhsa_exception_fp_ieee_underflow 0
		.amdhsa_exception_fp_ieee_inexact 0
		.amdhsa_exception_int_div_zero 0
	.end_amdhsa_kernel
	.section	.text._ZL31rocblas_trsm_small_right_deviceI19rocblas_complex_numIfES1_PKS1_PS1_Li16EEv13rocblas_fill_18rocblas_operation_17rocblas_diagonal_iiT0_T1_lilT2_lili,"axG",@progbits,_ZL31rocblas_trsm_small_right_deviceI19rocblas_complex_numIfES1_PKS1_PS1_Li16EEv13rocblas_fill_18rocblas_operation_17rocblas_diagonal_iiT0_T1_lilT2_lili,comdat
.Lfunc_end152:
	.size	_ZL31rocblas_trsm_small_right_deviceI19rocblas_complex_numIfES1_PKS1_PS1_Li16EEv13rocblas_fill_18rocblas_operation_17rocblas_diagonal_iiT0_T1_lilT2_lili, .Lfunc_end152-_ZL31rocblas_trsm_small_right_deviceI19rocblas_complex_numIfES1_PKS1_PS1_Li16EEv13rocblas_fill_18rocblas_operation_17rocblas_diagonal_iiT0_T1_lilT2_lili
                                        ; -- End function
	.set _ZL31rocblas_trsm_small_right_deviceI19rocblas_complex_numIfES1_PKS1_PS1_Li16EEv13rocblas_fill_18rocblas_operation_17rocblas_diagonal_iiT0_T1_lilT2_lili.num_vgpr, 31
	.set _ZL31rocblas_trsm_small_right_deviceI19rocblas_complex_numIfES1_PKS1_PS1_Li16EEv13rocblas_fill_18rocblas_operation_17rocblas_diagonal_iiT0_T1_lilT2_lili.num_agpr, 0
	.set _ZL31rocblas_trsm_small_right_deviceI19rocblas_complex_numIfES1_PKS1_PS1_Li16EEv13rocblas_fill_18rocblas_operation_17rocblas_diagonal_iiT0_T1_lilT2_lili.numbered_sgpr, 32
	.set _ZL31rocblas_trsm_small_right_deviceI19rocblas_complex_numIfES1_PKS1_PS1_Li16EEv13rocblas_fill_18rocblas_operation_17rocblas_diagonal_iiT0_T1_lilT2_lili.num_named_barrier, 0
	.set _ZL31rocblas_trsm_small_right_deviceI19rocblas_complex_numIfES1_PKS1_PS1_Li16EEv13rocblas_fill_18rocblas_operation_17rocblas_diagonal_iiT0_T1_lilT2_lili.private_seg_size, 0
	.set _ZL31rocblas_trsm_small_right_deviceI19rocblas_complex_numIfES1_PKS1_PS1_Li16EEv13rocblas_fill_18rocblas_operation_17rocblas_diagonal_iiT0_T1_lilT2_lili.uses_vcc, 1
	.set _ZL31rocblas_trsm_small_right_deviceI19rocblas_complex_numIfES1_PKS1_PS1_Li16EEv13rocblas_fill_18rocblas_operation_17rocblas_diagonal_iiT0_T1_lilT2_lili.uses_flat_scratch, 0
	.set _ZL31rocblas_trsm_small_right_deviceI19rocblas_complex_numIfES1_PKS1_PS1_Li16EEv13rocblas_fill_18rocblas_operation_17rocblas_diagonal_iiT0_T1_lilT2_lili.has_dyn_sized_stack, 0
	.set _ZL31rocblas_trsm_small_right_deviceI19rocblas_complex_numIfES1_PKS1_PS1_Li16EEv13rocblas_fill_18rocblas_operation_17rocblas_diagonal_iiT0_T1_lilT2_lili.has_recursion, 0
	.set _ZL31rocblas_trsm_small_right_deviceI19rocblas_complex_numIfES1_PKS1_PS1_Li16EEv13rocblas_fill_18rocblas_operation_17rocblas_diagonal_iiT0_T1_lilT2_lili.has_indirect_call, 0
	.section	.AMDGPU.csdata,"",@progbits
; Kernel info:
; codeLenInByte = 12120
; TotalNumSgprs: 36
; NumVgprs: 31
; ScratchSize: 0
; MemoryBound: 0
; FloatMode: 240
; IeeeMode: 1
; LDSByteSize: 4096 bytes/workgroup (compile time only)
; SGPRBlocks: 12
; VGPRBlocks: 12
; NumSGPRsForWavesPerEU: 102
; NumVGPRsForWavesPerEU: 49
; Occupancy: 4
; WaveLimiterHint : 0
; COMPUTE_PGM_RSRC2:SCRATCH_EN: 0
; COMPUTE_PGM_RSRC2:USER_SGPR: 6
; COMPUTE_PGM_RSRC2:TRAP_HANDLER: 0
; COMPUTE_PGM_RSRC2:TGID_X_EN: 1
; COMPUTE_PGM_RSRC2:TGID_Y_EN: 0
; COMPUTE_PGM_RSRC2:TGID_Z_EN: 1
; COMPUTE_PGM_RSRC2:TIDIG_COMP_CNT: 0
	.section	.text._ZL38rocblas_trsm_small_left_device_sharedBILi20ELi20ELb0E19rocblas_complex_numIfES1_PKS1_PS1_Ev13rocblas_fill_18rocblas_operation_17rocblas_diagonal_iiT3_T4_lilT5_lili,"axG",@progbits,_ZL38rocblas_trsm_small_left_device_sharedBILi20ELi20ELb0E19rocblas_complex_numIfES1_PKS1_PS1_Ev13rocblas_fill_18rocblas_operation_17rocblas_diagonal_iiT3_T4_lilT5_lili,comdat
	.globl	_ZL38rocblas_trsm_small_left_device_sharedBILi20ELi20ELb0E19rocblas_complex_numIfES1_PKS1_PS1_Ev13rocblas_fill_18rocblas_operation_17rocblas_diagonal_iiT3_T4_lilT5_lili ; -- Begin function _ZL38rocblas_trsm_small_left_device_sharedBILi20ELi20ELb0E19rocblas_complex_numIfES1_PKS1_PS1_Ev13rocblas_fill_18rocblas_operation_17rocblas_diagonal_iiT3_T4_lilT5_lili
	.p2align	8
	.type	_ZL38rocblas_trsm_small_left_device_sharedBILi20ELi20ELb0E19rocblas_complex_numIfES1_PKS1_PS1_Ev13rocblas_fill_18rocblas_operation_17rocblas_diagonal_iiT3_T4_lilT5_lili,@function
_ZL38rocblas_trsm_small_left_device_sharedBILi20ELi20ELb0E19rocblas_complex_numIfES1_PKS1_PS1_Ev13rocblas_fill_18rocblas_operation_17rocblas_diagonal_iiT3_T4_lilT5_lili: ; @_ZL38rocblas_trsm_small_left_device_sharedBILi20ELi20ELb0E19rocblas_complex_numIfES1_PKS1_PS1_Ev13rocblas_fill_18rocblas_operation_17rocblas_diagonal_iiT3_T4_lilT5_lili
; %bb.0:
	s_add_u32 s0, s0, s8
	s_load_dwordx4 s[12:15], s[4:5], 0x4
	s_load_dwordx2 s[18:19], s[4:5], 0x14
	s_load_dwordx4 s[8:11], s[4:5], 0x38
	s_load_dwordx2 s[16:17], s[4:5], 0x48
	s_load_dword s27, s[4:5], 0x68
	s_addc_u32 s1, s1, 0
	s_waitcnt lgkmcnt(0)
	s_min_i32 s26, s14, 20
	v_cmp_gt_i32_e32 vcc, s26, v0
	s_and_saveexec_b64 s[20:21], vcc
	s_cbranch_execz .LBB153_15
; %bb.1:
	s_load_dword s24, s[4:5], 0x30
	s_load_dwordx4 s[28:31], s[4:5], 0x20
	s_mul_i32 s9, s9, s7
	s_mul_hi_u32 s33, s8, s7
	s_mul_i32 s8, s8, s7
	s_waitcnt lgkmcnt(0)
	s_ashr_i32 s25, s24, 31
	s_cmpk_lg_i32 s12, 0x71
	s_cselect_b64 s[22:23], -1, 0
	s_add_i32 s9, s33, s9
	s_lshl_b64 s[8:9], s[8:9], 3
	s_lshl_b64 s[30:31], s[30:31], 3
	s_add_u32 s8, s8, s30
	s_addc_u32 s9, s9, s31
	s_add_u32 s8, s28, s8
	v_lshlrev_b32_e32 v5, 3, v0
	s_addc_u32 s9, s29, s9
	v_mov_b32_e32 v1, s9
	v_add_co_u32_e32 v2, vcc, s8, v5
	v_addc_co_u32_e32 v3, vcc, 0, v1, vcc
	v_add_co_u32_e32 v1, vcc, 4, v2
	s_lshl_b64 s[8:9], s[24:25], 3
	v_addc_co_u32_e32 v2, vcc, 0, v3, vcc
	v_mov_b32_e32 v6, s9
	v_mov_b32_e32 v7, v5
	s_mov_b32 s9, s26
	s_branch .LBB153_3
.LBB153_2:                              ;   in Loop: Header=BB153_3 Depth=1
	global_load_dword v3, v[1:2], off offset:-4
	s_add_i32 s9, s9, -1
	v_add_co_u32_e32 v1, vcc, s8, v1
	v_addc_co_u32_e32 v2, vcc, v2, v6, vcc
	s_cmp_eq_u32 s9, 0
	s_waitcnt vmcnt(0)
	ds_write_b64 v7, v[3:4]
	v_add_u32_e32 v7, 0xa0, v7
	s_cbranch_scc1 .LBB153_7
.LBB153_3:                              ; =>This Inner Loop Header: Depth=1
	s_mov_b64 s[24:25], -1
	s_and_b64 vcc, exec, s[22:23]
                                        ; implicit-def: $vgpr4
	s_cbranch_vccz .LBB153_5
; %bb.4:                                ;   in Loop: Header=BB153_3 Depth=1
	global_load_dword v4, v[1:2], off
	s_mov_b64 s[24:25], 0
.LBB153_5:                              ;   in Loop: Header=BB153_3 Depth=1
	s_andn2_b64 vcc, exec, s[24:25]
	s_cbranch_vccnz .LBB153_2
; %bb.6:                                ;   in Loop: Header=BB153_3 Depth=1
	global_load_dword v3, v[1:2], off
	s_waitcnt vmcnt(0)
	v_xor_b32_e32 v4, 0x80000000, v3
	s_branch .LBB153_2
.LBB153_7:
	v_mul_u32_u24_e32 v1, 0xa0, v0
	s_cmpk_lg_i32 s13, 0x84
	s_mov_b64 s[8:9], -1
	v_add_u32_e32 v5, v5, v1
	s_cbranch_scc0 .LBB153_13
; %bb.8:
	ds_read_b64 v[1:2], v5
                                        ; implicit-def: $vgpr3
	s_waitcnt lgkmcnt(0)
	v_cmp_ngt_f32_e64 s[8:9], |v1|, |v2|
	s_and_saveexec_b64 s[22:23], s[8:9]
	s_xor_b64 s[8:9], exec, s[22:23]
	s_cbranch_execz .LBB153_10
; %bb.9:
	v_div_scale_f32 v3, s[22:23], v2, v2, v1
	v_div_scale_f32 v4, vcc, v1, v2, v1
	v_rcp_f32_e32 v6, v3
	v_fma_f32 v7, -v3, v6, 1.0
	v_fmac_f32_e32 v6, v7, v6
	v_mul_f32_e32 v7, v4, v6
	v_fma_f32 v8, -v3, v7, v4
	v_fmac_f32_e32 v7, v8, v6
	v_fma_f32 v3, -v3, v7, v4
	v_div_fmas_f32 v3, v3, v6, v7
	v_div_fixup_f32 v3, v3, v2, v1
	v_fmac_f32_e32 v2, v1, v3
	v_div_scale_f32 v1, s[22:23], v2, v2, 1.0
	v_div_scale_f32 v4, vcc, 1.0, v2, 1.0
	v_rcp_f32_e32 v6, v1
	v_fma_f32 v7, -v1, v6, 1.0
	v_fmac_f32_e32 v6, v7, v6
	v_mul_f32_e32 v7, v4, v6
	v_fma_f32 v8, -v1, v7, v4
	v_fmac_f32_e32 v7, v8, v6
	v_fma_f32 v1, -v1, v7, v4
	v_div_fmas_f32 v1, v1, v6, v7
	v_add_f32_e32 v4, 0, v3
	v_fma_f32 v6, v3, 0, -1.0
	v_div_fixup_f32 v1, v1, v2, 1.0
	v_mul_f32_e32 v3, v4, v1
	v_mul_f32_e32 v4, v6, v1
                                        ; implicit-def: $vgpr1_vgpr2
.LBB153_10:
	s_andn2_saveexec_b64 s[8:9], s[8:9]
	s_cbranch_execz .LBB153_12
; %bb.11:
	v_div_scale_f32 v3, s[22:23], v1, v1, v2
	v_div_scale_f32 v4, vcc, v2, v1, v2
	v_rcp_f32_e32 v6, v3
	v_fma_f32 v7, -v3, v6, 1.0
	v_fmac_f32_e32 v6, v7, v6
	v_mul_f32_e32 v7, v4, v6
	v_fma_f32 v8, -v3, v7, v4
	v_fmac_f32_e32 v7, v8, v6
	v_fma_f32 v3, -v3, v7, v4
	v_div_fmas_f32 v3, v3, v6, v7
	v_div_fixup_f32 v4, v3, v1, v2
	v_fmac_f32_e32 v1, v2, v4
	v_div_scale_f32 v2, s[22:23], v1, v1, 1.0
	v_div_scale_f32 v3, vcc, 1.0, v1, 1.0
	v_rcp_f32_e32 v6, v2
	v_fma_f32 v7, -v2, v6, 1.0
	v_fmac_f32_e32 v6, v7, v6
	v_mul_f32_e32 v7, v3, v6
	v_fma_f32 v8, -v2, v7, v3
	v_fmac_f32_e32 v7, v8, v6
	v_fma_f32 v2, -v2, v7, v3
	v_div_fmas_f32 v2, v2, v6, v7
	v_fma_f32 v3, v4, 0, 1.0
	v_div_fixup_f32 v1, v2, v1, 1.0
	v_mul_f32_e32 v3, v3, v1
	v_mul_f32_e64 v4, -v4, v1
.LBB153_12:
	s_or_b64 exec, exec, s[8:9]
	s_mov_b64 s[8:9], 0
	ds_write_b64 v5, v[3:4]
.LBB153_13:
	s_and_b64 vcc, exec, s[8:9]
	s_cbranch_vccz .LBB153_15
; %bb.14:
	v_mov_b32_e32 v1, 1.0
	v_mov_b32_e32 v2, 0
	ds_write_b64 v5, v[1:2]
.LBB153_15:
	s_or_b64 exec, exec, s[20:21]
	s_load_dword s22, s[4:5], 0x50
	s_load_dwordx2 s[8:9], s[4:5], 0x58
	s_add_i32 s27, s27, -1
	s_waitcnt lgkmcnt(0)
	s_ashr_i32 s13, s22, 31
	s_mul_i32 s4, s9, s7
	s_mul_hi_u32 s5, s8, s7
	s_add_i32 s9, s5, s4
	s_mul_i32 s4, s6, 0xffffffec
	s_add_i32 s4, s15, s4
	s_cmp_ge_u32 s6, s27
	s_mul_i32 s6, s6, 20
	s_mul_i32 s8, s8, s7
	s_cselect_b32 s4, s4, 20
	s_ashr_i32 s7, s6, 31
	s_cmp_gt_i32 s14, 0
	v_cmp_gt_i32_e64 s[4:5], s4, v0
	s_cselect_b64 s[14:15], -1, 0
	s_and_b64 s[24:25], s[4:5], s[14:15]
	s_and_saveexec_b64 s[20:21], s[24:25]
	s_cbranch_execz .LBB153_18
; %bb.16:
	v_lshlrev_b32_e32 v3, 3, v0
	s_lshl_b64 s[28:29], s[6:7], 3
	s_lshl_b64 s[24:25], s[8:9], 3
	v_mov_b32_e32 v1, s29
	v_add_co_u32_e32 v4, vcc, s28, v3
	s_lshl_b64 s[28:29], s[16:17], 3
	s_add_u32 s7, s10, s28
	s_addc_u32 s23, s11, s29
	s_add_u32 s24, s7, s24
	v_addc_co_u32_e32 v5, vcc, 0, v1, vcc
	s_addc_u32 s25, s23, s25
	v_mov_b32_e32 v1, s24
	v_mov_b32_e32 v2, s25
	v_mad_u64_u32 v[1:2], s[24:25], v4, s22, v[1:2]
	v_mul_lo_u32 v4, v4, s13
	v_mul_lo_u32 v5, v5, s22
	v_add_co_u32_e32 v1, vcc, 4, v1
	v_add_u32_e32 v3, 0xc80, v3
	v_add3_u32 v2, v5, v2, v4
	v_addc_co_u32_e32 v2, vcc, 0, v2, vcc
	s_mov_b32 s7, s26
.LBB153_17:                             ; =>This Inner Loop Header: Depth=1
	global_load_dwordx2 v[4:5], v[1:2], off offset:-4
	s_add_i32 s7, s7, -1
	v_add_co_u32_e32 v1, vcc, 8, v1
	v_addc_co_u32_e32 v2, vcc, 0, v2, vcc
	s_cmp_lg_u32 s7, 0
	s_waitcnt vmcnt(0)
	v_mul_f32_e32 v7, s19, v5
	v_mul_f32_e32 v6, s18, v5
	v_fma_f32 v5, s18, v4, -v7
	v_fmac_f32_e32 v6, s19, v4
	ds_write_b64 v3, v[5:6]
	v_add_u32_e32 v3, 0xa0, v3
	s_cbranch_scc1 .LBB153_17
.LBB153_18:
	s_or_b64 exec, exec, s[20:21]
	v_mov_b32_e32 v1, 0xc80
	s_cmpk_eq_i32 s12, 0x6f
	v_lshl_add_u32 v3, v0, 3, v1
	s_mov_b64 s[12:13], -1
	s_waitcnt lgkmcnt(0)
	; wave barrier
	s_cbranch_scc1 .LBB153_40
; %bb.19:
	s_mov_b32 s13, 0
	s_mov_b32 s12, s13
	;; [unrolled: 1-line block ×3, first 2 shown]
	s_branch .LBB153_21
.LBB153_20:                             ;   in Loop: Header=BB153_21 Depth=1
	s_cmp_ge_i32 s7, s26
	s_cselect_b64 s[18:19], -1, 0
	s_add_i32 s12, s12, 1
	s_cmp_eq_u32 s12, 3
	s_cselect_b64 s[20:21], -1, 0
	s_or_b64 s[18:19], s[18:19], s[20:21]
	s_andn2_b64 vcc, exec, s[18:19]
	s_cbranch_vccz .LBB153_39
.LBB153_21:                             ; =>This Loop Header: Depth=1
                                        ;     Child Loop BB153_24 Depth 2
                                        ;       Child Loop BB153_25 Depth 3
                                        ;       Child Loop BB153_28 Depth 3
                                        ;         Child Loop BB153_29 Depth 4
                                        ;       Child Loop BB153_33 Depth 3
                                        ;         Child Loop BB153_35 Depth 4
	s_lshl_b64 s[18:19], s[12:13], 2
	s_getpc_b64 s[20:21]
	s_add_u32 s20, s20, __const._ZL38rocblas_trsm_small_left_device_sharedBILi20ELi20ELb0E19rocblas_complex_numIfES1_PKS1_PS1_Ev13rocblas_fill_18rocblas_operation_17rocblas_diagonal_iiT3_T4_lilT5_lili.step_sizes@rel32@lo+4
	s_addc_u32 s21, s21, __const._ZL38rocblas_trsm_small_left_device_sharedBILi20ELi20ELb0E19rocblas_complex_numIfES1_PKS1_PS1_Ev13rocblas_fill_18rocblas_operation_17rocblas_diagonal_iiT3_T4_lilT5_lili.step_sizes@rel32@hi+12
	s_add_u32 s18, s20, s18
	s_addc_u32 s19, s21, s19
	s_load_dword s20, s[18:19], 0x0
	s_waitcnt lgkmcnt(0)
	s_add_i32 s21, s20, -1
	s_add_i32 s18, s21, s7
	s_cmp_ge_i32 s18, s26
	s_cbranch_scc1 .LBB153_20
; %bb.22:                               ;   in Loop: Header=BB153_21 Depth=1
	s_mul_i32 s24, s7, 0xa0
	s_max_i32 s23, s20, 1
	v_add_u32_e32 v4, s24, v3
	s_mul_i32 s25, s20, 0xa0
	s_mul_i32 s27, s7, 0xa8
	;; [unrolled: 1-line block ×3, first 2 shown]
	s_branch .LBB153_24
.LBB153_23:                             ;   in Loop: Header=BB153_24 Depth=2
	s_add_i32 s7, s7, s20
	s_add_i32 s18, s21, s7
	;; [unrolled: 1-line block ×4, first 2 shown]
	s_cmp_ge_i32 s18, s26
	v_add_u32_e32 v4, s25, v4
	s_cbranch_scc1 .LBB153_20
.LBB153_24:                             ;   Parent Loop BB153_21 Depth=1
                                        ; =>  This Loop Header: Depth=2
                                        ;       Child Loop BB153_25 Depth 3
                                        ;       Child Loop BB153_28 Depth 3
                                        ;         Child Loop BB153_29 Depth 4
                                        ;       Child Loop BB153_33 Depth 3
                                        ;         Child Loop BB153_35 Depth 4
	s_mov_b32 s18, 0
	v_mov_b32_e32 v1, v4
	s_mov_b32 s19, s23
.LBB153_25:                             ;   Parent Loop BB153_21 Depth=1
                                        ;     Parent Loop BB153_24 Depth=2
                                        ; =>    This Inner Loop Header: Depth=3
	ds_read_b64 v[5:6], v1
	v_mov_b32_e32 v2, s18
	s_add_i32 s19, s19, -1
	s_add_i32 s18, s18, 8
	v_add_u32_e32 v1, 0xa0, v1
	s_cmp_eq_u32 s19, 0
	s_waitcnt lgkmcnt(0)
	buffer_store_dword v6, v2, s[0:3], 0 offen offset:4
	buffer_store_dword v5, v2, s[0:3], 0 offen
	s_cbranch_scc0 .LBB153_25
; %bb.26:                               ;   in Loop: Header=BB153_24 Depth=2
	s_cmp_lt_i32 s7, 1
	s_cbranch_scc1 .LBB153_31
; %bb.27:                               ;   in Loop: Header=BB153_24 Depth=2
	s_mov_b32 s18, 0
	s_mov_b32 s19, s24
.LBB153_28:                             ;   Parent Loop BB153_21 Depth=1
                                        ;     Parent Loop BB153_24 Depth=2
                                        ; =>    This Loop Header: Depth=3
                                        ;         Child Loop BB153_29 Depth 4
	s_mul_i32 s29, s18, 0xa0
	v_add_u32_e32 v1, s29, v3
	ds_read_b64 v[1:2], v1
	s_mov_b32 s29, 0
	s_mov_b32 s30, s19
	;; [unrolled: 1-line block ×3, first 2 shown]
.LBB153_29:                             ;   Parent Loop BB153_21 Depth=1
                                        ;     Parent Loop BB153_24 Depth=2
                                        ;       Parent Loop BB153_28 Depth=3
                                        ; =>      This Inner Loop Header: Depth=4
	v_mov_b32_e32 v7, s29
	buffer_load_dword v8, v7, s[0:3], 0 offen
	buffer_load_dword v9, v7, s[0:3], 0 offen offset:4
	v_mov_b32_e32 v5, s30
	ds_read_b64 v[5:6], v5
	s_add_i32 s31, s31, -1
	s_addk_i32 s30, 0xa0
	s_add_i32 s29, s29, 8
	s_cmp_eq_u32 s31, 0
	s_waitcnt lgkmcnt(0)
	v_mul_f32_e32 v10, v6, v2
	v_mul_f32_e32 v6, v6, v1
	v_fma_f32 v10, v5, v1, -v10
	v_fmac_f32_e32 v6, v5, v2
	s_waitcnt vmcnt(1)
	v_sub_f32_e32 v5, v8, v10
	s_waitcnt vmcnt(0)
	v_sub_f32_e32 v6, v9, v6
	buffer_store_dword v5, v7, s[0:3], 0 offen
	buffer_store_dword v6, v7, s[0:3], 0 offen offset:4
	s_cbranch_scc0 .LBB153_29
; %bb.30:                               ;   in Loop: Header=BB153_28 Depth=3
	s_add_i32 s18, s18, 1
	s_add_i32 s19, s19, 8
	s_cmp_eq_u32 s18, s7
	s_cbranch_scc0 .LBB153_28
.LBB153_31:                             ;   in Loop: Header=BB153_24 Depth=2
	s_mul_i32 s29, s7, 0xa0
	s_mov_b32 s30, 0
	s_mov_b32 s31, s27
	s_branch .LBB153_33
.LBB153_32:                             ;   in Loop: Header=BB153_33 Depth=3
	s_mul_i32 s18, s34, 0xa8
	v_mov_b32_e32 v5, s18
	ds_read_b64 v[5:6], v5
	s_lshl_b32 s18, s30, 3
	s_add_i32 s30, s30, 1
	s_addk_i32 s31, 0xa0
	v_mov_b32_e32 v9, s18
	s_waitcnt vmcnt(0) lgkmcnt(0)
	v_mul_f32_e32 v7, v6, v2
	v_mul_f32_e32 v8, v5, v2
	v_fma_f32 v7, v5, v1, -v7
	v_fmac_f32_e32 v8, v6, v1
	v_add_u32_e32 v1, s33, v3
	s_cmp_eq_u32 s30, s23
	buffer_store_dword v7, v9, s[0:3], 0 offen
	buffer_store_dword v8, v9, s[0:3], 0 offen offset:4
	ds_write_b64 v1, v[7:8]
	s_cbranch_scc1 .LBB153_23
.LBB153_33:                             ;   Parent Loop BB153_21 Depth=1
                                        ;     Parent Loop BB153_24 Depth=2
                                        ; =>    This Loop Header: Depth=3
                                        ;         Child Loop BB153_35 Depth 4
	s_cmp_lg_u32 s30, 0
	s_cbranch_scc0 .LBB153_37
; %bb.34:                               ;   in Loop: Header=BB153_33 Depth=3
	s_lshl_b32 s18, s30, 3
	v_mov_b32_e32 v5, s18
	buffer_load_dword v1, v5, s[0:3], 0 offen
	buffer_load_dword v2, v5, s[0:3], 0 offen offset:4
	s_add_i32 s34, s30, s7
	s_mul_i32 s33, s34, 0xa0
	s_mov_b32 s18, 0
	s_mov_b32 s19, s31
	;; [unrolled: 1-line block ×3, first 2 shown]
.LBB153_35:                             ;   Parent Loop BB153_21 Depth=1
                                        ;     Parent Loop BB153_24 Depth=2
                                        ;       Parent Loop BB153_33 Depth=3
                                        ; =>      This Inner Loop Header: Depth=4
	v_mov_b32_e32 v6, s18
	buffer_load_dword v8, v6, s[0:3], 0 offen offset:4
	buffer_load_dword v9, v6, s[0:3], 0 offen
	v_mov_b32_e32 v6, s19
	ds_read_b64 v[6:7], v6
	s_add_i32 s35, s35, -1
	s_add_i32 s18, s18, 8
	s_add_i32 s19, s19, 8
	s_cmp_eq_u32 s35, 0
	s_waitcnt vmcnt(1) lgkmcnt(0)
	v_mul_f32_e32 v10, v7, v8
	v_mul_f32_e32 v8, v6, v8
	s_waitcnt vmcnt(0)
	v_fma_f32 v6, v6, v9, -v10
	v_fmac_f32_e32 v8, v7, v9
	v_sub_f32_e32 v1, v1, v6
	v_sub_f32_e32 v2, v2, v8
	buffer_store_dword v1, v5, s[0:3], 0 offen
	buffer_store_dword v2, v5, s[0:3], 0 offen offset:4
	s_cbranch_scc0 .LBB153_35
; %bb.36:                               ;   in Loop: Header=BB153_33 Depth=3
	s_branch .LBB153_32
.LBB153_37:                             ;   in Loop: Header=BB153_33 Depth=3
                                        ; implicit-def: $vgpr1
                                        ; implicit-def: $vgpr2
                                        ; implicit-def: $sgpr34
                                        ; implicit-def: $sgpr33
	s_cbranch_execz .LBB153_32
; %bb.38:                               ;   in Loop: Header=BB153_33 Depth=3
	buffer_load_dword v1, off, s[0:3], 0
	buffer_load_dword v2, off, s[0:3], 0 offset:4
	s_mov_b32 s33, s29
	s_mov_b32 s34, s7
	s_branch .LBB153_32
.LBB153_39:
	s_mov_b64 s[12:13], 0
.LBB153_40:
	s_and_b64 vcc, exec, s[12:13]
	s_cbranch_vccz .LBB153_60
; %bb.41:
	s_add_i32 s7, s26, -1
	v_mov_b32_e32 v1, 0xc80
	s_mul_i32 s20, s26, 0xa0
	s_mov_b32 s13, 0
	v_lshl_add_u32 v4, v0, 3, v1
	s_addk_i32 s20, 0xff60
	s_mov_b32 s12, s13
	s_mov_b32 s21, s7
	s_branch .LBB153_43
.LBB153_42:                             ;   in Loop: Header=BB153_43 Depth=1
	s_cmp_lt_i32 s21, 0
	s_cselect_b64 s[18:19], -1, 0
	s_add_i32 s12, s12, 1
	s_cmp_eq_u32 s12, 3
	s_cselect_b64 s[24:25], -1, 0
	s_or_b64 s[18:19], s[18:19], s[24:25]
	s_and_b64 vcc, exec, s[18:19]
	s_cbranch_vccnz .LBB153_60
.LBB153_43:                             ; =>This Loop Header: Depth=1
                                        ;     Child Loop BB153_46 Depth 2
                                        ;       Child Loop BB153_47 Depth 3
                                        ;       Child Loop BB153_49 Depth 3
                                        ;         Child Loop BB153_50 Depth 4
                                        ;       Child Loop BB153_54 Depth 3
                                        ;         Child Loop BB153_56 Depth 4
	s_lshl_b64 s[18:19], s[12:13], 2
	s_getpc_b64 s[24:25]
	s_add_u32 s24, s24, __const._ZL38rocblas_trsm_small_left_device_sharedBILi20ELi20ELb0E19rocblas_complex_numIfES1_PKS1_PS1_Ev13rocblas_fill_18rocblas_operation_17rocblas_diagonal_iiT3_T4_lilT5_lili.step_sizes@rel32@lo+4
	s_addc_u32 s25, s25, __const._ZL38rocblas_trsm_small_left_device_sharedBILi20ELi20ELb0E19rocblas_complex_numIfES1_PKS1_PS1_Ev13rocblas_fill_18rocblas_operation_17rocblas_diagonal_iiT3_T4_lilT5_lili.step_sizes@rel32@hi+12
	s_add_u32 s18, s24, s18
	s_addc_u32 s19, s25, s19
	s_load_dword s23, s[18:19], 0x0
	s_waitcnt lgkmcnt(0)
	s_add_i32 s24, s23, -1
	s_cmp_lt_i32 s21, s24
	s_cbranch_scc1 .LBB153_42
; %bb.44:                               ;   in Loop: Header=BB153_43 Depth=1
	s_mul_i32 s18, s21, 0xa0
	v_add_u32_e32 v5, s18, v4
	s_lshl_b32 s18, s21, 3
	s_add_i32 s28, s20, s18
	s_lshl_b32 s18, s23, 3
	s_max_i32 s25, s23, 1
	s_mul_i32 s27, s23, 0xffffff60
	s_sub_i32 s29, 0, s18
	s_mul_i32 s30, s21, 0xa8
	s_mul_i32 s31, s23, 0xffffff58
	s_branch .LBB153_46
.LBB153_45:                             ;   in Loop: Header=BB153_46 Depth=2
	s_sub_i32 s21, s21, s23
	s_add_i32 s28, s28, s29
	s_add_i32 s30, s30, s31
	s_cmp_lt_i32 s21, s24
	v_add_u32_e32 v5, s27, v5
	s_cbranch_scc1 .LBB153_42
.LBB153_46:                             ;   Parent Loop BB153_43 Depth=1
                                        ; =>  This Loop Header: Depth=2
                                        ;       Child Loop BB153_47 Depth 3
                                        ;       Child Loop BB153_49 Depth 3
                                        ;         Child Loop BB153_50 Depth 4
                                        ;       Child Loop BB153_54 Depth 3
                                        ;         Child Loop BB153_56 Depth 4
	s_mov_b32 s18, 0
	v_mov_b32_e32 v1, v5
	s_mov_b32 s19, s25
.LBB153_47:                             ;   Parent Loop BB153_43 Depth=1
                                        ;     Parent Loop BB153_46 Depth=2
                                        ; =>    This Inner Loop Header: Depth=3
	ds_read_b64 v[6:7], v1
	v_mov_b32_e32 v2, s18
	s_add_i32 s19, s19, -1
	s_add_i32 s18, s18, 8
	v_add_u32_e32 v1, 0xffffff60, v1
	s_cmp_eq_u32 s19, 0
	s_waitcnt lgkmcnt(0)
	buffer_store_dword v7, v2, s[0:3], 0 offen offset:4
	buffer_store_dword v6, v2, s[0:3], 0 offen
	s_cbranch_scc0 .LBB153_47
; %bb.48:                               ;   in Loop: Header=BB153_46 Depth=2
	s_cmp_le_i32 s7, s21
	s_mov_b32 s18, s28
	s_mov_b32 s19, s7
	s_cbranch_scc1 .LBB153_52
.LBB153_49:                             ;   Parent Loop BB153_43 Depth=1
                                        ;     Parent Loop BB153_46 Depth=2
                                        ; =>    This Loop Header: Depth=3
                                        ;         Child Loop BB153_50 Depth 4
	s_mul_i32 s33, s19, 0xa0
	v_add_u32_e32 v1, s33, v3
	ds_read_b64 v[1:2], v1
	s_mov_b32 s33, 0
	s_mov_b32 s34, s18
	;; [unrolled: 1-line block ×3, first 2 shown]
.LBB153_50:                             ;   Parent Loop BB153_43 Depth=1
                                        ;     Parent Loop BB153_46 Depth=2
                                        ;       Parent Loop BB153_49 Depth=3
                                        ; =>      This Inner Loop Header: Depth=4
	v_mov_b32_e32 v8, s33
	buffer_load_dword v9, v8, s[0:3], 0 offen
	buffer_load_dword v10, v8, s[0:3], 0 offen offset:4
	v_mov_b32_e32 v6, s34
	ds_read_b64 v[6:7], v6
	s_add_i32 s35, s35, -1
	s_add_i32 s34, s34, -8
	s_add_i32 s33, s33, 8
	s_cmp_eq_u32 s35, 0
	s_waitcnt lgkmcnt(0)
	v_mul_f32_e32 v11, v7, v2
	v_mul_f32_e32 v7, v7, v1
	v_fma_f32 v11, v6, v1, -v11
	v_fmac_f32_e32 v7, v6, v2
	s_waitcnt vmcnt(1)
	v_sub_f32_e32 v6, v9, v11
	s_waitcnt vmcnt(0)
	v_sub_f32_e32 v7, v10, v7
	buffer_store_dword v6, v8, s[0:3], 0 offen
	buffer_store_dword v7, v8, s[0:3], 0 offen offset:4
	s_cbranch_scc0 .LBB153_50
; %bb.51:                               ;   in Loop: Header=BB153_49 Depth=3
	s_add_i32 s19, s19, -1
	s_addk_i32 s18, 0xff60
	s_cmp_le_i32 s19, s21
	s_cbranch_scc0 .LBB153_49
.LBB153_52:                             ;   in Loop: Header=BB153_46 Depth=2
	s_mov_b32 s33, 0
	s_mov_b32 s34, s30
	s_branch .LBB153_54
.LBB153_53:                             ;   in Loop: Header=BB153_54 Depth=3
	s_mul_i32 s18, s35, 0xa8
	v_mov_b32_e32 v6, s18
	ds_read_b64 v[6:7], v6
	s_lshl_b32 s18, s33, 3
	v_mov_b32_e32 v10, s18
	s_mul_i32 s18, s35, 0xa0
	s_add_i32 s33, s33, 1
	s_waitcnt vmcnt(0) lgkmcnt(0)
	v_mul_f32_e32 v8, v7, v2
	v_mul_f32_e32 v9, v6, v2
	s_add_i32 s34, s34, -8
	v_fma_f32 v8, v6, v1, -v8
	v_fmac_f32_e32 v9, v7, v1
	v_add_u32_e32 v1, s18, v3
	s_cmp_eq_u32 s33, s25
	buffer_store_dword v8, v10, s[0:3], 0 offen
	buffer_store_dword v9, v10, s[0:3], 0 offen offset:4
	ds_write_b64 v1, v[8:9]
	s_cbranch_scc1 .LBB153_45
.LBB153_54:                             ;   Parent Loop BB153_43 Depth=1
                                        ;     Parent Loop BB153_46 Depth=2
                                        ; =>    This Loop Header: Depth=3
                                        ;         Child Loop BB153_56 Depth 4
	s_cmp_lg_u32 s33, 0
	s_cbranch_scc0 .LBB153_58
; %bb.55:                               ;   in Loop: Header=BB153_54 Depth=3
	s_lshl_b32 s18, s33, 3
	v_mov_b32_e32 v6, s18
	buffer_load_dword v1, v6, s[0:3], 0 offen
	buffer_load_dword v2, v6, s[0:3], 0 offen offset:4
	s_sub_i32 s35, s21, s33
	s_mov_b32 s18, 0
	s_mov_b32 s19, s34
	;; [unrolled: 1-line block ×3, first 2 shown]
.LBB153_56:                             ;   Parent Loop BB153_43 Depth=1
                                        ;     Parent Loop BB153_46 Depth=2
                                        ;       Parent Loop BB153_54 Depth=3
                                        ; =>      This Inner Loop Header: Depth=4
	v_mov_b32_e32 v7, s18
	buffer_load_dword v9, v7, s[0:3], 0 offen offset:4
	buffer_load_dword v10, v7, s[0:3], 0 offen
	v_mov_b32_e32 v7, s19
	ds_read_b64 v[7:8], v7
	s_add_i32 s36, s36, -1
	s_addk_i32 s19, 0xff60
	s_add_i32 s18, s18, 8
	s_cmp_eq_u32 s36, 0
	s_waitcnt vmcnt(1) lgkmcnt(0)
	v_mul_f32_e32 v11, v8, v9
	v_mul_f32_e32 v9, v7, v9
	s_waitcnt vmcnt(0)
	v_fma_f32 v7, v7, v10, -v11
	v_fmac_f32_e32 v9, v8, v10
	v_sub_f32_e32 v1, v1, v7
	v_sub_f32_e32 v2, v2, v9
	buffer_store_dword v1, v6, s[0:3], 0 offen
	buffer_store_dword v2, v6, s[0:3], 0 offen offset:4
	s_cbranch_scc0 .LBB153_56
; %bb.57:                               ;   in Loop: Header=BB153_54 Depth=3
	s_branch .LBB153_53
.LBB153_58:                             ;   in Loop: Header=BB153_54 Depth=3
                                        ; implicit-def: $vgpr1
                                        ; implicit-def: $vgpr2
                                        ; implicit-def: $sgpr35
	s_cbranch_execz .LBB153_53
; %bb.59:                               ;   in Loop: Header=BB153_54 Depth=3
	buffer_load_dword v1, off, s[0:3], 0
	buffer_load_dword v2, off, s[0:3], 0 offset:4
	s_mov_b32 s35, s21
	s_branch .LBB153_53
.LBB153_60:
	s_waitcnt lgkmcnt(0)
	; wave barrier
	s_and_saveexec_b64 s[12:13], s[4:5]
	s_cbranch_execz .LBB153_64
; %bb.61:
	s_andn2_b64 vcc, exec, s[14:15]
	s_cbranch_vccnz .LBB153_64
; %bb.62:
	s_lshl_b64 s[4:5], s[8:9], 3
	s_add_u32 s7, s10, s4
	s_addc_u32 s8, s11, s5
	s_lshl_b64 s[4:5], s[16:17], 3
	s_add_u32 s9, s7, s4
	s_addc_u32 s8, s8, s5
	s_mul_hi_i32 s5, s22, s6
	s_mul_i32 s4, s22, s6
	v_mad_i64_i32 v[1:2], s[6:7], s22, v0, 0
	s_lshl_b64 s[4:5], s[4:5], 3
	s_add_u32 s4, s9, s4
	v_lshlrev_b64 v[1:2], 3, v[1:2]
	s_addc_u32 s5, s8, s5
	v_mov_b32_e32 v3, s5
	v_add_co_u32_e32 v1, vcc, s4, v1
	v_addc_co_u32_e32 v2, vcc, v3, v2, vcc
	v_mov_b32_e32 v3, 0xc80
	v_lshl_add_u32 v0, v0, 3, v3
.LBB153_63:                             ; =>This Inner Loop Header: Depth=1
	ds_read_b64 v[3:4], v0
	s_add_i32 s26, s26, -1
	v_add_u32_e32 v0, 0xa0, v0
	s_cmp_lg_u32 s26, 0
	s_waitcnt lgkmcnt(0)
	global_store_dwordx2 v[1:2], v[3:4], off
	v_add_co_u32_e32 v1, vcc, 8, v1
	v_addc_co_u32_e32 v2, vcc, 0, v2, vcc
	s_cbranch_scc1 .LBB153_63
.LBB153_64:
	s_endpgm
	.section	.rodata,"a",@progbits
	.p2align	6, 0x0
	.amdhsa_kernel _ZL38rocblas_trsm_small_left_device_sharedBILi20ELi20ELb0E19rocblas_complex_numIfES1_PKS1_PS1_Ev13rocblas_fill_18rocblas_operation_17rocblas_diagonal_iiT3_T4_lilT5_lili
		.amdhsa_group_segment_fixed_size 6400
		.amdhsa_private_segment_fixed_size 176
		.amdhsa_kernarg_size 360
		.amdhsa_user_sgpr_count 6
		.amdhsa_user_sgpr_private_segment_buffer 1
		.amdhsa_user_sgpr_dispatch_ptr 0
		.amdhsa_user_sgpr_queue_ptr 0
		.amdhsa_user_sgpr_kernarg_segment_ptr 1
		.amdhsa_user_sgpr_dispatch_id 0
		.amdhsa_user_sgpr_flat_scratch_init 0
		.amdhsa_user_sgpr_private_segment_size 0
		.amdhsa_uses_dynamic_stack 0
		.amdhsa_system_sgpr_private_segment_wavefront_offset 1
		.amdhsa_system_sgpr_workgroup_id_x 1
		.amdhsa_system_sgpr_workgroup_id_y 0
		.amdhsa_system_sgpr_workgroup_id_z 1
		.amdhsa_system_sgpr_workgroup_info 0
		.amdhsa_system_vgpr_workitem_id 0
		.amdhsa_next_free_vgpr 65
		.amdhsa_next_free_sgpr 98
		.amdhsa_reserve_vcc 1
		.amdhsa_reserve_flat_scratch 0
		.amdhsa_float_round_mode_32 0
		.amdhsa_float_round_mode_16_64 0
		.amdhsa_float_denorm_mode_32 3
		.amdhsa_float_denorm_mode_16_64 3
		.amdhsa_dx10_clamp 1
		.amdhsa_ieee_mode 1
		.amdhsa_fp16_overflow 0
		.amdhsa_exception_fp_ieee_invalid_op 0
		.amdhsa_exception_fp_denorm_src 0
		.amdhsa_exception_fp_ieee_div_zero 0
		.amdhsa_exception_fp_ieee_overflow 0
		.amdhsa_exception_fp_ieee_underflow 0
		.amdhsa_exception_fp_ieee_inexact 0
		.amdhsa_exception_int_div_zero 0
	.end_amdhsa_kernel
	.section	.text._ZL38rocblas_trsm_small_left_device_sharedBILi20ELi20ELb0E19rocblas_complex_numIfES1_PKS1_PS1_Ev13rocblas_fill_18rocblas_operation_17rocblas_diagonal_iiT3_T4_lilT5_lili,"axG",@progbits,_ZL38rocblas_trsm_small_left_device_sharedBILi20ELi20ELb0E19rocblas_complex_numIfES1_PKS1_PS1_Ev13rocblas_fill_18rocblas_operation_17rocblas_diagonal_iiT3_T4_lilT5_lili,comdat
.Lfunc_end153:
	.size	_ZL38rocblas_trsm_small_left_device_sharedBILi20ELi20ELb0E19rocblas_complex_numIfES1_PKS1_PS1_Ev13rocblas_fill_18rocblas_operation_17rocblas_diagonal_iiT3_T4_lilT5_lili, .Lfunc_end153-_ZL38rocblas_trsm_small_left_device_sharedBILi20ELi20ELb0E19rocblas_complex_numIfES1_PKS1_PS1_Ev13rocblas_fill_18rocblas_operation_17rocblas_diagonal_iiT3_T4_lilT5_lili
                                        ; -- End function
	.set _ZL38rocblas_trsm_small_left_device_sharedBILi20ELi20ELb0E19rocblas_complex_numIfES1_PKS1_PS1_Ev13rocblas_fill_18rocblas_operation_17rocblas_diagonal_iiT3_T4_lilT5_lili.num_vgpr, 12
	.set _ZL38rocblas_trsm_small_left_device_sharedBILi20ELi20ELb0E19rocblas_complex_numIfES1_PKS1_PS1_Ev13rocblas_fill_18rocblas_operation_17rocblas_diagonal_iiT3_T4_lilT5_lili.num_agpr, 0
	.set _ZL38rocblas_trsm_small_left_device_sharedBILi20ELi20ELb0E19rocblas_complex_numIfES1_PKS1_PS1_Ev13rocblas_fill_18rocblas_operation_17rocblas_diagonal_iiT3_T4_lilT5_lili.numbered_sgpr, 37
	.set _ZL38rocblas_trsm_small_left_device_sharedBILi20ELi20ELb0E19rocblas_complex_numIfES1_PKS1_PS1_Ev13rocblas_fill_18rocblas_operation_17rocblas_diagonal_iiT3_T4_lilT5_lili.num_named_barrier, 0
	.set _ZL38rocblas_trsm_small_left_device_sharedBILi20ELi20ELb0E19rocblas_complex_numIfES1_PKS1_PS1_Ev13rocblas_fill_18rocblas_operation_17rocblas_diagonal_iiT3_T4_lilT5_lili.private_seg_size, 176
	.set _ZL38rocblas_trsm_small_left_device_sharedBILi20ELi20ELb0E19rocblas_complex_numIfES1_PKS1_PS1_Ev13rocblas_fill_18rocblas_operation_17rocblas_diagonal_iiT3_T4_lilT5_lili.uses_vcc, 1
	.set _ZL38rocblas_trsm_small_left_device_sharedBILi20ELi20ELb0E19rocblas_complex_numIfES1_PKS1_PS1_Ev13rocblas_fill_18rocblas_operation_17rocblas_diagonal_iiT3_T4_lilT5_lili.uses_flat_scratch, 0
	.set _ZL38rocblas_trsm_small_left_device_sharedBILi20ELi20ELb0E19rocblas_complex_numIfES1_PKS1_PS1_Ev13rocblas_fill_18rocblas_operation_17rocblas_diagonal_iiT3_T4_lilT5_lili.has_dyn_sized_stack, 0
	.set _ZL38rocblas_trsm_small_left_device_sharedBILi20ELi20ELb0E19rocblas_complex_numIfES1_PKS1_PS1_Ev13rocblas_fill_18rocblas_operation_17rocblas_diagonal_iiT3_T4_lilT5_lili.has_recursion, 0
	.set _ZL38rocblas_trsm_small_left_device_sharedBILi20ELi20ELb0E19rocblas_complex_numIfES1_PKS1_PS1_Ev13rocblas_fill_18rocblas_operation_17rocblas_diagonal_iiT3_T4_lilT5_lili.has_indirect_call, 0
	.section	.AMDGPU.csdata,"",@progbits
; Kernel info:
; codeLenInByte = 2704
; TotalNumSgprs: 41
; NumVgprs: 12
; ScratchSize: 176
; MemoryBound: 0
; FloatMode: 240
; IeeeMode: 1
; LDSByteSize: 6400 bytes/workgroup (compile time only)
; SGPRBlocks: 12
; VGPRBlocks: 16
; NumSGPRsForWavesPerEU: 102
; NumVGPRsForWavesPerEU: 65
; Occupancy: 3
; WaveLimiterHint : 0
; COMPUTE_PGM_RSRC2:SCRATCH_EN: 1
; COMPUTE_PGM_RSRC2:USER_SGPR: 6
; COMPUTE_PGM_RSRC2:TRAP_HANDLER: 0
; COMPUTE_PGM_RSRC2:TGID_X_EN: 1
; COMPUTE_PGM_RSRC2:TGID_Y_EN: 0
; COMPUTE_PGM_RSRC2:TGID_Z_EN: 1
; COMPUTE_PGM_RSRC2:TIDIG_COMP_CNT: 0
	.section	.text._ZL30rocblas_trsm_small_left_deviceILi20ELi20ELb0E19rocblas_complex_numIfES1_PKS1_PS1_Ev13rocblas_fill_18rocblas_operation_17rocblas_diagonal_iiT3_T4_lilT5_lili,"axG",@progbits,_ZL30rocblas_trsm_small_left_deviceILi20ELi20ELb0E19rocblas_complex_numIfES1_PKS1_PS1_Ev13rocblas_fill_18rocblas_operation_17rocblas_diagonal_iiT3_T4_lilT5_lili,comdat
	.globl	_ZL30rocblas_trsm_small_left_deviceILi20ELi20ELb0E19rocblas_complex_numIfES1_PKS1_PS1_Ev13rocblas_fill_18rocblas_operation_17rocblas_diagonal_iiT3_T4_lilT5_lili ; -- Begin function _ZL30rocblas_trsm_small_left_deviceILi20ELi20ELb0E19rocblas_complex_numIfES1_PKS1_PS1_Ev13rocblas_fill_18rocblas_operation_17rocblas_diagonal_iiT3_T4_lilT5_lili
	.p2align	8
	.type	_ZL30rocblas_trsm_small_left_deviceILi20ELi20ELb0E19rocblas_complex_numIfES1_PKS1_PS1_Ev13rocblas_fill_18rocblas_operation_17rocblas_diagonal_iiT3_T4_lilT5_lili,@function
_ZL30rocblas_trsm_small_left_deviceILi20ELi20ELb0E19rocblas_complex_numIfES1_PKS1_PS1_Ev13rocblas_fill_18rocblas_operation_17rocblas_diagonal_iiT3_T4_lilT5_lili: ; @_ZL30rocblas_trsm_small_left_deviceILi20ELi20ELb0E19rocblas_complex_numIfES1_PKS1_PS1_Ev13rocblas_fill_18rocblas_operation_17rocblas_diagonal_iiT3_T4_lilT5_lili
; %bb.0:
	s_add_u32 s0, s0, s8
	s_load_dwordx4 s[12:15], s[4:5], 0x4
	s_load_dwordx2 s[16:17], s[4:5], 0x14
	s_load_dwordx4 s[8:11], s[4:5], 0x38
	s_load_dwordx2 s[18:19], s[4:5], 0x48
	s_load_dword s27, s[4:5], 0x68
	s_addc_u32 s1, s1, 0
	s_waitcnt lgkmcnt(0)
	s_min_i32 s26, s14, 20
	v_cmp_gt_i32_e32 vcc, s26, v0
	s_and_saveexec_b64 s[20:21], vcc
	s_cbranch_execz .LBB154_15
; %bb.1:
	s_load_dword s24, s[4:5], 0x30
	s_load_dwordx4 s[28:31], s[4:5], 0x20
	s_mul_i32 s9, s9, s7
	s_mul_hi_u32 s14, s8, s7
	s_mul_i32 s8, s8, s7
	s_waitcnt lgkmcnt(0)
	s_ashr_i32 s25, s24, 31
	s_cmpk_lg_i32 s12, 0x71
	s_cselect_b64 s[22:23], -1, 0
	s_add_i32 s9, s14, s9
	s_lshl_b64 s[8:9], s[8:9], 3
	s_lshl_b64 s[30:31], s[30:31], 3
	s_add_u32 s8, s8, s30
	s_addc_u32 s9, s9, s31
	s_add_u32 s8, s28, s8
	v_lshlrev_b32_e32 v5, 3, v0
	s_addc_u32 s9, s29, s9
	v_mov_b32_e32 v1, s9
	v_add_co_u32_e32 v2, vcc, s8, v5
	v_addc_co_u32_e32 v3, vcc, 0, v1, vcc
	v_add_co_u32_e32 v1, vcc, 4, v2
	s_lshl_b64 s[8:9], s[24:25], 3
	v_addc_co_u32_e32 v2, vcc, 0, v3, vcc
	v_mov_b32_e32 v6, s9
	v_mov_b32_e32 v7, v5
	s_mov_b32 s9, s26
	s_branch .LBB154_3
.LBB154_2:                              ;   in Loop: Header=BB154_3 Depth=1
	global_load_dword v3, v[1:2], off offset:-4
	s_add_i32 s9, s9, -1
	v_add_co_u32_e32 v1, vcc, s8, v1
	v_addc_co_u32_e32 v2, vcc, v2, v6, vcc
	s_cmp_eq_u32 s9, 0
	s_waitcnt vmcnt(0)
	ds_write_b64 v7, v[3:4]
	v_add_u32_e32 v7, 0xa0, v7
	s_cbranch_scc1 .LBB154_7
.LBB154_3:                              ; =>This Inner Loop Header: Depth=1
	s_mov_b64 s[24:25], -1
	s_and_b64 vcc, exec, s[22:23]
                                        ; implicit-def: $vgpr4
	s_cbranch_vccz .LBB154_5
; %bb.4:                                ;   in Loop: Header=BB154_3 Depth=1
	global_load_dword v4, v[1:2], off
	s_mov_b64 s[24:25], 0
.LBB154_5:                              ;   in Loop: Header=BB154_3 Depth=1
	s_andn2_b64 vcc, exec, s[24:25]
	s_cbranch_vccnz .LBB154_2
; %bb.6:                                ;   in Loop: Header=BB154_3 Depth=1
	global_load_dword v3, v[1:2], off
	s_waitcnt vmcnt(0)
	v_xor_b32_e32 v4, 0x80000000, v3
	s_branch .LBB154_2
.LBB154_7:
	s_cmpk_lg_i32 s13, 0x84
	v_mul_u32_u24_e32 v6, 0xa0, v0
	s_mov_b64 s[8:9], -1
	s_cbranch_scc0 .LBB154_13
; %bb.8:
	v_add_u32_e32 v7, v5, v6
	ds_read_b64 v[1:2], v7
                                        ; implicit-def: $vgpr3
	s_waitcnt lgkmcnt(0)
	v_cmp_ngt_f32_e64 s[8:9], |v1|, |v2|
	s_and_saveexec_b64 s[22:23], s[8:9]
	s_xor_b64 s[8:9], exec, s[22:23]
	s_cbranch_execz .LBB154_10
; %bb.9:
	v_div_scale_f32 v3, s[22:23], v2, v2, v1
	v_div_scale_f32 v4, vcc, v1, v2, v1
	v_rcp_f32_e32 v8, v3
	v_fma_f32 v9, -v3, v8, 1.0
	v_fmac_f32_e32 v8, v9, v8
	v_mul_f32_e32 v9, v4, v8
	v_fma_f32 v10, -v3, v9, v4
	v_fmac_f32_e32 v9, v10, v8
	v_fma_f32 v3, -v3, v9, v4
	v_div_fmas_f32 v3, v3, v8, v9
	v_div_fixup_f32 v3, v3, v2, v1
	v_fmac_f32_e32 v2, v1, v3
	v_div_scale_f32 v1, s[22:23], v2, v2, 1.0
	v_div_scale_f32 v4, vcc, 1.0, v2, 1.0
	v_rcp_f32_e32 v8, v1
	v_fma_f32 v9, -v1, v8, 1.0
	v_fmac_f32_e32 v8, v9, v8
	v_mul_f32_e32 v9, v4, v8
	v_fma_f32 v10, -v1, v9, v4
	v_fmac_f32_e32 v9, v10, v8
	v_fma_f32 v1, -v1, v9, v4
	v_div_fmas_f32 v1, v1, v8, v9
	v_add_f32_e32 v4, 0, v3
	v_fma_f32 v8, v3, 0, -1.0
	v_div_fixup_f32 v1, v1, v2, 1.0
	v_mul_f32_e32 v3, v4, v1
	v_mul_f32_e32 v4, v8, v1
                                        ; implicit-def: $vgpr1_vgpr2
.LBB154_10:
	s_andn2_saveexec_b64 s[8:9], s[8:9]
	s_cbranch_execz .LBB154_12
; %bb.11:
	v_div_scale_f32 v3, s[22:23], v1, v1, v2
	v_div_scale_f32 v4, vcc, v2, v1, v2
	v_rcp_f32_e32 v8, v3
	v_fma_f32 v9, -v3, v8, 1.0
	v_fmac_f32_e32 v8, v9, v8
	v_mul_f32_e32 v9, v4, v8
	v_fma_f32 v10, -v3, v9, v4
	v_fmac_f32_e32 v9, v10, v8
	v_fma_f32 v3, -v3, v9, v4
	v_div_fmas_f32 v3, v3, v8, v9
	v_div_fixup_f32 v4, v3, v1, v2
	v_fmac_f32_e32 v1, v2, v4
	v_div_scale_f32 v2, s[22:23], v1, v1, 1.0
	v_div_scale_f32 v3, vcc, 1.0, v1, 1.0
	v_rcp_f32_e32 v8, v2
	v_fma_f32 v9, -v2, v8, 1.0
	v_fmac_f32_e32 v8, v9, v8
	v_mul_f32_e32 v9, v3, v8
	v_fma_f32 v10, -v2, v9, v3
	v_fmac_f32_e32 v9, v10, v8
	v_fma_f32 v2, -v2, v9, v3
	v_div_fmas_f32 v2, v2, v8, v9
	v_fma_f32 v3, v4, 0, 1.0
	v_div_fixup_f32 v1, v2, v1, 1.0
	v_mul_f32_e32 v3, v3, v1
	v_mul_f32_e64 v4, -v4, v1
.LBB154_12:
	s_or_b64 exec, exec, s[8:9]
	s_mov_b64 s[8:9], 0
	ds_write_b64 v7, v[3:4]
.LBB154_13:
	s_and_b64 vcc, exec, s[8:9]
	s_cbranch_vccz .LBB154_15
; %bb.14:
	v_add_u32_e32 v3, v5, v6
	v_mov_b32_e32 v1, 1.0
	v_mov_b32_e32 v2, 0
	ds_write_b64 v3, v[1:2]
.LBB154_15:
	s_or_b64 exec, exec, s[20:21]
	s_mul_i32 s8, s6, 0xffffffec
	s_add_i32 s27, s27, -1
	s_add_i32 s8, s15, s8
	s_cmp_ge_u32 s6, s27
	s_cselect_b32 s8, s8, 20
	v_cmp_gt_i32_e32 vcc, s8, v0
	s_waitcnt lgkmcnt(0)
	; wave barrier
	s_and_saveexec_b64 s[8:9], vcc
	s_cbranch_execz .LBB154_58
; %bb.16:
	s_load_dwordx2 s[8:9], s[4:5], 0x58
	s_load_dword s13, s[4:5], 0x50
	s_waitcnt lgkmcnt(0)
	s_mul_i32 s5, s9, s7
	s_mul_hi_u32 s9, s8, s7
	s_mul_i32 s4, s8, s7
	v_mad_u64_u32 v[0:1], s[6:7], s6, 20, v[0:1]
	s_add_i32 s5, s9, s5
	s_lshl_b64 s[4:5], s[4:5], 3
	v_mad_i64_i32 v[0:1], s[6:7], s13, v0, 0
	s_add_u32 s8, s10, s4
	s_addc_u32 s9, s11, s5
	s_lshl_b64 s[6:7], s[18:19], 3
	s_add_u32 s8, s8, s6
	v_lshlrev_b64 v[0:1], 3, v[0:1]
	s_addc_u32 s9, s9, s7
	v_mov_b32_e32 v2, s9
	v_add_co_u32_e32 v6, vcc, s8, v0
	v_addc_co_u32_e32 v7, vcc, v2, v1, vcc
	s_cmpk_eq_i32 s12, 0x6f
	s_mov_b64 s[8:9], -1
	s_cbranch_scc1 .LBB154_38
; %bb.17:
	s_add_u32 s8, s10, s6
	s_addc_u32 s9, s11, s7
	s_add_u32 s8, s8, s4
	s_addc_u32 s9, s9, s5
	v_mov_b32_e32 v2, s9
	v_add_co_u32_e32 v3, vcc, s8, v0
	v_addc_co_u32_e32 v2, vcc, v2, v1, vcc
	v_add_co_u32_e32 v8, vcc, 4, v3
	s_mov_b32 s9, 0
	v_addc_co_u32_e32 v9, vcc, 0, v2, vcc
	s_mov_b32 s12, s9
	s_mov_b32 s14, s9
	s_branch .LBB154_19
.LBB154_18:                             ;   in Loop: Header=BB154_19 Depth=1
	s_cmp_ge_i32 s14, s26
	s_cselect_b64 s[18:19], -1, 0
	s_add_i32 s12, s12, 1
	s_cmp_eq_u32 s12, 3
	s_cselect_b64 s[20:21], -1, 0
	s_or_b64 s[18:19], s[18:19], s[20:21]
	s_andn2_b64 vcc, exec, s[18:19]
	s_cbranch_vccz .LBB154_37
.LBB154_19:                             ; =>This Loop Header: Depth=1
                                        ;     Child Loop BB154_22 Depth 2
                                        ;       Child Loop BB154_23 Depth 3
                                        ;       Child Loop BB154_26 Depth 3
                                        ;         Child Loop BB154_27 Depth 4
                                        ;       Child Loop BB154_31 Depth 3
                                        ;         Child Loop BB154_33 Depth 4
	s_mov_b32 s13, s9
	s_lshl_b64 s[18:19], s[12:13], 2
	s_getpc_b64 s[20:21]
	s_add_u32 s20, s20, __const._ZL30rocblas_trsm_small_left_deviceILi20ELi20ELb0E19rocblas_complex_numIfES1_PKS1_PS1_Ev13rocblas_fill_18rocblas_operation_17rocblas_diagonal_iiT3_T4_lilT5_lili.step_sizes@rel32@lo+4
	s_addc_u32 s21, s21, __const._ZL30rocblas_trsm_small_left_deviceILi20ELi20ELb0E19rocblas_complex_numIfES1_PKS1_PS1_Ev13rocblas_fill_18rocblas_operation_17rocblas_diagonal_iiT3_T4_lilT5_lili.step_sizes@rel32@hi+12
	s_add_u32 s18, s20, s18
	s_addc_u32 s19, s21, s19
	s_load_dword s18, s[18:19], 0x0
	s_waitcnt lgkmcnt(0)
	s_add_i32 s13, s18, -1
	s_add_i32 s8, s13, s14
	s_cmp_ge_i32 s8, s26
	s_cbranch_scc1 .LBB154_18
; %bb.20:                               ;   in Loop: Header=BB154_19 Depth=1
	s_ashr_i32 s15, s14, 31
	s_lshl_b64 s[20:21], s[14:15], 3
	v_mov_b32_e32 v3, s21
	v_add_co_u32_e32 v2, vcc, s20, v8
	s_ashr_i32 s19, s18, 31
	s_max_i32 s27, s18, 1
	v_addc_co_u32_e32 v3, vcc, v9, v3, vcc
	s_lshl_b64 s[20:21], s[18:19], 3
	s_mul_i32 s15, s14, 0xa0
	s_mul_i32 s19, s18, 0xa0
	;; [unrolled: 1-line block ×4, first 2 shown]
	s_branch .LBB154_22
.LBB154_21:                             ;   in Loop: Header=BB154_22 Depth=2
	s_add_i32 s14, s14, s18
	s_add_i32 s8, s13, s14
	v_mov_b32_e32 v4, s21
	s_add_i32 s15, s15, s19
	s_add_i32 s28, s28, s29
	v_add_co_u32_e32 v2, vcc, s20, v2
	s_cmp_ge_i32 s8, s26
	v_addc_co_u32_e32 v3, vcc, v3, v4, vcc
	s_cbranch_scc1 .LBB154_18
.LBB154_22:                             ;   Parent Loop BB154_19 Depth=1
                                        ; =>  This Loop Header: Depth=2
                                        ;       Child Loop BB154_23 Depth 3
                                        ;       Child Loop BB154_26 Depth 3
                                        ;         Child Loop BB154_27 Depth 4
                                        ;       Child Loop BB154_31 Depth 3
                                        ;         Child Loop BB154_33 Depth 4
	v_mov_b32_e32 v5, v3
	s_mov_b32 s8, 0
	v_mov_b32_e32 v4, v2
	s_mov_b32 s22, s27
.LBB154_23:                             ;   Parent Loop BB154_19 Depth=1
                                        ;     Parent Loop BB154_22 Depth=2
                                        ; =>    This Inner Loop Header: Depth=3
	global_load_dwordx2 v[10:11], v[4:5], off offset:-4
	v_mov_b32_e32 v12, s8
	s_add_i32 s22, s22, -1
	v_add_co_u32_e32 v4, vcc, 8, v4
	s_add_i32 s8, s8, 8
	v_addc_co_u32_e32 v5, vcc, 0, v5, vcc
	s_cmp_eq_u32 s22, 0
	s_waitcnt vmcnt(0)
	v_mul_f32_e32 v13, s17, v11
	v_mul_f32_e32 v11, s16, v11
	v_fma_f32 v13, v10, s16, -v13
	v_fmac_f32_e32 v11, s17, v10
	buffer_store_dword v13, v12, s[0:3], 0 offen
	buffer_store_dword v11, v12, s[0:3], 0 offen offset:4
	s_cbranch_scc0 .LBB154_23
; %bb.24:                               ;   in Loop: Header=BB154_22 Depth=2
	s_cmp_lt_i32 s14, 1
	s_cbranch_scc1 .LBB154_29
; %bb.25:                               ;   in Loop: Header=BB154_22 Depth=2
	s_mov_b32 s8, 0
	s_mov_b32 s22, s15
.LBB154_26:                             ;   Parent Loop BB154_19 Depth=1
                                        ;     Parent Loop BB154_22 Depth=2
                                        ; =>    This Loop Header: Depth=3
                                        ;         Child Loop BB154_27 Depth 4
	s_lshl_b64 s[24:25], s[8:9], 3
	v_mov_b32_e32 v5, s25
	v_add_co_u32_e32 v4, vcc, s24, v6
	v_addc_co_u32_e32 v5, vcc, v7, v5, vcc
	global_load_dwordx2 v[4:5], v[4:5], off
	s_mov_b32 s23, 0
	s_mov_b32 s24, s22
	;; [unrolled: 1-line block ×3, first 2 shown]
.LBB154_27:                             ;   Parent Loop BB154_19 Depth=1
                                        ;     Parent Loop BB154_22 Depth=2
                                        ;       Parent Loop BB154_26 Depth=3
                                        ; =>      This Inner Loop Header: Depth=4
	v_mov_b32_e32 v12, s23
	buffer_load_dword v13, v12, s[0:3], 0 offen
	buffer_load_dword v14, v12, s[0:3], 0 offen offset:4
	v_mov_b32_e32 v10, s24
	ds_read_b64 v[10:11], v10
	s_add_i32 s25, s25, -1
	s_addk_i32 s24, 0xa0
	s_add_i32 s23, s23, 8
	s_cmp_eq_u32 s25, 0
	s_waitcnt vmcnt(2) lgkmcnt(0)
	v_mul_f32_e32 v15, v11, v5
	v_mul_f32_e32 v11, v11, v4
	v_fma_f32 v15, v10, v4, -v15
	v_fmac_f32_e32 v11, v10, v5
	s_waitcnt vmcnt(1)
	v_sub_f32_e32 v10, v13, v15
	s_waitcnt vmcnt(0)
	v_sub_f32_e32 v11, v14, v11
	buffer_store_dword v10, v12, s[0:3], 0 offen
	buffer_store_dword v11, v12, s[0:3], 0 offen offset:4
	s_cbranch_scc0 .LBB154_27
; %bb.28:                               ;   in Loop: Header=BB154_26 Depth=3
	s_add_i32 s8, s8, 1
	s_add_i32 s22, s22, 8
	s_cmp_eq_u32 s8, s14
	s_cbranch_scc0 .LBB154_26
.LBB154_29:                             ;   in Loop: Header=BB154_22 Depth=2
	s_mov_b32 s8, 0
	s_mov_b32 s30, s28
	s_branch .LBB154_31
.LBB154_30:                             ;   in Loop: Header=BB154_31 Depth=3
	s_mul_i32 s23, s22, 0xa8
	v_mov_b32_e32 v10, s23
	ds_read_b64 v[10:11], v10
	s_lshl_b32 s23, s8, 3
	v_mov_b32_e32 v14, s23
	s_ashr_i32 s23, s22, 31
	s_lshl_b64 s[22:23], s[22:23], 3
	s_waitcnt vmcnt(0) lgkmcnt(0)
	v_mul_f32_e32 v12, v11, v5
	v_mul_f32_e32 v13, v10, v5
	v_fma_f32 v12, v10, v4, -v12
	v_fmac_f32_e32 v13, v11, v4
	v_mov_b32_e32 v5, s23
	v_add_co_u32_e32 v4, vcc, s22, v6
	s_add_i32 s8, s8, 1
	s_addk_i32 s30, 0xa0
	v_addc_co_u32_e32 v5, vcc, v7, v5, vcc
	s_cmp_eq_u32 s8, s27
	buffer_store_dword v12, v14, s[0:3], 0 offen
	buffer_store_dword v13, v14, s[0:3], 0 offen offset:4
	global_store_dwordx2 v[4:5], v[12:13], off
	s_cbranch_scc1 .LBB154_21
.LBB154_31:                             ;   Parent Loop BB154_19 Depth=1
                                        ;     Parent Loop BB154_22 Depth=2
                                        ; =>    This Loop Header: Depth=3
                                        ;         Child Loop BB154_33 Depth 4
	s_cmp_lg_u32 s8, 0
	s_cbranch_scc0 .LBB154_35
; %bb.32:                               ;   in Loop: Header=BB154_31 Depth=3
	s_lshl_b32 s22, s8, 3
	v_mov_b32_e32 v10, s22
	buffer_load_dword v4, v10, s[0:3], 0 offen
	buffer_load_dword v5, v10, s[0:3], 0 offen offset:4
	s_add_i32 s22, s8, s14
	s_mov_b32 s23, 0
	s_mov_b32 s24, s30
	;; [unrolled: 1-line block ×3, first 2 shown]
.LBB154_33:                             ;   Parent Loop BB154_19 Depth=1
                                        ;     Parent Loop BB154_22 Depth=2
                                        ;       Parent Loop BB154_31 Depth=3
                                        ; =>      This Inner Loop Header: Depth=4
	v_mov_b32_e32 v11, s23
	buffer_load_dword v13, v11, s[0:3], 0 offen offset:4
	buffer_load_dword v14, v11, s[0:3], 0 offen
	v_mov_b32_e32 v11, s24
	ds_read_b64 v[11:12], v11
	s_add_i32 s25, s25, -1
	s_add_i32 s23, s23, 8
	s_add_i32 s24, s24, 8
	s_cmp_eq_u32 s25, 0
	s_waitcnt vmcnt(1) lgkmcnt(0)
	v_mul_f32_e32 v15, v12, v13
	v_mul_f32_e32 v13, v11, v13
	s_waitcnt vmcnt(0)
	v_fma_f32 v11, v11, v14, -v15
	v_fmac_f32_e32 v13, v12, v14
	v_sub_f32_e32 v4, v4, v11
	v_sub_f32_e32 v5, v5, v13
	buffer_store_dword v4, v10, s[0:3], 0 offen
	buffer_store_dword v5, v10, s[0:3], 0 offen offset:4
	s_cbranch_scc0 .LBB154_33
; %bb.34:                               ;   in Loop: Header=BB154_31 Depth=3
	s_branch .LBB154_30
.LBB154_35:                             ;   in Loop: Header=BB154_31 Depth=3
                                        ; implicit-def: $vgpr4
                                        ; implicit-def: $vgpr5
                                        ; implicit-def: $sgpr22
	s_cbranch_execz .LBB154_30
; %bb.36:                               ;   in Loop: Header=BB154_31 Depth=3
	buffer_load_dword v4, off, s[0:3], 0
	buffer_load_dword v5, off, s[0:3], 0 offset:4
	s_mov_b32 s22, s14
	s_branch .LBB154_30
.LBB154_37:
	s_mov_b64 s[8:9], 0
.LBB154_38:
	s_and_b64 vcc, exec, s[8:9]
	s_cbranch_vccz .LBB154_58
; %bb.39:
	s_add_i32 s14, s26, -1
	s_add_u32 s6, s10, s6
	s_addc_u32 s7, s11, s7
	s_add_u32 s4, s6, s4
	s_addc_u32 s5, s7, s5
	v_mov_b32_e32 v2, s5
	v_add_co_u32_e32 v0, vcc, s4, v0
	v_addc_co_u32_e32 v1, vcc, v2, v1, vcc
	v_add_co_u32_e32 v2, vcc, 4, v0
	s_mul_i32 s15, s26, 0xa0
	s_mov_b32 s5, 0
	v_addc_co_u32_e32 v3, vcc, 0, v1, vcc
	s_addk_i32 s15, 0xff60
	s_mov_b32 s6, s14
	s_mov_b32 s4, s5
	s_branch .LBB154_41
.LBB154_40:                             ;   in Loop: Header=BB154_41 Depth=1
	s_cmp_lt_i32 s6, 0
	s_cselect_b64 s[8:9], -1, 0
	s_add_i32 s4, s4, 1
	s_cmp_eq_u32 s4, 3
	s_cselect_b64 s[10:11], -1, 0
	s_or_b64 s[8:9], s[8:9], s[10:11]
	s_and_b64 vcc, exec, s[8:9]
	s_cbranch_vccnz .LBB154_58
.LBB154_41:                             ; =>This Loop Header: Depth=1
                                        ;     Child Loop BB154_44 Depth 2
                                        ;       Child Loop BB154_45 Depth 3
                                        ;       Child Loop BB154_47 Depth 3
                                        ;         Child Loop BB154_48 Depth 4
                                        ;       Child Loop BB154_52 Depth 3
                                        ;         Child Loop BB154_54 Depth 4
	s_lshl_b64 s[8:9], s[4:5], 2
	s_getpc_b64 s[10:11]
	s_add_u32 s10, s10, __const._ZL30rocblas_trsm_small_left_deviceILi20ELi20ELb0E19rocblas_complex_numIfES1_PKS1_PS1_Ev13rocblas_fill_18rocblas_operation_17rocblas_diagonal_iiT3_T4_lilT5_lili.step_sizes@rel32@lo+4
	s_addc_u32 s11, s11, __const._ZL30rocblas_trsm_small_left_deviceILi20ELi20ELb0E19rocblas_complex_numIfES1_PKS1_PS1_Ev13rocblas_fill_18rocblas_operation_17rocblas_diagonal_iiT3_T4_lilT5_lili.step_sizes@rel32@hi+12
	s_add_u32 s8, s10, s8
	s_addc_u32 s9, s11, s9
	s_load_dword s18, s[8:9], 0x0
	s_waitcnt lgkmcnt(0)
	s_add_i32 s19, s18, -1
	s_cmp_lt_i32 s6, s19
	s_cbranch_scc1 .LBB154_40
; %bb.42:                               ;   in Loop: Header=BB154_41 Depth=1
	s_lshl_b32 s7, s6, 3
	s_add_i32 s21, s15, s7
	s_lshl_b32 s7, s18, 3
	s_max_i32 s20, s18, 1
	s_sub_i32 s22, 0, s7
	s_mul_i32 s23, s6, 0xa8
	s_mul_i32 s24, s18, 0xffffff58
	s_branch .LBB154_44
.LBB154_43:                             ;   in Loop: Header=BB154_44 Depth=2
	s_sub_i32 s6, s6, s18
	s_add_i32 s21, s21, s22
	s_add_i32 s23, s23, s24
	s_cmp_lt_i32 s6, s19
	s_cbranch_scc1 .LBB154_40
.LBB154_44:                             ;   Parent Loop BB154_41 Depth=1
                                        ; =>  This Loop Header: Depth=2
                                        ;       Child Loop BB154_45 Depth 3
                                        ;       Child Loop BB154_47 Depth 3
                                        ;         Child Loop BB154_48 Depth 4
                                        ;       Child Loop BB154_52 Depth 3
                                        ;         Child Loop BB154_54 Depth 4
	s_ashr_i32 s7, s6, 31
	s_lshl_b64 s[8:9], s[6:7], 3
	v_mov_b32_e32 v1, s9
	v_add_co_u32_e32 v0, vcc, s8, v2
	v_addc_co_u32_e32 v1, vcc, v3, v1, vcc
	s_mov_b32 s8, 0
	s_mov_b32 s9, s20
.LBB154_45:                             ;   Parent Loop BB154_41 Depth=1
                                        ;     Parent Loop BB154_44 Depth=2
                                        ; =>    This Inner Loop Header: Depth=3
	global_load_dwordx2 v[4:5], v[0:1], off offset:-4
	v_mov_b32_e32 v8, s8
	s_add_i32 s9, s9, -1
	v_add_co_u32_e32 v0, vcc, -8, v0
	s_add_i32 s8, s8, 8
	v_addc_co_u32_e32 v1, vcc, -1, v1, vcc
	s_cmp_eq_u32 s9, 0
	s_waitcnt vmcnt(0)
	v_mul_f32_e32 v9, s17, v5
	v_mul_f32_e32 v5, s16, v5
	v_fma_f32 v9, v4, s16, -v9
	v_fmac_f32_e32 v5, s17, v4
	buffer_store_dword v9, v8, s[0:3], 0 offen
	buffer_store_dword v5, v8, s[0:3], 0 offen offset:4
	s_cbranch_scc0 .LBB154_45
; %bb.46:                               ;   in Loop: Header=BB154_44 Depth=2
	s_cmp_le_i32 s14, s6
	s_mov_b32 s10, s21
	s_mov_b32 s8, s14
	s_cbranch_scc1 .LBB154_50
.LBB154_47:                             ;   Parent Loop BB154_41 Depth=1
                                        ;     Parent Loop BB154_44 Depth=2
                                        ; =>    This Loop Header: Depth=3
                                        ;         Child Loop BB154_48 Depth 4
	s_ashr_i32 s9, s8, 31
	s_lshl_b64 s[12:13], s[8:9], 3
	v_mov_b32_e32 v1, s13
	v_add_co_u32_e32 v0, vcc, s12, v6
	v_addc_co_u32_e32 v1, vcc, v7, v1, vcc
	global_load_dwordx2 v[0:1], v[0:1], off
	s_mov_b32 s9, 0
	s_mov_b32 s11, s10
	;; [unrolled: 1-line block ×3, first 2 shown]
.LBB154_48:                             ;   Parent Loop BB154_41 Depth=1
                                        ;     Parent Loop BB154_44 Depth=2
                                        ;       Parent Loop BB154_47 Depth=3
                                        ; =>      This Inner Loop Header: Depth=4
	v_mov_b32_e32 v8, s9
	buffer_load_dword v9, v8, s[0:3], 0 offen
	buffer_load_dword v10, v8, s[0:3], 0 offen offset:4
	v_mov_b32_e32 v4, s11
	ds_read_b64 v[4:5], v4
	s_add_i32 s12, s12, -1
	s_add_i32 s11, s11, -8
	s_add_i32 s9, s9, 8
	s_cmp_eq_u32 s12, 0
	s_waitcnt vmcnt(2) lgkmcnt(0)
	v_mul_f32_e32 v11, v5, v1
	v_mul_f32_e32 v5, v5, v0
	v_fma_f32 v11, v4, v0, -v11
	v_fmac_f32_e32 v5, v4, v1
	s_waitcnt vmcnt(1)
	v_sub_f32_e32 v4, v9, v11
	s_waitcnt vmcnt(0)
	v_sub_f32_e32 v5, v10, v5
	buffer_store_dword v4, v8, s[0:3], 0 offen
	buffer_store_dword v5, v8, s[0:3], 0 offen offset:4
	s_cbranch_scc0 .LBB154_48
; %bb.49:                               ;   in Loop: Header=BB154_47 Depth=3
	s_add_i32 s8, s8, -1
	s_addk_i32 s10, 0xff60
	s_cmp_le_i32 s8, s6
	s_cbranch_scc0 .LBB154_47
.LBB154_50:                             ;   in Loop: Header=BB154_44 Depth=2
	s_mov_b32 s25, 0
	s_mov_b32 s26, s23
	s_branch .LBB154_52
.LBB154_51:                             ;   in Loop: Header=BB154_52 Depth=3
	s_mulk_i32 s10, 0xa8
	v_mov_b32_e32 v4, s10
	ds_read_b64 v[4:5], v4
	s_lshl_b64 s[8:9], s[8:9], 3
	s_lshl_b32 s10, s25, 3
	s_add_i32 s25, s25, 1
	s_add_i32 s26, s26, -8
	s_waitcnt vmcnt(0) lgkmcnt(0)
	v_mul_f32_e32 v8, v5, v1
	v_mul_f32_e32 v9, v4, v1
	v_fma_f32 v8, v4, v0, -v8
	v_fmac_f32_e32 v9, v5, v0
	v_mov_b32_e32 v1, s9
	v_add_co_u32_e32 v0, vcc, s8, v6
	v_mov_b32_e32 v10, s10
	v_addc_co_u32_e32 v1, vcc, v7, v1, vcc
	s_cmp_eq_u32 s25, s20
	buffer_store_dword v8, v10, s[0:3], 0 offen
	buffer_store_dword v9, v10, s[0:3], 0 offen offset:4
	global_store_dwordx2 v[0:1], v[8:9], off
	s_cbranch_scc1 .LBB154_43
.LBB154_52:                             ;   Parent Loop BB154_41 Depth=1
                                        ;     Parent Loop BB154_44 Depth=2
                                        ; =>    This Loop Header: Depth=3
                                        ;         Child Loop BB154_54 Depth 4
	s_cmp_lg_u32 s25, 0
	s_cbranch_scc0 .LBB154_56
; %bb.53:                               ;   in Loop: Header=BB154_52 Depth=3
	s_lshl_b32 s8, s25, 3
	v_mov_b32_e32 v4, s8
	buffer_load_dword v0, v4, s[0:3], 0 offen
	buffer_load_dword v1, v4, s[0:3], 0 offen offset:4
	s_mov_b32 s8, 0
	s_mov_b32 s9, s26
	;; [unrolled: 1-line block ×3, first 2 shown]
.LBB154_54:                             ;   Parent Loop BB154_41 Depth=1
                                        ;     Parent Loop BB154_44 Depth=2
                                        ;       Parent Loop BB154_52 Depth=3
                                        ; =>      This Inner Loop Header: Depth=4
	v_mov_b32_e32 v5, s8
	buffer_load_dword v10, v5, s[0:3], 0 offen offset:4
	buffer_load_dword v11, v5, s[0:3], 0 offen
	v_mov_b32_e32 v5, s9
	ds_read_b64 v[8:9], v5
	s_add_i32 s10, s10, -1
	s_addk_i32 s9, 0xff60
	s_add_i32 s8, s8, 8
	s_cmp_eq_u32 s10, 0
	s_waitcnt vmcnt(1) lgkmcnt(0)
	v_mul_f32_e32 v5, v9, v10
	v_mul_f32_e32 v10, v8, v10
	s_waitcnt vmcnt(0)
	v_fma_f32 v5, v8, v11, -v5
	v_fmac_f32_e32 v10, v9, v11
	v_sub_f32_e32 v0, v0, v5
	v_sub_f32_e32 v1, v1, v10
	buffer_store_dword v0, v4, s[0:3], 0 offen
	buffer_store_dword v1, v4, s[0:3], 0 offen offset:4
	s_cbranch_scc0 .LBB154_54
; %bb.55:                               ;   in Loop: Header=BB154_52 Depth=3
	s_sub_i32 s10, s6, s25
	s_ashr_i32 s11, s10, 31
	s_mov_b64 s[8:9], s[10:11]
	s_branch .LBB154_51
.LBB154_56:                             ;   in Loop: Header=BB154_52 Depth=3
                                        ; implicit-def: $vgpr0
                                        ; implicit-def: $vgpr1
                                        ; implicit-def: $sgpr10
                                        ; implicit-def: $sgpr8_sgpr9
	s_cbranch_execz .LBB154_51
; %bb.57:                               ;   in Loop: Header=BB154_52 Depth=3
	buffer_load_dword v0, off, s[0:3], 0
	buffer_load_dword v1, off, s[0:3], 0 offset:4
	s_mov_b64 s[8:9], s[6:7]
	s_mov_b32 s10, s6
	s_branch .LBB154_51
.LBB154_58:
	s_endpgm
	.section	.rodata,"a",@progbits
	.p2align	6, 0x0
	.amdhsa_kernel _ZL30rocblas_trsm_small_left_deviceILi20ELi20ELb0E19rocblas_complex_numIfES1_PKS1_PS1_Ev13rocblas_fill_18rocblas_operation_17rocblas_diagonal_iiT3_T4_lilT5_lili
		.amdhsa_group_segment_fixed_size 3200
		.amdhsa_private_segment_fixed_size 176
		.amdhsa_kernarg_size 360
		.amdhsa_user_sgpr_count 6
		.amdhsa_user_sgpr_private_segment_buffer 1
		.amdhsa_user_sgpr_dispatch_ptr 0
		.amdhsa_user_sgpr_queue_ptr 0
		.amdhsa_user_sgpr_kernarg_segment_ptr 1
		.amdhsa_user_sgpr_dispatch_id 0
		.amdhsa_user_sgpr_flat_scratch_init 0
		.amdhsa_user_sgpr_private_segment_size 0
		.amdhsa_uses_dynamic_stack 0
		.amdhsa_system_sgpr_private_segment_wavefront_offset 1
		.amdhsa_system_sgpr_workgroup_id_x 1
		.amdhsa_system_sgpr_workgroup_id_y 0
		.amdhsa_system_sgpr_workgroup_id_z 1
		.amdhsa_system_sgpr_workgroup_info 0
		.amdhsa_system_vgpr_workitem_id 0
		.amdhsa_next_free_vgpr 41
		.amdhsa_next_free_sgpr 98
		.amdhsa_reserve_vcc 1
		.amdhsa_reserve_flat_scratch 0
		.amdhsa_float_round_mode_32 0
		.amdhsa_float_round_mode_16_64 0
		.amdhsa_float_denorm_mode_32 3
		.amdhsa_float_denorm_mode_16_64 3
		.amdhsa_dx10_clamp 1
		.amdhsa_ieee_mode 1
		.amdhsa_fp16_overflow 0
		.amdhsa_exception_fp_ieee_invalid_op 0
		.amdhsa_exception_fp_denorm_src 0
		.amdhsa_exception_fp_ieee_div_zero 0
		.amdhsa_exception_fp_ieee_overflow 0
		.amdhsa_exception_fp_ieee_underflow 0
		.amdhsa_exception_fp_ieee_inexact 0
		.amdhsa_exception_int_div_zero 0
	.end_amdhsa_kernel
	.section	.text._ZL30rocblas_trsm_small_left_deviceILi20ELi20ELb0E19rocblas_complex_numIfES1_PKS1_PS1_Ev13rocblas_fill_18rocblas_operation_17rocblas_diagonal_iiT3_T4_lilT5_lili,"axG",@progbits,_ZL30rocblas_trsm_small_left_deviceILi20ELi20ELb0E19rocblas_complex_numIfES1_PKS1_PS1_Ev13rocblas_fill_18rocblas_operation_17rocblas_diagonal_iiT3_T4_lilT5_lili,comdat
.Lfunc_end154:
	.size	_ZL30rocblas_trsm_small_left_deviceILi20ELi20ELb0E19rocblas_complex_numIfES1_PKS1_PS1_Ev13rocblas_fill_18rocblas_operation_17rocblas_diagonal_iiT3_T4_lilT5_lili, .Lfunc_end154-_ZL30rocblas_trsm_small_left_deviceILi20ELi20ELb0E19rocblas_complex_numIfES1_PKS1_PS1_Ev13rocblas_fill_18rocblas_operation_17rocblas_diagonal_iiT3_T4_lilT5_lili
                                        ; -- End function
	.set _ZL30rocblas_trsm_small_left_deviceILi20ELi20ELb0E19rocblas_complex_numIfES1_PKS1_PS1_Ev13rocblas_fill_18rocblas_operation_17rocblas_diagonal_iiT3_T4_lilT5_lili.num_vgpr, 16
	.set _ZL30rocblas_trsm_small_left_deviceILi20ELi20ELb0E19rocblas_complex_numIfES1_PKS1_PS1_Ev13rocblas_fill_18rocblas_operation_17rocblas_diagonal_iiT3_T4_lilT5_lili.num_agpr, 0
	.set _ZL30rocblas_trsm_small_left_deviceILi20ELi20ELb0E19rocblas_complex_numIfES1_PKS1_PS1_Ev13rocblas_fill_18rocblas_operation_17rocblas_diagonal_iiT3_T4_lilT5_lili.numbered_sgpr, 32
	.set _ZL30rocblas_trsm_small_left_deviceILi20ELi20ELb0E19rocblas_complex_numIfES1_PKS1_PS1_Ev13rocblas_fill_18rocblas_operation_17rocblas_diagonal_iiT3_T4_lilT5_lili.num_named_barrier, 0
	.set _ZL30rocblas_trsm_small_left_deviceILi20ELi20ELb0E19rocblas_complex_numIfES1_PKS1_PS1_Ev13rocblas_fill_18rocblas_operation_17rocblas_diagonal_iiT3_T4_lilT5_lili.private_seg_size, 176
	.set _ZL30rocblas_trsm_small_left_deviceILi20ELi20ELb0E19rocblas_complex_numIfES1_PKS1_PS1_Ev13rocblas_fill_18rocblas_operation_17rocblas_diagonal_iiT3_T4_lilT5_lili.uses_vcc, 1
	.set _ZL30rocblas_trsm_small_left_deviceILi20ELi20ELb0E19rocblas_complex_numIfES1_PKS1_PS1_Ev13rocblas_fill_18rocblas_operation_17rocblas_diagonal_iiT3_T4_lilT5_lili.uses_flat_scratch, 0
	.set _ZL30rocblas_trsm_small_left_deviceILi20ELi20ELb0E19rocblas_complex_numIfES1_PKS1_PS1_Ev13rocblas_fill_18rocblas_operation_17rocblas_diagonal_iiT3_T4_lilT5_lili.has_dyn_sized_stack, 0
	.set _ZL30rocblas_trsm_small_left_deviceILi20ELi20ELb0E19rocblas_complex_numIfES1_PKS1_PS1_Ev13rocblas_fill_18rocblas_operation_17rocblas_diagonal_iiT3_T4_lilT5_lili.has_recursion, 0
	.set _ZL30rocblas_trsm_small_left_deviceILi20ELi20ELb0E19rocblas_complex_numIfES1_PKS1_PS1_Ev13rocblas_fill_18rocblas_operation_17rocblas_diagonal_iiT3_T4_lilT5_lili.has_indirect_call, 0
	.section	.AMDGPU.csdata,"",@progbits
; Kernel info:
; codeLenInByte = 2540
; TotalNumSgprs: 36
; NumVgprs: 16
; ScratchSize: 176
; MemoryBound: 0
; FloatMode: 240
; IeeeMode: 1
; LDSByteSize: 3200 bytes/workgroup (compile time only)
; SGPRBlocks: 12
; VGPRBlocks: 10
; NumSGPRsForWavesPerEU: 102
; NumVGPRsForWavesPerEU: 41
; Occupancy: 5
; WaveLimiterHint : 0
; COMPUTE_PGM_RSRC2:SCRATCH_EN: 1
; COMPUTE_PGM_RSRC2:USER_SGPR: 6
; COMPUTE_PGM_RSRC2:TRAP_HANDLER: 0
; COMPUTE_PGM_RSRC2:TGID_X_EN: 1
; COMPUTE_PGM_RSRC2:TGID_Y_EN: 0
; COMPUTE_PGM_RSRC2:TGID_Z_EN: 1
; COMPUTE_PGM_RSRC2:TIDIG_COMP_CNT: 0
	.section	.text._ZL38rocblas_trsm_small_left_device_sharedBILi20ELi20ELb1E19rocblas_complex_numIfES1_PKS1_PS1_Ev13rocblas_fill_18rocblas_operation_17rocblas_diagonal_iiT3_T4_lilT5_lili,"axG",@progbits,_ZL38rocblas_trsm_small_left_device_sharedBILi20ELi20ELb1E19rocblas_complex_numIfES1_PKS1_PS1_Ev13rocblas_fill_18rocblas_operation_17rocblas_diagonal_iiT3_T4_lilT5_lili,comdat
	.globl	_ZL38rocblas_trsm_small_left_device_sharedBILi20ELi20ELb1E19rocblas_complex_numIfES1_PKS1_PS1_Ev13rocblas_fill_18rocblas_operation_17rocblas_diagonal_iiT3_T4_lilT5_lili ; -- Begin function _ZL38rocblas_trsm_small_left_device_sharedBILi20ELi20ELb1E19rocblas_complex_numIfES1_PKS1_PS1_Ev13rocblas_fill_18rocblas_operation_17rocblas_diagonal_iiT3_T4_lilT5_lili
	.p2align	8
	.type	_ZL38rocblas_trsm_small_left_device_sharedBILi20ELi20ELb1E19rocblas_complex_numIfES1_PKS1_PS1_Ev13rocblas_fill_18rocblas_operation_17rocblas_diagonal_iiT3_T4_lilT5_lili,@function
_ZL38rocblas_trsm_small_left_device_sharedBILi20ELi20ELb1E19rocblas_complex_numIfES1_PKS1_PS1_Ev13rocblas_fill_18rocblas_operation_17rocblas_diagonal_iiT3_T4_lilT5_lili: ; @_ZL38rocblas_trsm_small_left_device_sharedBILi20ELi20ELb1E19rocblas_complex_numIfES1_PKS1_PS1_Ev13rocblas_fill_18rocblas_operation_17rocblas_diagonal_iiT3_T4_lilT5_lili
; %bb.0:
	s_add_u32 s0, s0, s8
	s_load_dwordx4 s[12:15], s[4:5], 0x4
	s_load_dwordx2 s[18:19], s[4:5], 0x14
	s_load_dwordx4 s[8:11], s[4:5], 0x38
	s_load_dwordx2 s[16:17], s[4:5], 0x48
	s_load_dword s27, s[4:5], 0x68
	s_addc_u32 s1, s1, 0
	s_waitcnt lgkmcnt(0)
	s_min_i32 s26, s14, 20
	v_cmp_gt_i32_e32 vcc, s26, v0
	s_and_saveexec_b64 s[20:21], vcc
	s_cbranch_execz .LBB155_15
; %bb.1:
	s_load_dword s24, s[4:5], 0x30
	s_load_dwordx4 s[28:31], s[4:5], 0x20
	s_mul_i32 s9, s9, s7
	s_mul_hi_u32 s33, s8, s7
	s_mul_i32 s8, s8, s7
	s_waitcnt lgkmcnt(0)
	s_ashr_i32 s25, s24, 31
	s_cmpk_lg_i32 s12, 0x71
	s_cselect_b64 s[22:23], -1, 0
	s_add_i32 s9, s33, s9
	s_lshl_b64 s[8:9], s[8:9], 3
	s_lshl_b64 s[30:31], s[30:31], 3
	s_add_u32 s8, s8, s30
	s_addc_u32 s9, s9, s31
	s_add_u32 s8, s28, s8
	v_lshlrev_b32_e32 v5, 3, v0
	s_addc_u32 s9, s29, s9
	v_mov_b32_e32 v1, s9
	v_add_co_u32_e32 v2, vcc, s8, v5
	v_addc_co_u32_e32 v3, vcc, 0, v1, vcc
	v_add_co_u32_e32 v1, vcc, 4, v2
	s_lshl_b64 s[8:9], s[24:25], 3
	v_addc_co_u32_e32 v2, vcc, 0, v3, vcc
	v_mov_b32_e32 v6, s9
	v_mov_b32_e32 v7, v5
	s_mov_b32 s9, s26
	s_branch .LBB155_3
.LBB155_2:                              ;   in Loop: Header=BB155_3 Depth=1
	global_load_dword v3, v[1:2], off offset:-4
	s_add_i32 s9, s9, -1
	v_add_co_u32_e32 v1, vcc, s8, v1
	v_addc_co_u32_e32 v2, vcc, v2, v6, vcc
	s_cmp_eq_u32 s9, 0
	s_waitcnt vmcnt(0)
	ds_write_b64 v7, v[3:4]
	v_add_u32_e32 v7, 0xa0, v7
	s_cbranch_scc1 .LBB155_7
.LBB155_3:                              ; =>This Inner Loop Header: Depth=1
	s_mov_b64 s[24:25], -1
	s_and_b64 vcc, exec, s[22:23]
                                        ; implicit-def: $vgpr4
	s_cbranch_vccz .LBB155_5
; %bb.4:                                ;   in Loop: Header=BB155_3 Depth=1
	global_load_dword v4, v[1:2], off
	s_mov_b64 s[24:25], 0
.LBB155_5:                              ;   in Loop: Header=BB155_3 Depth=1
	s_andn2_b64 vcc, exec, s[24:25]
	s_cbranch_vccnz .LBB155_2
; %bb.6:                                ;   in Loop: Header=BB155_3 Depth=1
	global_load_dword v3, v[1:2], off
	s_waitcnt vmcnt(0)
	v_xor_b32_e32 v4, 0x80000000, v3
	s_branch .LBB155_2
.LBB155_7:
	v_mul_u32_u24_e32 v1, 0xa0, v0
	s_cmpk_lg_i32 s13, 0x84
	s_mov_b64 s[8:9], -1
	v_add_u32_e32 v5, v5, v1
	s_cbranch_scc0 .LBB155_13
; %bb.8:
	ds_read_b64 v[1:2], v5
                                        ; implicit-def: $vgpr3
	s_waitcnt lgkmcnt(0)
	v_cmp_ngt_f32_e64 s[8:9], |v1|, |v2|
	s_and_saveexec_b64 s[22:23], s[8:9]
	s_xor_b64 s[8:9], exec, s[22:23]
	s_cbranch_execz .LBB155_10
; %bb.9:
	v_div_scale_f32 v3, s[22:23], v2, v2, v1
	v_div_scale_f32 v4, vcc, v1, v2, v1
	v_rcp_f32_e32 v6, v3
	v_fma_f32 v7, -v3, v6, 1.0
	v_fmac_f32_e32 v6, v7, v6
	v_mul_f32_e32 v7, v4, v6
	v_fma_f32 v8, -v3, v7, v4
	v_fmac_f32_e32 v7, v8, v6
	v_fma_f32 v3, -v3, v7, v4
	v_div_fmas_f32 v3, v3, v6, v7
	v_div_fixup_f32 v3, v3, v2, v1
	v_fmac_f32_e32 v2, v1, v3
	v_div_scale_f32 v1, s[22:23], v2, v2, 1.0
	v_div_scale_f32 v4, vcc, 1.0, v2, 1.0
	v_rcp_f32_e32 v6, v1
	v_fma_f32 v7, -v1, v6, 1.0
	v_fmac_f32_e32 v6, v7, v6
	v_mul_f32_e32 v7, v4, v6
	v_fma_f32 v8, -v1, v7, v4
	v_fmac_f32_e32 v7, v8, v6
	v_fma_f32 v1, -v1, v7, v4
	v_div_fmas_f32 v1, v1, v6, v7
	v_add_f32_e32 v4, 0, v3
	v_fma_f32 v6, v3, 0, -1.0
	v_div_fixup_f32 v1, v1, v2, 1.0
	v_mul_f32_e32 v3, v4, v1
	v_mul_f32_e32 v4, v6, v1
                                        ; implicit-def: $vgpr1_vgpr2
.LBB155_10:
	s_andn2_saveexec_b64 s[8:9], s[8:9]
	s_cbranch_execz .LBB155_12
; %bb.11:
	v_div_scale_f32 v3, s[22:23], v1, v1, v2
	v_div_scale_f32 v4, vcc, v2, v1, v2
	v_rcp_f32_e32 v6, v3
	v_fma_f32 v7, -v3, v6, 1.0
	v_fmac_f32_e32 v6, v7, v6
	v_mul_f32_e32 v7, v4, v6
	v_fma_f32 v8, -v3, v7, v4
	v_fmac_f32_e32 v7, v8, v6
	v_fma_f32 v3, -v3, v7, v4
	v_div_fmas_f32 v3, v3, v6, v7
	v_div_fixup_f32 v4, v3, v1, v2
	v_fmac_f32_e32 v1, v2, v4
	v_div_scale_f32 v2, s[22:23], v1, v1, 1.0
	v_div_scale_f32 v3, vcc, 1.0, v1, 1.0
	v_rcp_f32_e32 v6, v2
	v_fma_f32 v7, -v2, v6, 1.0
	v_fmac_f32_e32 v6, v7, v6
	v_mul_f32_e32 v7, v3, v6
	v_fma_f32 v8, -v2, v7, v3
	v_fmac_f32_e32 v7, v8, v6
	v_fma_f32 v2, -v2, v7, v3
	v_div_fmas_f32 v2, v2, v6, v7
	v_fma_f32 v3, v4, 0, 1.0
	v_div_fixup_f32 v1, v2, v1, 1.0
	v_mul_f32_e32 v3, v3, v1
	v_mul_f32_e64 v4, -v4, v1
.LBB155_12:
	s_or_b64 exec, exec, s[8:9]
	s_mov_b64 s[8:9], 0
	ds_write_b64 v5, v[3:4]
.LBB155_13:
	s_and_b64 vcc, exec, s[8:9]
	s_cbranch_vccz .LBB155_15
; %bb.14:
	v_mov_b32_e32 v1, 1.0
	v_mov_b32_e32 v2, 0
	ds_write_b64 v5, v[1:2]
.LBB155_15:
	s_or_b64 exec, exec, s[20:21]
	s_load_dword s22, s[4:5], 0x50
	s_load_dwordx2 s[8:9], s[4:5], 0x58
	s_add_i32 s27, s27, -1
	s_waitcnt lgkmcnt(0)
	s_ashr_i32 s13, s22, 31
	s_mul_i32 s4, s9, s7
	s_mul_hi_u32 s5, s8, s7
	s_add_i32 s9, s5, s4
	s_mul_i32 s4, s6, 0xffffffec
	s_add_i32 s4, s15, s4
	s_cmp_ge_u32 s6, s27
	s_mul_i32 s6, s6, 20
	s_mul_i32 s8, s8, s7
	s_cselect_b32 s4, s4, 20
	s_ashr_i32 s7, s6, 31
	s_cmp_gt_i32 s14, 0
	v_cmp_gt_i32_e64 s[4:5], s4, v0
	s_cselect_b64 s[14:15], -1, 0
	s_and_b64 s[24:25], s[4:5], s[14:15]
	s_and_saveexec_b64 s[20:21], s[24:25]
	s_cbranch_execz .LBB155_18
; %bb.16:
	v_lshlrev_b32_e32 v3, 3, v0
	s_lshl_b64 s[28:29], s[6:7], 3
	s_lshl_b64 s[24:25], s[8:9], 3
	v_mov_b32_e32 v1, s29
	v_add_co_u32_e32 v4, vcc, s28, v3
	s_lshl_b64 s[28:29], s[16:17], 3
	s_add_u32 s7, s10, s28
	s_addc_u32 s23, s11, s29
	s_add_u32 s24, s7, s24
	v_addc_co_u32_e32 v5, vcc, 0, v1, vcc
	s_addc_u32 s25, s23, s25
	v_mov_b32_e32 v1, s24
	v_mov_b32_e32 v2, s25
	v_mad_u64_u32 v[1:2], s[24:25], v4, s22, v[1:2]
	v_mul_lo_u32 v4, v4, s13
	v_mul_lo_u32 v5, v5, s22
	v_add_co_u32_e32 v1, vcc, 4, v1
	v_add_u32_e32 v3, 0xc80, v3
	v_add3_u32 v2, v5, v2, v4
	v_addc_co_u32_e32 v2, vcc, 0, v2, vcc
	s_mov_b32 s7, s26
.LBB155_17:                             ; =>This Inner Loop Header: Depth=1
	global_load_dwordx2 v[4:5], v[1:2], off offset:-4
	s_add_i32 s7, s7, -1
	v_add_co_u32_e32 v1, vcc, 8, v1
	v_addc_co_u32_e32 v2, vcc, 0, v2, vcc
	s_cmp_lg_u32 s7, 0
	s_waitcnt vmcnt(0)
	v_mul_f32_e32 v7, s19, v5
	v_mul_f32_e32 v6, s18, v5
	v_fma_f32 v5, s18, v4, -v7
	v_fmac_f32_e32 v6, s19, v4
	ds_write_b64 v3, v[5:6]
	v_add_u32_e32 v3, 0xa0, v3
	s_cbranch_scc1 .LBB155_17
.LBB155_18:
	s_or_b64 exec, exec, s[20:21]
	v_mov_b32_e32 v1, 0xc80
	s_cmpk_eq_i32 s12, 0x6f
	v_lshl_add_u32 v3, v0, 3, v1
	s_mov_b64 s[12:13], -1
	s_waitcnt lgkmcnt(0)
	; wave barrier
	s_cbranch_scc1 .LBB155_39
; %bb.19:
	s_add_i32 s7, s26, -1
	s_lshl_b32 s20, s26, 3
	s_mov_b32 s13, 0
	s_add_i32 s20, s20, -8
	s_mov_b32 s12, s13
	s_mov_b32 s21, s7
	s_branch .LBB155_21
.LBB155_20:                             ;   in Loop: Header=BB155_21 Depth=1
	s_cmp_lt_i32 s21, 0
	s_cselect_b64 s[18:19], -1, 0
	s_add_i32 s12, s12, 1
	s_cmp_eq_u32 s12, 3
	s_cselect_b64 s[24:25], -1, 0
	s_or_b64 s[18:19], s[18:19], s[24:25]
	s_andn2_b64 vcc, exec, s[18:19]
	s_cbranch_vccz .LBB155_38
.LBB155_21:                             ; =>This Loop Header: Depth=1
                                        ;     Child Loop BB155_24 Depth 2
                                        ;       Child Loop BB155_25 Depth 3
                                        ;       Child Loop BB155_27 Depth 3
                                        ;         Child Loop BB155_28 Depth 4
                                        ;       Child Loop BB155_32 Depth 3
                                        ;         Child Loop BB155_34 Depth 4
	s_lshl_b64 s[18:19], s[12:13], 2
	s_getpc_b64 s[24:25]
	s_add_u32 s24, s24, __const._ZL38rocblas_trsm_small_left_device_sharedBILi20ELi20ELb1E19rocblas_complex_numIfES1_PKS1_PS1_Ev13rocblas_fill_18rocblas_operation_17rocblas_diagonal_iiT3_T4_lilT5_lili.step_sizes@rel32@lo+4
	s_addc_u32 s25, s25, __const._ZL38rocblas_trsm_small_left_device_sharedBILi20ELi20ELb1E19rocblas_complex_numIfES1_PKS1_PS1_Ev13rocblas_fill_18rocblas_operation_17rocblas_diagonal_iiT3_T4_lilT5_lili.step_sizes@rel32@hi+12
	s_add_u32 s18, s24, s18
	s_addc_u32 s19, s25, s19
	s_load_dword s23, s[18:19], 0x0
	s_waitcnt lgkmcnt(0)
	s_add_i32 s24, s23, -1
	s_cmp_lt_i32 s21, s24
	s_cbranch_scc1 .LBB155_20
; %bb.22:                               ;   in Loop: Header=BB155_21 Depth=1
	s_mul_i32 s18, s21, 0xa0
	s_max_i32 s25, s23, 1
	v_add_u32_e32 v4, s18, v3
	s_mul_i32 s27, s23, 0xffffff60
	s_add_i32 s28, s20, s18
	s_mul_i32 s29, s21, 0xa8
	s_mul_i32 s30, s23, 0xffffff58
	s_branch .LBB155_24
.LBB155_23:                             ;   in Loop: Header=BB155_24 Depth=2
	s_sub_i32 s21, s21, s23
	s_add_i32 s28, s28, s27
	s_add_i32 s29, s29, s30
	s_cmp_lt_i32 s21, s24
	v_add_u32_e32 v4, s27, v4
	s_cbranch_scc1 .LBB155_20
.LBB155_24:                             ;   Parent Loop BB155_21 Depth=1
                                        ; =>  This Loop Header: Depth=2
                                        ;       Child Loop BB155_25 Depth 3
                                        ;       Child Loop BB155_27 Depth 3
                                        ;         Child Loop BB155_28 Depth 4
                                        ;       Child Loop BB155_32 Depth 3
                                        ;         Child Loop BB155_34 Depth 4
	s_mov_b32 s18, 0
	v_mov_b32_e32 v1, v4
	s_mov_b32 s19, s25
.LBB155_25:                             ;   Parent Loop BB155_21 Depth=1
                                        ;     Parent Loop BB155_24 Depth=2
                                        ; =>    This Inner Loop Header: Depth=3
	ds_read_b64 v[5:6], v1
	v_mov_b32_e32 v2, s18
	s_add_i32 s19, s19, -1
	s_add_i32 s18, s18, 8
	v_add_u32_e32 v1, 0xffffff60, v1
	s_cmp_eq_u32 s19, 0
	s_waitcnt lgkmcnt(0)
	buffer_store_dword v6, v2, s[0:3], 0 offen offset:4
	buffer_store_dword v5, v2, s[0:3], 0 offen
	s_cbranch_scc0 .LBB155_25
; %bb.26:                               ;   in Loop: Header=BB155_24 Depth=2
	s_cmp_le_i32 s7, s21
	s_mov_b32 s18, s28
	s_mov_b32 s19, s7
	s_cbranch_scc1 .LBB155_30
.LBB155_27:                             ;   Parent Loop BB155_21 Depth=1
                                        ;     Parent Loop BB155_24 Depth=2
                                        ; =>    This Loop Header: Depth=3
                                        ;         Child Loop BB155_28 Depth 4
	s_mul_i32 s31, s19, 0xa0
	v_add_u32_e32 v1, s31, v3
	ds_read_b64 v[1:2], v1
	s_mov_b32 s31, 0
	s_mov_b32 s33, s18
	;; [unrolled: 1-line block ×3, first 2 shown]
.LBB155_28:                             ;   Parent Loop BB155_21 Depth=1
                                        ;     Parent Loop BB155_24 Depth=2
                                        ;       Parent Loop BB155_27 Depth=3
                                        ; =>      This Inner Loop Header: Depth=4
	v_mov_b32_e32 v7, s31
	buffer_load_dword v8, v7, s[0:3], 0 offen
	buffer_load_dword v9, v7, s[0:3], 0 offen offset:4
	v_mov_b32_e32 v5, s33
	ds_read_b64 v[5:6], v5
	s_add_i32 s34, s34, -1
	s_addk_i32 s33, 0xff60
	s_add_i32 s31, s31, 8
	s_cmp_eq_u32 s34, 0
	s_waitcnt lgkmcnt(0)
	v_mul_f32_e32 v10, v6, v2
	v_mul_f32_e32 v6, v6, v1
	v_fma_f32 v10, v5, v1, -v10
	v_fmac_f32_e32 v6, v5, v2
	s_waitcnt vmcnt(1)
	v_sub_f32_e32 v5, v8, v10
	s_waitcnt vmcnt(0)
	v_sub_f32_e32 v6, v9, v6
	buffer_store_dword v5, v7, s[0:3], 0 offen
	buffer_store_dword v6, v7, s[0:3], 0 offen offset:4
	s_cbranch_scc0 .LBB155_28
; %bb.29:                               ;   in Loop: Header=BB155_27 Depth=3
	s_add_i32 s19, s19, -1
	s_add_i32 s18, s18, -8
	s_cmp_le_i32 s19, s21
	s_cbranch_scc0 .LBB155_27
.LBB155_30:                             ;   in Loop: Header=BB155_24 Depth=2
	s_mul_i32 s31, s21, 0xa0
	s_mov_b32 s33, 0
	s_mov_b32 s34, s29
	s_branch .LBB155_32
.LBB155_31:                             ;   in Loop: Header=BB155_32 Depth=3
	s_mul_i32 s18, s36, 0xa8
	v_mov_b32_e32 v5, s18
	ds_read_b64 v[5:6], v5
	s_lshl_b32 s18, s33, 3
	s_add_i32 s33, s33, 1
	s_addk_i32 s34, 0xff60
	v_mov_b32_e32 v9, s18
	s_waitcnt vmcnt(0) lgkmcnt(0)
	v_mul_f32_e32 v7, v6, v2
	v_mul_f32_e32 v8, v5, v2
	v_fma_f32 v7, v5, v1, -v7
	v_fmac_f32_e32 v8, v6, v1
	v_add_u32_e32 v1, s35, v3
	s_cmp_eq_u32 s33, s25
	buffer_store_dword v7, v9, s[0:3], 0 offen
	buffer_store_dword v8, v9, s[0:3], 0 offen offset:4
	ds_write_b64 v1, v[7:8]
	s_cbranch_scc1 .LBB155_23
.LBB155_32:                             ;   Parent Loop BB155_21 Depth=1
                                        ;     Parent Loop BB155_24 Depth=2
                                        ; =>    This Loop Header: Depth=3
                                        ;         Child Loop BB155_34 Depth 4
	s_cmp_lg_u32 s33, 0
	s_cbranch_scc0 .LBB155_36
; %bb.33:                               ;   in Loop: Header=BB155_32 Depth=3
	s_lshl_b32 s18, s33, 3
	v_mov_b32_e32 v5, s18
	buffer_load_dword v1, v5, s[0:3], 0 offen
	buffer_load_dword v2, v5, s[0:3], 0 offen offset:4
	s_sub_i32 s36, s21, s33
	s_mul_i32 s35, s36, 0xa0
	s_mov_b32 s18, 0
	s_mov_b32 s19, s34
	;; [unrolled: 1-line block ×3, first 2 shown]
.LBB155_34:                             ;   Parent Loop BB155_21 Depth=1
                                        ;     Parent Loop BB155_24 Depth=2
                                        ;       Parent Loop BB155_32 Depth=3
                                        ; =>      This Inner Loop Header: Depth=4
	v_mov_b32_e32 v6, s18
	buffer_load_dword v8, v6, s[0:3], 0 offen offset:4
	buffer_load_dword v9, v6, s[0:3], 0 offen
	v_mov_b32_e32 v6, s19
	ds_read_b64 v[6:7], v6
	s_add_i32 s37, s37, -1
	s_add_i32 s19, s19, -8
	s_add_i32 s18, s18, 8
	s_cmp_eq_u32 s37, 0
	s_waitcnt vmcnt(1) lgkmcnt(0)
	v_mul_f32_e32 v10, v7, v8
	v_mul_f32_e32 v8, v6, v8
	s_waitcnt vmcnt(0)
	v_fma_f32 v6, v6, v9, -v10
	v_fmac_f32_e32 v8, v7, v9
	v_sub_f32_e32 v1, v1, v6
	v_sub_f32_e32 v2, v2, v8
	buffer_store_dword v1, v5, s[0:3], 0 offen
	buffer_store_dword v2, v5, s[0:3], 0 offen offset:4
	s_cbranch_scc0 .LBB155_34
; %bb.35:                               ;   in Loop: Header=BB155_32 Depth=3
	s_branch .LBB155_31
.LBB155_36:                             ;   in Loop: Header=BB155_32 Depth=3
                                        ; implicit-def: $vgpr1
                                        ; implicit-def: $vgpr2
                                        ; implicit-def: $sgpr36
                                        ; implicit-def: $sgpr35
	s_cbranch_execz .LBB155_31
; %bb.37:                               ;   in Loop: Header=BB155_32 Depth=3
	buffer_load_dword v1, off, s[0:3], 0
	buffer_load_dword v2, off, s[0:3], 0 offset:4
	s_mov_b32 s35, s31
	s_mov_b32 s36, s21
	s_branch .LBB155_31
.LBB155_38:
	s_mov_b64 s[12:13], 0
.LBB155_39:
	s_and_b64 vcc, exec, s[12:13]
	s_cbranch_vccz .LBB155_60
; %bb.40:
	v_mov_b32_e32 v1, 0xc80
	s_mov_b32 s13, 0
	v_lshl_add_u32 v4, v0, 3, v1
	s_mov_b32 s12, s13
	s_mov_b32 s7, s13
	s_branch .LBB155_42
.LBB155_41:                             ;   in Loop: Header=BB155_42 Depth=1
	s_cmp_ge_i32 s7, s26
	s_cselect_b64 s[18:19], -1, 0
	s_add_i32 s12, s12, 1
	s_cmp_eq_u32 s12, 3
	s_cselect_b64 s[20:21], -1, 0
	s_or_b64 s[18:19], s[18:19], s[20:21]
	s_and_b64 vcc, exec, s[18:19]
	s_cbranch_vccnz .LBB155_60
.LBB155_42:                             ; =>This Loop Header: Depth=1
                                        ;     Child Loop BB155_45 Depth 2
                                        ;       Child Loop BB155_46 Depth 3
                                        ;       Child Loop BB155_49 Depth 3
                                        ;         Child Loop BB155_50 Depth 4
                                        ;       Child Loop BB155_54 Depth 3
                                        ;         Child Loop BB155_56 Depth 4
	s_lshl_b64 s[18:19], s[12:13], 2
	s_getpc_b64 s[20:21]
	s_add_u32 s20, s20, __const._ZL38rocblas_trsm_small_left_device_sharedBILi20ELi20ELb1E19rocblas_complex_numIfES1_PKS1_PS1_Ev13rocblas_fill_18rocblas_operation_17rocblas_diagonal_iiT3_T4_lilT5_lili.step_sizes@rel32@lo+4
	s_addc_u32 s21, s21, __const._ZL38rocblas_trsm_small_left_device_sharedBILi20ELi20ELb1E19rocblas_complex_numIfES1_PKS1_PS1_Ev13rocblas_fill_18rocblas_operation_17rocblas_diagonal_iiT3_T4_lilT5_lili.step_sizes@rel32@hi+12
	s_add_u32 s18, s20, s18
	s_addc_u32 s19, s21, s19
	s_load_dword s20, s[18:19], 0x0
	s_waitcnt lgkmcnt(0)
	s_add_i32 s21, s20, -1
	s_add_i32 s18, s21, s7
	s_cmp_ge_i32 s18, s26
	s_cbranch_scc1 .LBB155_41
; %bb.43:                               ;   in Loop: Header=BB155_42 Depth=1
	s_mul_i32 s18, s7, 0xa0
	s_max_i32 s23, s20, 1
	v_add_u32_e32 v5, s18, v4
	s_mul_i32 s24, s20, 0xa0
	s_lshl_b32 s25, s7, 3
	s_lshl_b32 s27, s20, 3
	s_mul_i32 s28, s7, 0xa8
	s_mul_i32 s29, s20, 0xa8
	s_branch .LBB155_45
.LBB155_44:                             ;   in Loop: Header=BB155_45 Depth=2
	s_add_i32 s7, s7, s20
	s_add_i32 s18, s21, s7
	;; [unrolled: 1-line block ×4, first 2 shown]
	s_cmp_ge_i32 s18, s26
	v_add_u32_e32 v5, s24, v5
	s_cbranch_scc1 .LBB155_41
.LBB155_45:                             ;   Parent Loop BB155_42 Depth=1
                                        ; =>  This Loop Header: Depth=2
                                        ;       Child Loop BB155_46 Depth 3
                                        ;       Child Loop BB155_49 Depth 3
                                        ;         Child Loop BB155_50 Depth 4
                                        ;       Child Loop BB155_54 Depth 3
                                        ;         Child Loop BB155_56 Depth 4
	s_mov_b32 s18, 0
	v_mov_b32_e32 v1, v5
	s_mov_b32 s19, s23
.LBB155_46:                             ;   Parent Loop BB155_42 Depth=1
                                        ;     Parent Loop BB155_45 Depth=2
                                        ; =>    This Inner Loop Header: Depth=3
	ds_read_b64 v[6:7], v1
	v_mov_b32_e32 v2, s18
	s_add_i32 s19, s19, -1
	s_add_i32 s18, s18, 8
	v_add_u32_e32 v1, 0xa0, v1
	s_cmp_eq_u32 s19, 0
	s_waitcnt lgkmcnt(0)
	buffer_store_dword v7, v2, s[0:3], 0 offen offset:4
	buffer_store_dword v6, v2, s[0:3], 0 offen
	s_cbranch_scc0 .LBB155_46
; %bb.47:                               ;   in Loop: Header=BB155_45 Depth=2
	s_cmp_lt_i32 s7, 1
	s_cbranch_scc1 .LBB155_52
; %bb.48:                               ;   in Loop: Header=BB155_45 Depth=2
	s_mov_b32 s18, 0
	s_mov_b32 s19, s25
.LBB155_49:                             ;   Parent Loop BB155_42 Depth=1
                                        ;     Parent Loop BB155_45 Depth=2
                                        ; =>    This Loop Header: Depth=3
                                        ;         Child Loop BB155_50 Depth 4
	s_mul_i32 s30, s18, 0xa0
	v_add_u32_e32 v1, s30, v3
	ds_read_b64 v[1:2], v1
	s_mov_b32 s30, 0
	s_mov_b32 s31, s19
	;; [unrolled: 1-line block ×3, first 2 shown]
.LBB155_50:                             ;   Parent Loop BB155_42 Depth=1
                                        ;     Parent Loop BB155_45 Depth=2
                                        ;       Parent Loop BB155_49 Depth=3
                                        ; =>      This Inner Loop Header: Depth=4
	v_mov_b32_e32 v8, s30
	buffer_load_dword v9, v8, s[0:3], 0 offen
	buffer_load_dword v10, v8, s[0:3], 0 offen offset:4
	v_mov_b32_e32 v6, s31
	ds_read_b64 v[6:7], v6
	s_add_i32 s33, s33, -1
	s_add_i32 s31, s31, 8
	s_add_i32 s30, s30, 8
	s_cmp_eq_u32 s33, 0
	s_waitcnt lgkmcnt(0)
	v_mul_f32_e32 v11, v7, v2
	v_mul_f32_e32 v7, v7, v1
	v_fma_f32 v11, v6, v1, -v11
	v_fmac_f32_e32 v7, v6, v2
	s_waitcnt vmcnt(1)
	v_sub_f32_e32 v6, v9, v11
	s_waitcnt vmcnt(0)
	v_sub_f32_e32 v7, v10, v7
	buffer_store_dword v6, v8, s[0:3], 0 offen
	buffer_store_dword v7, v8, s[0:3], 0 offen offset:4
	s_cbranch_scc0 .LBB155_50
; %bb.51:                               ;   in Loop: Header=BB155_49 Depth=3
	s_add_i32 s18, s18, 1
	s_addk_i32 s19, 0xa0
	s_cmp_eq_u32 s18, s7
	s_cbranch_scc0 .LBB155_49
.LBB155_52:                             ;   in Loop: Header=BB155_45 Depth=2
	s_mov_b32 s30, 0
	s_mov_b32 s31, s28
	s_branch .LBB155_54
.LBB155_53:                             ;   in Loop: Header=BB155_54 Depth=3
	s_add_i32 s18, s30, s7
	s_mul_i32 s19, s18, 0xa8
	v_mov_b32_e32 v6, s19
	ds_read_b64 v[6:7], v6
	s_lshl_b32 s19, s30, 3
	s_mulk_i32 s18, 0xa0
	s_add_i32 s30, s30, 1
	s_add_i32 s31, s31, 8
	s_waitcnt vmcnt(0) lgkmcnt(0)
	v_mul_f32_e32 v8, v7, v2
	v_mul_f32_e32 v9, v6, v2
	v_mov_b32_e32 v10, s19
	v_fma_f32 v8, v6, v1, -v8
	v_fmac_f32_e32 v9, v7, v1
	v_add_u32_e32 v1, s18, v3
	s_cmp_eq_u32 s30, s23
	buffer_store_dword v8, v10, s[0:3], 0 offen
	buffer_store_dword v9, v10, s[0:3], 0 offen offset:4
	ds_write_b64 v1, v[8:9]
	s_cbranch_scc1 .LBB155_44
.LBB155_54:                             ;   Parent Loop BB155_42 Depth=1
                                        ;     Parent Loop BB155_45 Depth=2
                                        ; =>    This Loop Header: Depth=3
                                        ;         Child Loop BB155_56 Depth 4
	s_cmp_lg_u32 s30, 0
	s_cbranch_scc0 .LBB155_58
; %bb.55:                               ;   in Loop: Header=BB155_54 Depth=3
	s_lshl_b32 s18, s30, 3
	v_mov_b32_e32 v6, s18
	buffer_load_dword v1, v6, s[0:3], 0 offen
	buffer_load_dword v2, v6, s[0:3], 0 offen offset:4
	s_mov_b32 s18, 0
	s_mov_b32 s19, s31
	;; [unrolled: 1-line block ×3, first 2 shown]
.LBB155_56:                             ;   Parent Loop BB155_42 Depth=1
                                        ;     Parent Loop BB155_45 Depth=2
                                        ;       Parent Loop BB155_54 Depth=3
                                        ; =>      This Inner Loop Header: Depth=4
	v_mov_b32_e32 v7, s18
	buffer_load_dword v9, v7, s[0:3], 0 offen offset:4
	buffer_load_dword v10, v7, s[0:3], 0 offen
	v_mov_b32_e32 v7, s19
	ds_read_b64 v[7:8], v7
	s_add_i32 s33, s33, -1
	s_addk_i32 s19, 0xa0
	s_add_i32 s18, s18, 8
	s_cmp_eq_u32 s33, 0
	s_waitcnt vmcnt(1) lgkmcnt(0)
	v_mul_f32_e32 v11, v8, v9
	v_mul_f32_e32 v9, v7, v9
	s_waitcnt vmcnt(0)
	v_fma_f32 v7, v7, v10, -v11
	v_fmac_f32_e32 v9, v8, v10
	v_sub_f32_e32 v1, v1, v7
	v_sub_f32_e32 v2, v2, v9
	buffer_store_dword v1, v6, s[0:3], 0 offen
	buffer_store_dword v2, v6, s[0:3], 0 offen offset:4
	s_cbranch_scc0 .LBB155_56
; %bb.57:                               ;   in Loop: Header=BB155_54 Depth=3
	s_branch .LBB155_53
.LBB155_58:                             ;   in Loop: Header=BB155_54 Depth=3
                                        ; implicit-def: $vgpr1
                                        ; implicit-def: $vgpr2
	s_cbranch_execz .LBB155_53
; %bb.59:                               ;   in Loop: Header=BB155_54 Depth=3
	buffer_load_dword v1, off, s[0:3], 0
	buffer_load_dword v2, off, s[0:3], 0 offset:4
	s_branch .LBB155_53
.LBB155_60:
	s_waitcnt lgkmcnt(0)
	; wave barrier
	s_and_saveexec_b64 s[12:13], s[4:5]
	s_cbranch_execz .LBB155_64
; %bb.61:
	s_andn2_b64 vcc, exec, s[14:15]
	s_cbranch_vccnz .LBB155_64
; %bb.62:
	s_lshl_b64 s[4:5], s[8:9], 3
	s_add_u32 s7, s10, s4
	s_addc_u32 s8, s11, s5
	s_lshl_b64 s[4:5], s[16:17], 3
	s_add_u32 s9, s7, s4
	s_addc_u32 s8, s8, s5
	s_mul_hi_i32 s5, s22, s6
	s_mul_i32 s4, s22, s6
	v_mad_i64_i32 v[1:2], s[6:7], s22, v0, 0
	s_lshl_b64 s[4:5], s[4:5], 3
	s_add_u32 s4, s9, s4
	v_lshlrev_b64 v[1:2], 3, v[1:2]
	s_addc_u32 s5, s8, s5
	v_mov_b32_e32 v3, s5
	v_add_co_u32_e32 v1, vcc, s4, v1
	v_addc_co_u32_e32 v2, vcc, v3, v2, vcc
	v_mov_b32_e32 v3, 0xc80
	v_lshl_add_u32 v0, v0, 3, v3
.LBB155_63:                             ; =>This Inner Loop Header: Depth=1
	ds_read_b64 v[3:4], v0
	s_add_i32 s26, s26, -1
	v_add_u32_e32 v0, 0xa0, v0
	s_cmp_lg_u32 s26, 0
	s_waitcnt lgkmcnt(0)
	global_store_dwordx2 v[1:2], v[3:4], off
	v_add_co_u32_e32 v1, vcc, 8, v1
	v_addc_co_u32_e32 v2, vcc, 0, v2, vcc
	s_cbranch_scc1 .LBB155_63
.LBB155_64:
	s_endpgm
	.section	.rodata,"a",@progbits
	.p2align	6, 0x0
	.amdhsa_kernel _ZL38rocblas_trsm_small_left_device_sharedBILi20ELi20ELb1E19rocblas_complex_numIfES1_PKS1_PS1_Ev13rocblas_fill_18rocblas_operation_17rocblas_diagonal_iiT3_T4_lilT5_lili
		.amdhsa_group_segment_fixed_size 6400
		.amdhsa_private_segment_fixed_size 176
		.amdhsa_kernarg_size 360
		.amdhsa_user_sgpr_count 6
		.amdhsa_user_sgpr_private_segment_buffer 1
		.amdhsa_user_sgpr_dispatch_ptr 0
		.amdhsa_user_sgpr_queue_ptr 0
		.amdhsa_user_sgpr_kernarg_segment_ptr 1
		.amdhsa_user_sgpr_dispatch_id 0
		.amdhsa_user_sgpr_flat_scratch_init 0
		.amdhsa_user_sgpr_private_segment_size 0
		.amdhsa_uses_dynamic_stack 0
		.amdhsa_system_sgpr_private_segment_wavefront_offset 1
		.amdhsa_system_sgpr_workgroup_id_x 1
		.amdhsa_system_sgpr_workgroup_id_y 0
		.amdhsa_system_sgpr_workgroup_id_z 1
		.amdhsa_system_sgpr_workgroup_info 0
		.amdhsa_system_vgpr_workitem_id 0
		.amdhsa_next_free_vgpr 65
		.amdhsa_next_free_sgpr 98
		.amdhsa_reserve_vcc 1
		.amdhsa_reserve_flat_scratch 0
		.amdhsa_float_round_mode_32 0
		.amdhsa_float_round_mode_16_64 0
		.amdhsa_float_denorm_mode_32 3
		.amdhsa_float_denorm_mode_16_64 3
		.amdhsa_dx10_clamp 1
		.amdhsa_ieee_mode 1
		.amdhsa_fp16_overflow 0
		.amdhsa_exception_fp_ieee_invalid_op 0
		.amdhsa_exception_fp_denorm_src 0
		.amdhsa_exception_fp_ieee_div_zero 0
		.amdhsa_exception_fp_ieee_overflow 0
		.amdhsa_exception_fp_ieee_underflow 0
		.amdhsa_exception_fp_ieee_inexact 0
		.amdhsa_exception_int_div_zero 0
	.end_amdhsa_kernel
	.section	.text._ZL38rocblas_trsm_small_left_device_sharedBILi20ELi20ELb1E19rocblas_complex_numIfES1_PKS1_PS1_Ev13rocblas_fill_18rocblas_operation_17rocblas_diagonal_iiT3_T4_lilT5_lili,"axG",@progbits,_ZL38rocblas_trsm_small_left_device_sharedBILi20ELi20ELb1E19rocblas_complex_numIfES1_PKS1_PS1_Ev13rocblas_fill_18rocblas_operation_17rocblas_diagonal_iiT3_T4_lilT5_lili,comdat
.Lfunc_end155:
	.size	_ZL38rocblas_trsm_small_left_device_sharedBILi20ELi20ELb1E19rocblas_complex_numIfES1_PKS1_PS1_Ev13rocblas_fill_18rocblas_operation_17rocblas_diagonal_iiT3_T4_lilT5_lili, .Lfunc_end155-_ZL38rocblas_trsm_small_left_device_sharedBILi20ELi20ELb1E19rocblas_complex_numIfES1_PKS1_PS1_Ev13rocblas_fill_18rocblas_operation_17rocblas_diagonal_iiT3_T4_lilT5_lili
                                        ; -- End function
	.set _ZL38rocblas_trsm_small_left_device_sharedBILi20ELi20ELb1E19rocblas_complex_numIfES1_PKS1_PS1_Ev13rocblas_fill_18rocblas_operation_17rocblas_diagonal_iiT3_T4_lilT5_lili.num_vgpr, 12
	.set _ZL38rocblas_trsm_small_left_device_sharedBILi20ELi20ELb1E19rocblas_complex_numIfES1_PKS1_PS1_Ev13rocblas_fill_18rocblas_operation_17rocblas_diagonal_iiT3_T4_lilT5_lili.num_agpr, 0
	.set _ZL38rocblas_trsm_small_left_device_sharedBILi20ELi20ELb1E19rocblas_complex_numIfES1_PKS1_PS1_Ev13rocblas_fill_18rocblas_operation_17rocblas_diagonal_iiT3_T4_lilT5_lili.numbered_sgpr, 38
	.set _ZL38rocblas_trsm_small_left_device_sharedBILi20ELi20ELb1E19rocblas_complex_numIfES1_PKS1_PS1_Ev13rocblas_fill_18rocblas_operation_17rocblas_diagonal_iiT3_T4_lilT5_lili.num_named_barrier, 0
	.set _ZL38rocblas_trsm_small_left_device_sharedBILi20ELi20ELb1E19rocblas_complex_numIfES1_PKS1_PS1_Ev13rocblas_fill_18rocblas_operation_17rocblas_diagonal_iiT3_T4_lilT5_lili.private_seg_size, 176
	.set _ZL38rocblas_trsm_small_left_device_sharedBILi20ELi20ELb1E19rocblas_complex_numIfES1_PKS1_PS1_Ev13rocblas_fill_18rocblas_operation_17rocblas_diagonal_iiT3_T4_lilT5_lili.uses_vcc, 1
	.set _ZL38rocblas_trsm_small_left_device_sharedBILi20ELi20ELb1E19rocblas_complex_numIfES1_PKS1_PS1_Ev13rocblas_fill_18rocblas_operation_17rocblas_diagonal_iiT3_T4_lilT5_lili.uses_flat_scratch, 0
	.set _ZL38rocblas_trsm_small_left_device_sharedBILi20ELi20ELb1E19rocblas_complex_numIfES1_PKS1_PS1_Ev13rocblas_fill_18rocblas_operation_17rocblas_diagonal_iiT3_T4_lilT5_lili.has_dyn_sized_stack, 0
	.set _ZL38rocblas_trsm_small_left_device_sharedBILi20ELi20ELb1E19rocblas_complex_numIfES1_PKS1_PS1_Ev13rocblas_fill_18rocblas_operation_17rocblas_diagonal_iiT3_T4_lilT5_lili.has_recursion, 0
	.set _ZL38rocblas_trsm_small_left_device_sharedBILi20ELi20ELb1E19rocblas_complex_numIfES1_PKS1_PS1_Ev13rocblas_fill_18rocblas_operation_17rocblas_diagonal_iiT3_T4_lilT5_lili.has_indirect_call, 0
	.section	.AMDGPU.csdata,"",@progbits
; Kernel info:
; codeLenInByte = 2688
; TotalNumSgprs: 42
; NumVgprs: 12
; ScratchSize: 176
; MemoryBound: 0
; FloatMode: 240
; IeeeMode: 1
; LDSByteSize: 6400 bytes/workgroup (compile time only)
; SGPRBlocks: 12
; VGPRBlocks: 16
; NumSGPRsForWavesPerEU: 102
; NumVGPRsForWavesPerEU: 65
; Occupancy: 3
; WaveLimiterHint : 0
; COMPUTE_PGM_RSRC2:SCRATCH_EN: 1
; COMPUTE_PGM_RSRC2:USER_SGPR: 6
; COMPUTE_PGM_RSRC2:TRAP_HANDLER: 0
; COMPUTE_PGM_RSRC2:TGID_X_EN: 1
; COMPUTE_PGM_RSRC2:TGID_Y_EN: 0
; COMPUTE_PGM_RSRC2:TGID_Z_EN: 1
; COMPUTE_PGM_RSRC2:TIDIG_COMP_CNT: 0
	.section	.text._ZL30rocblas_trsm_small_left_deviceILi20ELi20ELb1E19rocblas_complex_numIfES1_PKS1_PS1_Ev13rocblas_fill_18rocblas_operation_17rocblas_diagonal_iiT3_T4_lilT5_lili,"axG",@progbits,_ZL30rocblas_trsm_small_left_deviceILi20ELi20ELb1E19rocblas_complex_numIfES1_PKS1_PS1_Ev13rocblas_fill_18rocblas_operation_17rocblas_diagonal_iiT3_T4_lilT5_lili,comdat
	.globl	_ZL30rocblas_trsm_small_left_deviceILi20ELi20ELb1E19rocblas_complex_numIfES1_PKS1_PS1_Ev13rocblas_fill_18rocblas_operation_17rocblas_diagonal_iiT3_T4_lilT5_lili ; -- Begin function _ZL30rocblas_trsm_small_left_deviceILi20ELi20ELb1E19rocblas_complex_numIfES1_PKS1_PS1_Ev13rocblas_fill_18rocblas_operation_17rocblas_diagonal_iiT3_T4_lilT5_lili
	.p2align	8
	.type	_ZL30rocblas_trsm_small_left_deviceILi20ELi20ELb1E19rocblas_complex_numIfES1_PKS1_PS1_Ev13rocblas_fill_18rocblas_operation_17rocblas_diagonal_iiT3_T4_lilT5_lili,@function
_ZL30rocblas_trsm_small_left_deviceILi20ELi20ELb1E19rocblas_complex_numIfES1_PKS1_PS1_Ev13rocblas_fill_18rocblas_operation_17rocblas_diagonal_iiT3_T4_lilT5_lili: ; @_ZL30rocblas_trsm_small_left_deviceILi20ELi20ELb1E19rocblas_complex_numIfES1_PKS1_PS1_Ev13rocblas_fill_18rocblas_operation_17rocblas_diagonal_iiT3_T4_lilT5_lili
; %bb.0:
	s_add_u32 s0, s0, s8
	s_load_dwordx4 s[12:15], s[4:5], 0x4
	s_load_dwordx2 s[16:17], s[4:5], 0x14
	s_load_dwordx4 s[8:11], s[4:5], 0x38
	s_load_dwordx2 s[18:19], s[4:5], 0x48
	s_load_dword s27, s[4:5], 0x68
	s_addc_u32 s1, s1, 0
	s_waitcnt lgkmcnt(0)
	s_min_i32 s26, s14, 20
	v_cmp_gt_i32_e32 vcc, s26, v0
	s_and_saveexec_b64 s[20:21], vcc
	s_cbranch_execz .LBB156_15
; %bb.1:
	s_load_dword s24, s[4:5], 0x30
	s_load_dwordx4 s[28:31], s[4:5], 0x20
	s_mul_i32 s9, s9, s7
	s_mul_hi_u32 s14, s8, s7
	s_mul_i32 s8, s8, s7
	s_waitcnt lgkmcnt(0)
	s_ashr_i32 s25, s24, 31
	s_cmpk_lg_i32 s12, 0x71
	s_cselect_b64 s[22:23], -1, 0
	s_add_i32 s9, s14, s9
	s_lshl_b64 s[8:9], s[8:9], 3
	s_lshl_b64 s[30:31], s[30:31], 3
	s_add_u32 s8, s8, s30
	s_addc_u32 s9, s9, s31
	s_add_u32 s8, s28, s8
	v_lshlrev_b32_e32 v5, 3, v0
	s_addc_u32 s9, s29, s9
	v_mov_b32_e32 v1, s9
	v_add_co_u32_e32 v2, vcc, s8, v5
	v_addc_co_u32_e32 v3, vcc, 0, v1, vcc
	v_add_co_u32_e32 v1, vcc, 4, v2
	s_lshl_b64 s[8:9], s[24:25], 3
	v_addc_co_u32_e32 v2, vcc, 0, v3, vcc
	v_mov_b32_e32 v6, s9
	v_mov_b32_e32 v7, v5
	s_mov_b32 s9, s26
	s_branch .LBB156_3
.LBB156_2:                              ;   in Loop: Header=BB156_3 Depth=1
	global_load_dword v3, v[1:2], off offset:-4
	s_add_i32 s9, s9, -1
	v_add_co_u32_e32 v1, vcc, s8, v1
	v_addc_co_u32_e32 v2, vcc, v2, v6, vcc
	s_cmp_eq_u32 s9, 0
	s_waitcnt vmcnt(0)
	ds_write_b64 v7, v[3:4]
	v_add_u32_e32 v7, 0xa0, v7
	s_cbranch_scc1 .LBB156_7
.LBB156_3:                              ; =>This Inner Loop Header: Depth=1
	s_mov_b64 s[24:25], -1
	s_and_b64 vcc, exec, s[22:23]
                                        ; implicit-def: $vgpr4
	s_cbranch_vccz .LBB156_5
; %bb.4:                                ;   in Loop: Header=BB156_3 Depth=1
	global_load_dword v4, v[1:2], off
	s_mov_b64 s[24:25], 0
.LBB156_5:                              ;   in Loop: Header=BB156_3 Depth=1
	s_andn2_b64 vcc, exec, s[24:25]
	s_cbranch_vccnz .LBB156_2
; %bb.6:                                ;   in Loop: Header=BB156_3 Depth=1
	global_load_dword v3, v[1:2], off
	s_waitcnt vmcnt(0)
	v_xor_b32_e32 v4, 0x80000000, v3
	s_branch .LBB156_2
.LBB156_7:
	s_cmpk_lg_i32 s13, 0x84
	v_mul_u32_u24_e32 v6, 0xa0, v0
	s_mov_b64 s[8:9], -1
	s_cbranch_scc0 .LBB156_13
; %bb.8:
	v_add_u32_e32 v7, v5, v6
	ds_read_b64 v[1:2], v7
                                        ; implicit-def: $vgpr3
	s_waitcnt lgkmcnt(0)
	v_cmp_ngt_f32_e64 s[8:9], |v1|, |v2|
	s_and_saveexec_b64 s[22:23], s[8:9]
	s_xor_b64 s[8:9], exec, s[22:23]
	s_cbranch_execz .LBB156_10
; %bb.9:
	v_div_scale_f32 v3, s[22:23], v2, v2, v1
	v_div_scale_f32 v4, vcc, v1, v2, v1
	v_rcp_f32_e32 v8, v3
	v_fma_f32 v9, -v3, v8, 1.0
	v_fmac_f32_e32 v8, v9, v8
	v_mul_f32_e32 v9, v4, v8
	v_fma_f32 v10, -v3, v9, v4
	v_fmac_f32_e32 v9, v10, v8
	v_fma_f32 v3, -v3, v9, v4
	v_div_fmas_f32 v3, v3, v8, v9
	v_div_fixup_f32 v3, v3, v2, v1
	v_fmac_f32_e32 v2, v1, v3
	v_div_scale_f32 v1, s[22:23], v2, v2, 1.0
	v_div_scale_f32 v4, vcc, 1.0, v2, 1.0
	v_rcp_f32_e32 v8, v1
	v_fma_f32 v9, -v1, v8, 1.0
	v_fmac_f32_e32 v8, v9, v8
	v_mul_f32_e32 v9, v4, v8
	v_fma_f32 v10, -v1, v9, v4
	v_fmac_f32_e32 v9, v10, v8
	v_fma_f32 v1, -v1, v9, v4
	v_div_fmas_f32 v1, v1, v8, v9
	v_add_f32_e32 v4, 0, v3
	v_fma_f32 v8, v3, 0, -1.0
	v_div_fixup_f32 v1, v1, v2, 1.0
	v_mul_f32_e32 v3, v4, v1
	v_mul_f32_e32 v4, v8, v1
                                        ; implicit-def: $vgpr1_vgpr2
.LBB156_10:
	s_andn2_saveexec_b64 s[8:9], s[8:9]
	s_cbranch_execz .LBB156_12
; %bb.11:
	v_div_scale_f32 v3, s[22:23], v1, v1, v2
	v_div_scale_f32 v4, vcc, v2, v1, v2
	v_rcp_f32_e32 v8, v3
	v_fma_f32 v9, -v3, v8, 1.0
	v_fmac_f32_e32 v8, v9, v8
	v_mul_f32_e32 v9, v4, v8
	v_fma_f32 v10, -v3, v9, v4
	v_fmac_f32_e32 v9, v10, v8
	v_fma_f32 v3, -v3, v9, v4
	v_div_fmas_f32 v3, v3, v8, v9
	v_div_fixup_f32 v4, v3, v1, v2
	v_fmac_f32_e32 v1, v2, v4
	v_div_scale_f32 v2, s[22:23], v1, v1, 1.0
	v_div_scale_f32 v3, vcc, 1.0, v1, 1.0
	v_rcp_f32_e32 v8, v2
	v_fma_f32 v9, -v2, v8, 1.0
	v_fmac_f32_e32 v8, v9, v8
	v_mul_f32_e32 v9, v3, v8
	v_fma_f32 v10, -v2, v9, v3
	v_fmac_f32_e32 v9, v10, v8
	v_fma_f32 v2, -v2, v9, v3
	v_div_fmas_f32 v2, v2, v8, v9
	v_fma_f32 v3, v4, 0, 1.0
	v_div_fixup_f32 v1, v2, v1, 1.0
	v_mul_f32_e32 v3, v3, v1
	v_mul_f32_e64 v4, -v4, v1
.LBB156_12:
	s_or_b64 exec, exec, s[8:9]
	s_mov_b64 s[8:9], 0
	ds_write_b64 v7, v[3:4]
.LBB156_13:
	s_and_b64 vcc, exec, s[8:9]
	s_cbranch_vccz .LBB156_15
; %bb.14:
	v_add_u32_e32 v3, v5, v6
	v_mov_b32_e32 v1, 1.0
	v_mov_b32_e32 v2, 0
	ds_write_b64 v3, v[1:2]
.LBB156_15:
	s_or_b64 exec, exec, s[20:21]
	s_mul_i32 s8, s6, 0xffffffec
	s_add_i32 s27, s27, -1
	s_add_i32 s8, s15, s8
	s_cmp_ge_u32 s6, s27
	s_cselect_b32 s8, s8, 20
	v_cmp_gt_i32_e32 vcc, s8, v0
	s_waitcnt lgkmcnt(0)
	; wave barrier
	s_and_saveexec_b64 s[8:9], vcc
	s_cbranch_execz .LBB156_58
; %bb.16:
	s_load_dwordx2 s[8:9], s[4:5], 0x58
	s_load_dword s13, s[4:5], 0x50
	s_waitcnt lgkmcnt(0)
	s_mul_i32 s5, s9, s7
	s_mul_hi_u32 s9, s8, s7
	s_mul_i32 s4, s8, s7
	v_mad_u64_u32 v[0:1], s[6:7], s6, 20, v[0:1]
	s_add_i32 s5, s9, s5
	s_lshl_b64 s[4:5], s[4:5], 3
	v_mad_i64_i32 v[0:1], s[6:7], s13, v0, 0
	s_add_u32 s8, s10, s4
	s_addc_u32 s9, s11, s5
	s_lshl_b64 s[6:7], s[18:19], 3
	s_add_u32 s8, s8, s6
	v_lshlrev_b64 v[0:1], 3, v[0:1]
	s_addc_u32 s9, s9, s7
	v_mov_b32_e32 v2, s9
	v_add_co_u32_e32 v4, vcc, s8, v0
	v_addc_co_u32_e32 v5, vcc, v2, v1, vcc
	s_cmpk_eq_i32 s12, 0x6f
	s_mov_b64 s[8:9], -1
	s_cbranch_scc1 .LBB156_37
; %bb.17:
	s_add_i32 s22, s26, -1
	s_add_u32 s8, s10, s6
	s_addc_u32 s9, s11, s7
	s_add_u32 s8, s8, s4
	s_addc_u32 s9, s9, s5
	v_mov_b32_e32 v2, s9
	v_add_co_u32_e32 v3, vcc, s8, v0
	v_addc_co_u32_e32 v2, vcc, v2, v1, vcc
	v_add_co_u32_e32 v6, vcc, 4, v3
	s_lshl_b32 s23, s26, 3
	s_mov_b32 s9, 0
	v_addc_co_u32_e32 v7, vcc, 0, v2, vcc
	s_add_i32 s23, s23, -8
	s_mov_b32 s8, s9
	s_mov_b32 s12, s22
	s_branch .LBB156_19
.LBB156_18:                             ;   in Loop: Header=BB156_19 Depth=1
	s_cmp_lt_i32 s12, 0
	s_cselect_b64 s[14:15], -1, 0
	s_add_i32 s8, s8, 1
	s_cmp_eq_u32 s8, 3
	s_cselect_b64 s[18:19], -1, 0
	s_or_b64 s[14:15], s[14:15], s[18:19]
	s_andn2_b64 vcc, exec, s[14:15]
	s_cbranch_vccz .LBB156_36
.LBB156_19:                             ; =>This Loop Header: Depth=1
                                        ;     Child Loop BB156_22 Depth 2
                                        ;       Child Loop BB156_23 Depth 3
                                        ;       Child Loop BB156_25 Depth 3
                                        ;         Child Loop BB156_26 Depth 4
                                        ;       Child Loop BB156_30 Depth 3
                                        ;         Child Loop BB156_32 Depth 4
	s_lshl_b64 s[14:15], s[8:9], 2
	s_getpc_b64 s[18:19]
	s_add_u32 s18, s18, __const._ZL30rocblas_trsm_small_left_deviceILi20ELi20ELb1E19rocblas_complex_numIfES1_PKS1_PS1_Ev13rocblas_fill_18rocblas_operation_17rocblas_diagonal_iiT3_T4_lilT5_lili.step_sizes@rel32@lo+4
	s_addc_u32 s19, s19, __const._ZL30rocblas_trsm_small_left_deviceILi20ELi20ELb1E19rocblas_complex_numIfES1_PKS1_PS1_Ev13rocblas_fill_18rocblas_operation_17rocblas_diagonal_iiT3_T4_lilT5_lili.step_sizes@rel32@hi+12
	s_add_u32 s14, s18, s14
	s_addc_u32 s15, s19, s15
	s_load_dword s24, s[14:15], 0x0
	s_waitcnt lgkmcnt(0)
	s_add_i32 s25, s24, -1
	s_cmp_lt_i32 s12, s25
	s_cbranch_scc1 .LBB156_18
; %bb.20:                               ;   in Loop: Header=BB156_19 Depth=1
	s_mul_i32 s13, s12, 0xa0
	s_max_i32 s27, s24, 1
	s_add_i32 s28, s23, s13
	s_mul_i32 s29, s24, 0xffffff60
	s_mul_i32 s30, s12, 0xa8
	;; [unrolled: 1-line block ×3, first 2 shown]
	s_branch .LBB156_22
.LBB156_21:                             ;   in Loop: Header=BB156_22 Depth=2
	s_sub_i32 s12, s12, s24
	s_add_i32 s28, s28, s29
	s_add_i32 s30, s30, s31
	s_cmp_lt_i32 s12, s25
	s_cbranch_scc1 .LBB156_18
.LBB156_22:                             ;   Parent Loop BB156_19 Depth=1
                                        ; =>  This Loop Header: Depth=2
                                        ;       Child Loop BB156_23 Depth 3
                                        ;       Child Loop BB156_25 Depth 3
                                        ;         Child Loop BB156_26 Depth 4
                                        ;       Child Loop BB156_30 Depth 3
                                        ;         Child Loop BB156_32 Depth 4
	s_ashr_i32 s13, s12, 31
	s_lshl_b64 s[14:15], s[12:13], 3
	v_mov_b32_e32 v3, s15
	v_add_co_u32_e32 v2, vcc, s14, v6
	v_addc_co_u32_e32 v3, vcc, v7, v3, vcc
	s_mov_b32 s14, 0
	s_mov_b32 s15, s27
.LBB156_23:                             ;   Parent Loop BB156_19 Depth=1
                                        ;     Parent Loop BB156_22 Depth=2
                                        ; =>    This Inner Loop Header: Depth=3
	global_load_dwordx2 v[8:9], v[2:3], off offset:-4
	v_mov_b32_e32 v10, s14
	s_add_i32 s15, s15, -1
	v_add_co_u32_e32 v2, vcc, -8, v2
	s_add_i32 s14, s14, 8
	v_addc_co_u32_e32 v3, vcc, -1, v3, vcc
	s_cmp_eq_u32 s15, 0
	s_waitcnt vmcnt(0)
	v_mul_f32_e32 v11, s17, v9
	v_mul_f32_e32 v9, s16, v9
	v_fma_f32 v11, v8, s16, -v11
	v_fmac_f32_e32 v9, s17, v8
	buffer_store_dword v11, v10, s[0:3], 0 offen
	buffer_store_dword v9, v10, s[0:3], 0 offen offset:4
	s_cbranch_scc0 .LBB156_23
; %bb.24:                               ;   in Loop: Header=BB156_22 Depth=2
	s_cmp_le_i32 s22, s12
	s_mov_b32 s18, s28
	s_mov_b32 s14, s22
	s_cbranch_scc1 .LBB156_28
.LBB156_25:                             ;   Parent Loop BB156_19 Depth=1
                                        ;     Parent Loop BB156_22 Depth=2
                                        ; =>    This Loop Header: Depth=3
                                        ;         Child Loop BB156_26 Depth 4
	s_ashr_i32 s15, s14, 31
	s_lshl_b64 s[20:21], s[14:15], 3
	v_mov_b32_e32 v3, s21
	v_add_co_u32_e32 v2, vcc, s20, v4
	v_addc_co_u32_e32 v3, vcc, v5, v3, vcc
	global_load_dwordx2 v[2:3], v[2:3], off
	s_mov_b32 s15, 0
	s_mov_b32 s19, s18
	;; [unrolled: 1-line block ×3, first 2 shown]
.LBB156_26:                             ;   Parent Loop BB156_19 Depth=1
                                        ;     Parent Loop BB156_22 Depth=2
                                        ;       Parent Loop BB156_25 Depth=3
                                        ; =>      This Inner Loop Header: Depth=4
	v_mov_b32_e32 v10, s15
	buffer_load_dword v11, v10, s[0:3], 0 offen
	buffer_load_dword v12, v10, s[0:3], 0 offen offset:4
	v_mov_b32_e32 v8, s19
	ds_read_b64 v[8:9], v8
	s_add_i32 s20, s20, -1
	s_addk_i32 s19, 0xff60
	s_add_i32 s15, s15, 8
	s_cmp_eq_u32 s20, 0
	s_waitcnt vmcnt(2) lgkmcnt(0)
	v_mul_f32_e32 v13, v9, v3
	v_mul_f32_e32 v9, v9, v2
	v_fma_f32 v13, v8, v2, -v13
	v_fmac_f32_e32 v9, v8, v3
	s_waitcnt vmcnt(1)
	v_sub_f32_e32 v8, v11, v13
	s_waitcnt vmcnt(0)
	v_sub_f32_e32 v9, v12, v9
	buffer_store_dword v8, v10, s[0:3], 0 offen
	buffer_store_dword v9, v10, s[0:3], 0 offen offset:4
	s_cbranch_scc0 .LBB156_26
; %bb.27:                               ;   in Loop: Header=BB156_25 Depth=3
	s_add_i32 s14, s14, -1
	s_add_i32 s18, s18, -8
	s_cmp_le_i32 s14, s12
	s_cbranch_scc0 .LBB156_25
.LBB156_28:                             ;   in Loop: Header=BB156_22 Depth=2
	s_mov_b32 s33, 0
	s_mov_b32 s34, s30
	s_branch .LBB156_30
.LBB156_29:                             ;   in Loop: Header=BB156_30 Depth=3
	s_mulk_i32 s18, 0xa8
	v_mov_b32_e32 v8, s18
	ds_read_b64 v[8:9], v8
	s_lshl_b64 s[14:15], s[14:15], 3
	s_lshl_b32 s18, s33, 3
	s_add_i32 s33, s33, 1
	s_addk_i32 s34, 0xff60
	s_waitcnt vmcnt(0) lgkmcnt(0)
	v_mul_f32_e32 v10, v9, v3
	v_mul_f32_e32 v11, v8, v3
	v_fma_f32 v10, v8, v2, -v10
	v_fmac_f32_e32 v11, v9, v2
	v_mov_b32_e32 v3, s15
	v_add_co_u32_e32 v2, vcc, s14, v4
	v_mov_b32_e32 v12, s18
	v_addc_co_u32_e32 v3, vcc, v5, v3, vcc
	s_cmp_eq_u32 s33, s27
	buffer_store_dword v10, v12, s[0:3], 0 offen
	buffer_store_dword v11, v12, s[0:3], 0 offen offset:4
	global_store_dwordx2 v[2:3], v[10:11], off
	s_cbranch_scc1 .LBB156_21
.LBB156_30:                             ;   Parent Loop BB156_19 Depth=1
                                        ;     Parent Loop BB156_22 Depth=2
                                        ; =>    This Loop Header: Depth=3
                                        ;         Child Loop BB156_32 Depth 4
	s_cmp_lg_u32 s33, 0
	s_cbranch_scc0 .LBB156_34
; %bb.31:                               ;   in Loop: Header=BB156_30 Depth=3
	s_lshl_b32 s14, s33, 3
	v_mov_b32_e32 v8, s14
	buffer_load_dword v2, v8, s[0:3], 0 offen
	buffer_load_dword v3, v8, s[0:3], 0 offen offset:4
	s_mov_b32 s14, 0
	s_mov_b32 s15, s34
	s_mov_b32 s18, s33
.LBB156_32:                             ;   Parent Loop BB156_19 Depth=1
                                        ;     Parent Loop BB156_22 Depth=2
                                        ;       Parent Loop BB156_30 Depth=3
                                        ; =>      This Inner Loop Header: Depth=4
	v_mov_b32_e32 v9, s14
	buffer_load_dword v11, v9, s[0:3], 0 offen offset:4
	buffer_load_dword v12, v9, s[0:3], 0 offen
	v_mov_b32_e32 v9, s15
	ds_read_b64 v[9:10], v9
	s_add_i32 s18, s18, -1
	s_add_i32 s15, s15, -8
	s_add_i32 s14, s14, 8
	s_cmp_eq_u32 s18, 0
	s_waitcnt vmcnt(1) lgkmcnt(0)
	v_mul_f32_e32 v13, v10, v11
	v_mul_f32_e32 v11, v9, v11
	s_waitcnt vmcnt(0)
	v_fma_f32 v9, v9, v12, -v13
	v_fmac_f32_e32 v11, v10, v12
	v_sub_f32_e32 v2, v2, v9
	v_sub_f32_e32 v3, v3, v11
	buffer_store_dword v2, v8, s[0:3], 0 offen
	buffer_store_dword v3, v8, s[0:3], 0 offen offset:4
	s_cbranch_scc0 .LBB156_32
; %bb.33:                               ;   in Loop: Header=BB156_30 Depth=3
	s_sub_i32 s18, s12, s33
	s_ashr_i32 s19, s18, 31
	s_mov_b64 s[14:15], s[18:19]
	s_branch .LBB156_29
.LBB156_34:                             ;   in Loop: Header=BB156_30 Depth=3
                                        ; implicit-def: $vgpr2
                                        ; implicit-def: $vgpr3
                                        ; implicit-def: $sgpr18
                                        ; implicit-def: $sgpr14_sgpr15
	s_cbranch_execz .LBB156_29
; %bb.35:                               ;   in Loop: Header=BB156_30 Depth=3
	buffer_load_dword v2, off, s[0:3], 0
	buffer_load_dword v3, off, s[0:3], 0 offset:4
	s_mov_b64 s[14:15], s[12:13]
	s_mov_b32 s18, s12
	s_branch .LBB156_29
.LBB156_36:
	s_mov_b64 s[8:9], 0
.LBB156_37:
	s_and_b64 vcc, exec, s[8:9]
	s_cbranch_vccz .LBB156_58
; %bb.38:
	s_add_u32 s6, s10, s6
	s_addc_u32 s7, s11, s7
	s_add_u32 s4, s6, s4
	s_addc_u32 s5, s7, s5
	v_mov_b32_e32 v2, s5
	v_add_co_u32_e32 v0, vcc, s4, v0
	v_addc_co_u32_e32 v1, vcc, v2, v1, vcc
	v_add_co_u32_e32 v6, vcc, 4, v0
	s_mov_b32 s5, 0
	v_addc_co_u32_e32 v7, vcc, 0, v1, vcc
	s_mov_b32 s6, s5
	s_mov_b32 s8, s5
	s_branch .LBB156_40
.LBB156_39:                             ;   in Loop: Header=BB156_40 Depth=1
	s_cmp_ge_i32 s6, s26
	s_cselect_b64 s[10:11], -1, 0
	s_add_i32 s8, s8, 1
	s_cmp_eq_u32 s8, 3
	s_cselect_b64 s[12:13], -1, 0
	s_or_b64 s[10:11], s[10:11], s[12:13]
	s_and_b64 vcc, exec, s[10:11]
	s_cbranch_vccnz .LBB156_58
.LBB156_40:                             ; =>This Loop Header: Depth=1
                                        ;     Child Loop BB156_43 Depth 2
                                        ;       Child Loop BB156_44 Depth 3
                                        ;       Child Loop BB156_47 Depth 3
                                        ;         Child Loop BB156_48 Depth 4
                                        ;       Child Loop BB156_52 Depth 3
                                        ;         Child Loop BB156_54 Depth 4
	s_mov_b32 s9, s5
	s_lshl_b64 s[10:11], s[8:9], 2
	s_getpc_b64 s[12:13]
	s_add_u32 s12, s12, __const._ZL30rocblas_trsm_small_left_deviceILi20ELi20ELb1E19rocblas_complex_numIfES1_PKS1_PS1_Ev13rocblas_fill_18rocblas_operation_17rocblas_diagonal_iiT3_T4_lilT5_lili.step_sizes@rel32@lo+4
	s_addc_u32 s13, s13, __const._ZL30rocblas_trsm_small_left_deviceILi20ELi20ELb1E19rocblas_complex_numIfES1_PKS1_PS1_Ev13rocblas_fill_18rocblas_operation_17rocblas_diagonal_iiT3_T4_lilT5_lili.step_sizes@rel32@hi+12
	s_add_u32 s10, s12, s10
	s_addc_u32 s11, s13, s11
	s_load_dword s10, s[10:11], 0x0
	s_waitcnt lgkmcnt(0)
	s_add_i32 s9, s10, -1
	s_add_i32 s4, s9, s6
	s_cmp_ge_i32 s4, s26
	s_cbranch_scc1 .LBB156_39
; %bb.41:                               ;   in Loop: Header=BB156_40 Depth=1
	s_ashr_i32 s7, s6, 31
	s_lshl_b64 s[12:13], s[6:7], 3
	s_ashr_i32 s11, s10, 31
	v_mov_b32_e32 v1, s13
	v_add_co_u32_e32 v0, vcc, s12, v6
	s_lshl_b64 s[12:13], s[10:11], 3
	s_max_i32 s18, s10, 1
	v_addc_co_u32_e32 v1, vcc, v7, v1, vcc
	s_lshl_b32 s7, s6, 3
	s_lshl_b32 s11, s10, 3
	s_mul_i32 s19, s6, 0xa8
	s_mul_i32 s20, s10, 0xa8
	v_mov_b32_e32 v8, s13
	s_branch .LBB156_43
.LBB156_42:                             ;   in Loop: Header=BB156_43 Depth=2
	s_add_i32 s6, s6, s10
	s_add_i32 s4, s9, s6
	s_add_i32 s7, s7, s11
	s_add_i32 s19, s19, s20
	v_add_co_u32_e32 v0, vcc, s12, v0
	s_cmp_ge_i32 s4, s26
	v_addc_co_u32_e32 v1, vcc, v1, v8, vcc
	s_cbranch_scc1 .LBB156_39
.LBB156_43:                             ;   Parent Loop BB156_40 Depth=1
                                        ; =>  This Loop Header: Depth=2
                                        ;       Child Loop BB156_44 Depth 3
                                        ;       Child Loop BB156_47 Depth 3
                                        ;         Child Loop BB156_48 Depth 4
                                        ;       Child Loop BB156_52 Depth 3
                                        ;         Child Loop BB156_54 Depth 4
	v_mov_b32_e32 v3, v1
	s_mov_b32 s4, 0
	v_mov_b32_e32 v2, v0
	s_mov_b32 s13, s18
.LBB156_44:                             ;   Parent Loop BB156_40 Depth=1
                                        ;     Parent Loop BB156_43 Depth=2
                                        ; =>    This Inner Loop Header: Depth=3
	global_load_dwordx2 v[9:10], v[2:3], off offset:-4
	v_mov_b32_e32 v11, s4
	s_add_i32 s13, s13, -1
	v_add_co_u32_e32 v2, vcc, 8, v2
	s_add_i32 s4, s4, 8
	v_addc_co_u32_e32 v3, vcc, 0, v3, vcc
	s_cmp_eq_u32 s13, 0
	s_waitcnt vmcnt(0)
	v_mul_f32_e32 v12, s17, v10
	v_mul_f32_e32 v10, s16, v10
	v_fma_f32 v12, v9, s16, -v12
	v_fmac_f32_e32 v10, s17, v9
	buffer_store_dword v12, v11, s[0:3], 0 offen
	buffer_store_dword v10, v11, s[0:3], 0 offen offset:4
	s_cbranch_scc0 .LBB156_44
; %bb.45:                               ;   in Loop: Header=BB156_43 Depth=2
	s_cmp_lt_i32 s6, 1
	s_cbranch_scc1 .LBB156_50
; %bb.46:                               ;   in Loop: Header=BB156_43 Depth=2
	s_mov_b32 s4, 0
	s_mov_b32 s13, s7
.LBB156_47:                             ;   Parent Loop BB156_40 Depth=1
                                        ;     Parent Loop BB156_43 Depth=2
                                        ; =>    This Loop Header: Depth=3
                                        ;         Child Loop BB156_48 Depth 4
	s_lshl_b64 s[14:15], s[4:5], 3
	v_mov_b32_e32 v3, s15
	v_add_co_u32_e32 v2, vcc, s14, v4
	v_addc_co_u32_e32 v3, vcc, v5, v3, vcc
	global_load_dwordx2 v[2:3], v[2:3], off
	s_mov_b32 s14, 0
	s_mov_b32 s15, s13
	;; [unrolled: 1-line block ×3, first 2 shown]
.LBB156_48:                             ;   Parent Loop BB156_40 Depth=1
                                        ;     Parent Loop BB156_43 Depth=2
                                        ;       Parent Loop BB156_47 Depth=3
                                        ; =>      This Inner Loop Header: Depth=4
	v_mov_b32_e32 v11, s14
	buffer_load_dword v12, v11, s[0:3], 0 offen
	buffer_load_dword v13, v11, s[0:3], 0 offen offset:4
	v_mov_b32_e32 v9, s15
	ds_read_b64 v[9:10], v9
	s_add_i32 s21, s21, -1
	s_add_i32 s15, s15, 8
	s_add_i32 s14, s14, 8
	s_cmp_eq_u32 s21, 0
	s_waitcnt vmcnt(2) lgkmcnt(0)
	v_mul_f32_e32 v14, v10, v3
	v_mul_f32_e32 v10, v10, v2
	v_fma_f32 v14, v9, v2, -v14
	v_fmac_f32_e32 v10, v9, v3
	s_waitcnt vmcnt(1)
	v_sub_f32_e32 v9, v12, v14
	s_waitcnt vmcnt(0)
	v_sub_f32_e32 v10, v13, v10
	buffer_store_dword v9, v11, s[0:3], 0 offen
	buffer_store_dword v10, v11, s[0:3], 0 offen offset:4
	s_cbranch_scc0 .LBB156_48
; %bb.49:                               ;   in Loop: Header=BB156_47 Depth=3
	s_add_i32 s4, s4, 1
	s_addk_i32 s13, 0xa0
	s_cmp_eq_u32 s4, s6
	s_cbranch_scc0 .LBB156_47
.LBB156_50:                             ;   in Loop: Header=BB156_43 Depth=2
	s_mov_b32 s4, 0
	s_mov_b32 s13, s19
	s_branch .LBB156_52
.LBB156_51:                             ;   in Loop: Header=BB156_52 Depth=3
	s_add_i32 s14, s4, s6
	s_mul_i32 s15, s14, 0xa8
	v_mov_b32_e32 v9, s15
	ds_read_b64 v[9:10], v9
	s_lshl_b32 s15, s4, 3
	v_mov_b32_e32 v13, s15
	s_ashr_i32 s15, s14, 31
	s_lshl_b64 s[14:15], s[14:15], 3
	s_waitcnt vmcnt(0) lgkmcnt(0)
	v_mul_f32_e32 v11, v10, v3
	v_mul_f32_e32 v12, v9, v3
	v_fma_f32 v11, v9, v2, -v11
	v_fmac_f32_e32 v12, v10, v2
	v_mov_b32_e32 v3, s15
	v_add_co_u32_e32 v2, vcc, s14, v4
	s_add_i32 s4, s4, 1
	s_add_i32 s13, s13, 8
	v_addc_co_u32_e32 v3, vcc, v5, v3, vcc
	s_cmp_eq_u32 s4, s18
	buffer_store_dword v11, v13, s[0:3], 0 offen
	buffer_store_dword v12, v13, s[0:3], 0 offen offset:4
	global_store_dwordx2 v[2:3], v[11:12], off
	s_cbranch_scc1 .LBB156_42
.LBB156_52:                             ;   Parent Loop BB156_40 Depth=1
                                        ;     Parent Loop BB156_43 Depth=2
                                        ; =>    This Loop Header: Depth=3
                                        ;         Child Loop BB156_54 Depth 4
	s_cmp_lg_u32 s4, 0
	s_cbranch_scc0 .LBB156_56
; %bb.53:                               ;   in Loop: Header=BB156_52 Depth=3
	s_lshl_b32 s14, s4, 3
	v_mov_b32_e32 v9, s14
	buffer_load_dword v2, v9, s[0:3], 0 offen
	buffer_load_dword v3, v9, s[0:3], 0 offen offset:4
	s_mov_b32 s14, 0
	s_mov_b32 s15, s13
	;; [unrolled: 1-line block ×3, first 2 shown]
.LBB156_54:                             ;   Parent Loop BB156_40 Depth=1
                                        ;     Parent Loop BB156_43 Depth=2
                                        ;       Parent Loop BB156_52 Depth=3
                                        ; =>      This Inner Loop Header: Depth=4
	v_mov_b32_e32 v10, s14
	buffer_load_dword v12, v10, s[0:3], 0 offen offset:4
	buffer_load_dword v13, v10, s[0:3], 0 offen
	v_mov_b32_e32 v10, s15
	ds_read_b64 v[10:11], v10
	s_add_i32 s21, s21, -1
	s_addk_i32 s15, 0xa0
	s_add_i32 s14, s14, 8
	s_cmp_eq_u32 s21, 0
	s_waitcnt vmcnt(1) lgkmcnt(0)
	v_mul_f32_e32 v14, v11, v12
	v_mul_f32_e32 v12, v10, v12
	s_waitcnt vmcnt(0)
	v_fma_f32 v10, v10, v13, -v14
	v_fmac_f32_e32 v12, v11, v13
	v_sub_f32_e32 v2, v2, v10
	v_sub_f32_e32 v3, v3, v12
	buffer_store_dword v2, v9, s[0:3], 0 offen
	buffer_store_dword v3, v9, s[0:3], 0 offen offset:4
	s_cbranch_scc0 .LBB156_54
; %bb.55:                               ;   in Loop: Header=BB156_52 Depth=3
	s_branch .LBB156_51
.LBB156_56:                             ;   in Loop: Header=BB156_52 Depth=3
                                        ; implicit-def: $vgpr2
                                        ; implicit-def: $vgpr3
	s_cbranch_execz .LBB156_51
; %bb.57:                               ;   in Loop: Header=BB156_52 Depth=3
	buffer_load_dword v2, off, s[0:3], 0
	buffer_load_dword v3, off, s[0:3], 0 offset:4
	s_branch .LBB156_51
.LBB156_58:
	s_endpgm
	.section	.rodata,"a",@progbits
	.p2align	6, 0x0
	.amdhsa_kernel _ZL30rocblas_trsm_small_left_deviceILi20ELi20ELb1E19rocblas_complex_numIfES1_PKS1_PS1_Ev13rocblas_fill_18rocblas_operation_17rocblas_diagonal_iiT3_T4_lilT5_lili
		.amdhsa_group_segment_fixed_size 3200
		.amdhsa_private_segment_fixed_size 176
		.amdhsa_kernarg_size 360
		.amdhsa_user_sgpr_count 6
		.amdhsa_user_sgpr_private_segment_buffer 1
		.amdhsa_user_sgpr_dispatch_ptr 0
		.amdhsa_user_sgpr_queue_ptr 0
		.amdhsa_user_sgpr_kernarg_segment_ptr 1
		.amdhsa_user_sgpr_dispatch_id 0
		.amdhsa_user_sgpr_flat_scratch_init 0
		.amdhsa_user_sgpr_private_segment_size 0
		.amdhsa_uses_dynamic_stack 0
		.amdhsa_system_sgpr_private_segment_wavefront_offset 1
		.amdhsa_system_sgpr_workgroup_id_x 1
		.amdhsa_system_sgpr_workgroup_id_y 0
		.amdhsa_system_sgpr_workgroup_id_z 1
		.amdhsa_system_sgpr_workgroup_info 0
		.amdhsa_system_vgpr_workitem_id 0
		.amdhsa_next_free_vgpr 41
		.amdhsa_next_free_sgpr 98
		.amdhsa_reserve_vcc 1
		.amdhsa_reserve_flat_scratch 0
		.amdhsa_float_round_mode_32 0
		.amdhsa_float_round_mode_16_64 0
		.amdhsa_float_denorm_mode_32 3
		.amdhsa_float_denorm_mode_16_64 3
		.amdhsa_dx10_clamp 1
		.amdhsa_ieee_mode 1
		.amdhsa_fp16_overflow 0
		.amdhsa_exception_fp_ieee_invalid_op 0
		.amdhsa_exception_fp_denorm_src 0
		.amdhsa_exception_fp_ieee_div_zero 0
		.amdhsa_exception_fp_ieee_overflow 0
		.amdhsa_exception_fp_ieee_underflow 0
		.amdhsa_exception_fp_ieee_inexact 0
		.amdhsa_exception_int_div_zero 0
	.end_amdhsa_kernel
	.section	.text._ZL30rocblas_trsm_small_left_deviceILi20ELi20ELb1E19rocblas_complex_numIfES1_PKS1_PS1_Ev13rocblas_fill_18rocblas_operation_17rocblas_diagonal_iiT3_T4_lilT5_lili,"axG",@progbits,_ZL30rocblas_trsm_small_left_deviceILi20ELi20ELb1E19rocblas_complex_numIfES1_PKS1_PS1_Ev13rocblas_fill_18rocblas_operation_17rocblas_diagonal_iiT3_T4_lilT5_lili,comdat
.Lfunc_end156:
	.size	_ZL30rocblas_trsm_small_left_deviceILi20ELi20ELb1E19rocblas_complex_numIfES1_PKS1_PS1_Ev13rocblas_fill_18rocblas_operation_17rocblas_diagonal_iiT3_T4_lilT5_lili, .Lfunc_end156-_ZL30rocblas_trsm_small_left_deviceILi20ELi20ELb1E19rocblas_complex_numIfES1_PKS1_PS1_Ev13rocblas_fill_18rocblas_operation_17rocblas_diagonal_iiT3_T4_lilT5_lili
                                        ; -- End function
	.set _ZL30rocblas_trsm_small_left_deviceILi20ELi20ELb1E19rocblas_complex_numIfES1_PKS1_PS1_Ev13rocblas_fill_18rocblas_operation_17rocblas_diagonal_iiT3_T4_lilT5_lili.num_vgpr, 15
	.set _ZL30rocblas_trsm_small_left_deviceILi20ELi20ELb1E19rocblas_complex_numIfES1_PKS1_PS1_Ev13rocblas_fill_18rocblas_operation_17rocblas_diagonal_iiT3_T4_lilT5_lili.num_agpr, 0
	.set _ZL30rocblas_trsm_small_left_deviceILi20ELi20ELb1E19rocblas_complex_numIfES1_PKS1_PS1_Ev13rocblas_fill_18rocblas_operation_17rocblas_diagonal_iiT3_T4_lilT5_lili.numbered_sgpr, 35
	.set _ZL30rocblas_trsm_small_left_deviceILi20ELi20ELb1E19rocblas_complex_numIfES1_PKS1_PS1_Ev13rocblas_fill_18rocblas_operation_17rocblas_diagonal_iiT3_T4_lilT5_lili.num_named_barrier, 0
	.set _ZL30rocblas_trsm_small_left_deviceILi20ELi20ELb1E19rocblas_complex_numIfES1_PKS1_PS1_Ev13rocblas_fill_18rocblas_operation_17rocblas_diagonal_iiT3_T4_lilT5_lili.private_seg_size, 176
	.set _ZL30rocblas_trsm_small_left_deviceILi20ELi20ELb1E19rocblas_complex_numIfES1_PKS1_PS1_Ev13rocblas_fill_18rocblas_operation_17rocblas_diagonal_iiT3_T4_lilT5_lili.uses_vcc, 1
	.set _ZL30rocblas_trsm_small_left_deviceILi20ELi20ELb1E19rocblas_complex_numIfES1_PKS1_PS1_Ev13rocblas_fill_18rocblas_operation_17rocblas_diagonal_iiT3_T4_lilT5_lili.uses_flat_scratch, 0
	.set _ZL30rocblas_trsm_small_left_deviceILi20ELi20ELb1E19rocblas_complex_numIfES1_PKS1_PS1_Ev13rocblas_fill_18rocblas_operation_17rocblas_diagonal_iiT3_T4_lilT5_lili.has_dyn_sized_stack, 0
	.set _ZL30rocblas_trsm_small_left_deviceILi20ELi20ELb1E19rocblas_complex_numIfES1_PKS1_PS1_Ev13rocblas_fill_18rocblas_operation_17rocblas_diagonal_iiT3_T4_lilT5_lili.has_recursion, 0
	.set _ZL30rocblas_trsm_small_left_deviceILi20ELi20ELb1E19rocblas_complex_numIfES1_PKS1_PS1_Ev13rocblas_fill_18rocblas_operation_17rocblas_diagonal_iiT3_T4_lilT5_lili.has_indirect_call, 0
	.section	.AMDGPU.csdata,"",@progbits
; Kernel info:
; codeLenInByte = 2528
; TotalNumSgprs: 39
; NumVgprs: 15
; ScratchSize: 176
; MemoryBound: 0
; FloatMode: 240
; IeeeMode: 1
; LDSByteSize: 3200 bytes/workgroup (compile time only)
; SGPRBlocks: 12
; VGPRBlocks: 10
; NumSGPRsForWavesPerEU: 102
; NumVGPRsForWavesPerEU: 41
; Occupancy: 5
; WaveLimiterHint : 0
; COMPUTE_PGM_RSRC2:SCRATCH_EN: 1
; COMPUTE_PGM_RSRC2:USER_SGPR: 6
; COMPUTE_PGM_RSRC2:TRAP_HANDLER: 0
; COMPUTE_PGM_RSRC2:TGID_X_EN: 1
; COMPUTE_PGM_RSRC2:TGID_Y_EN: 0
; COMPUTE_PGM_RSRC2:TGID_Z_EN: 1
; COMPUTE_PGM_RSRC2:TIDIG_COMP_CNT: 0
	.section	.text._ZL31rocblas_trsm_small_right_deviceI19rocblas_complex_numIfES1_PKS1_PS1_Li20EEv13rocblas_fill_18rocblas_operation_17rocblas_diagonal_iiT0_T1_lilT2_lili,"axG",@progbits,_ZL31rocblas_trsm_small_right_deviceI19rocblas_complex_numIfES1_PKS1_PS1_Li20EEv13rocblas_fill_18rocblas_operation_17rocblas_diagonal_iiT0_T1_lilT2_lili,comdat
	.globl	_ZL31rocblas_trsm_small_right_deviceI19rocblas_complex_numIfES1_PKS1_PS1_Li20EEv13rocblas_fill_18rocblas_operation_17rocblas_diagonal_iiT0_T1_lilT2_lili ; -- Begin function _ZL31rocblas_trsm_small_right_deviceI19rocblas_complex_numIfES1_PKS1_PS1_Li20EEv13rocblas_fill_18rocblas_operation_17rocblas_diagonal_iiT0_T1_lilT2_lili
	.p2align	8
	.type	_ZL31rocblas_trsm_small_right_deviceI19rocblas_complex_numIfES1_PKS1_PS1_Li20EEv13rocblas_fill_18rocblas_operation_17rocblas_diagonal_iiT0_T1_lilT2_lili,@function
_ZL31rocblas_trsm_small_right_deviceI19rocblas_complex_numIfES1_PKS1_PS1_Li20EEv13rocblas_fill_18rocblas_operation_17rocblas_diagonal_iiT0_T1_lilT2_lili: ; @_ZL31rocblas_trsm_small_right_deviceI19rocblas_complex_numIfES1_PKS1_PS1_Li20EEv13rocblas_fill_18rocblas_operation_17rocblas_diagonal_iiT0_T1_lilT2_lili
; %bb.0:
	s_load_dwordx8 s[8:15], s[4:5], 0x0
	s_load_dwordx4 s[0:3], s[4:5], 0x38
	s_load_dwordx2 s[16:17], s[4:5], 0x48
	s_waitcnt lgkmcnt(0)
	s_min_i32 s24, s12, 20
	v_cmp_gt_i32_e32 vcc, s24, v0
	s_and_saveexec_b64 s[18:19], vcc
	s_cbranch_execz .LBB157_9
; %bb.1:
	s_load_dword s22, s[4:5], 0x30
	s_load_dwordx4 s[28:31], s[4:5], 0x20
	s_mul_i32 s1, s1, s7
	s_mul_hi_u32 s15, s0, s7
	s_mul_i32 s0, s0, s7
	s_waitcnt lgkmcnt(0)
	s_ashr_i32 s23, s22, 31
	s_cmpk_lg_i32 s9, 0x71
	s_cselect_b64 s[20:21], -1, 0
	s_add_i32 s1, s15, s1
	s_lshl_b64 s[0:1], s[0:1], 3
	s_lshl_b64 s[26:27], s[30:31], 3
	s_add_u32 s0, s0, s26
	s_addc_u32 s1, s1, s27
	s_add_u32 s0, s28, s0
	v_lshlrev_b32_e32 v5, 3, v0
	s_addc_u32 s1, s29, s1
	v_mov_b32_e32 v1, s1
	v_add_co_u32_e32 v2, vcc, s0, v5
	v_addc_co_u32_e32 v3, vcc, 0, v1, vcc
	v_add_co_u32_e32 v1, vcc, 4, v2
	s_lshl_b64 s[0:1], s[22:23], 3
	v_addc_co_u32_e32 v2, vcc, 0, v3, vcc
	v_mov_b32_e32 v6, s1
	v_mov_b32_e32 v7, v5
	s_mov_b32 s1, s24
	s_branch .LBB157_3
.LBB157_2:                              ;   in Loop: Header=BB157_3 Depth=1
	global_load_dword v3, v[1:2], off offset:-4
	s_add_i32 s1, s1, -1
	v_add_co_u32_e32 v1, vcc, s0, v1
	v_addc_co_u32_e32 v2, vcc, v2, v6, vcc
	s_cmp_eq_u32 s1, 0
	s_waitcnt vmcnt(0)
	ds_write_b64 v7, v[3:4]
	v_add_u32_e32 v7, 0xa0, v7
	s_cbranch_scc1 .LBB157_7
.LBB157_3:                              ; =>This Inner Loop Header: Depth=1
	s_mov_b64 s[22:23], -1
	s_and_b64 vcc, exec, s[20:21]
                                        ; implicit-def: $vgpr4
	s_cbranch_vccz .LBB157_5
; %bb.4:                                ;   in Loop: Header=BB157_3 Depth=1
	global_load_dword v4, v[1:2], off
	s_mov_b64 s[22:23], 0
.LBB157_5:                              ;   in Loop: Header=BB157_3 Depth=1
	s_andn2_b64 vcc, exec, s[22:23]
	s_cbranch_vccnz .LBB157_2
; %bb.6:                                ;   in Loop: Header=BB157_3 Depth=1
	global_load_dword v3, v[1:2], off
	s_waitcnt vmcnt(0)
	v_xor_b32_e32 v4, 0x80000000, v3
	s_branch .LBB157_2
.LBB157_7:
	s_cmpk_eq_i32 s10, 0x84
	s_cbranch_scc0 .LBB157_9
; %bb.8:
	s_movk_i32 s0, 0xa0
	v_mad_u32_u24 v3, v0, s0, v5
	v_mov_b32_e32 v1, 1.0
	v_mov_b32_e32 v2, 0
	ds_write_b64 v3, v[1:2]
.LBB157_9:
	s_or_b64 exec, exec, s[18:19]
	s_load_dword s0, s[4:5], 0x68
	s_load_dwordx2 s[18:19], s[4:5], 0x58
	s_load_dword s10, s[4:5], 0x50
	s_mul_hi_i32 s20, s6, 0xa0
	s_mul_i32 s21, s6, 0xa0
	s_waitcnt lgkmcnt(0)
	s_add_i32 s0, s0, -1
	s_mul_i32 s1, s19, s7
	s_mul_hi_u32 s5, s18, s7
	s_add_i32 s5, s5, s1
	s_mul_i32 s1, s6, 0xffffffec
	s_add_i32 s1, s11, s1
	s_cmp_ge_u32 s6, s0
	s_cselect_b32 s0, s1, 20
	s_mul_i32 s4, s18, s7
	v_cmp_gt_i32_e64 s[0:1], s0, v0
	s_and_saveexec_b64 s[6:7], s[0:1]
	s_cbranch_execz .LBB157_13
; %bb.10:
	s_cmp_lt_i32 s12, 1
	s_cbranch_scc1 .LBB157_13
; %bb.11:
	s_ashr_i32 s11, s10, 31
	s_lshl_b64 s[18:19], s[4:5], 3
	s_add_u32 s15, s18, s21
	s_addc_u32 s22, s19, s20
	s_lshl_b64 s[18:19], s[16:17], 3
	s_add_u32 s15, s15, s18
	s_addc_u32 s18, s22, s19
	s_add_u32 s15, s2, s15
	v_lshlrev_b32_e32 v3, 3, v0
	s_addc_u32 s18, s3, s18
	v_mov_b32_e32 v1, s18
	v_add_co_u32_e32 v2, vcc, s15, v3
	v_addc_co_u32_e32 v4, vcc, 0, v1, vcc
	v_add_co_u32_e32 v1, vcc, 4, v2
	s_lshl_b64 s[18:19], s[10:11], 3
	v_addc_co_u32_e32 v2, vcc, 0, v4, vcc
	v_add_u32_e32 v3, 0xc80, v3
	v_mov_b32_e32 v4, s19
	s_mov_b32 s11, s12
.LBB157_12:                             ; =>This Inner Loop Header: Depth=1
	global_load_dwordx2 v[5:6], v[1:2], off offset:-4
	s_add_i32 s11, s11, -1
	v_add_co_u32_e32 v1, vcc, s18, v1
	v_addc_co_u32_e32 v2, vcc, v2, v4, vcc
	s_cmp_lg_u32 s11, 0
	s_waitcnt vmcnt(0)
	v_mul_f32_e32 v8, s14, v6
	v_mul_f32_e32 v7, s13, v6
	v_fma_f32 v6, s13, v5, -v8
	v_fmac_f32_e32 v7, s14, v5
	ds_write_b64 v3, v[6:7]
	v_add_u32_e32 v3, 0xa0, v3
	s_cbranch_scc1 .LBB157_12
.LBB157_13:
	s_or_b64 exec, exec, s[6:7]
	s_cmpk_eq_i32 s9, 0x6f
	s_cselect_b64 s[6:7], -1, 0
	s_cmpk_lg_i32 s8, 0x79
	s_cselect_b64 s[14:15], -1, 0
	s_cmpk_eq_i32 s8, 0x79
	s_cselect_b64 s[18:19], -1, 0
	s_and_b64 s[18:19], s[18:19], s[6:7]
	s_andn2_b64 vcc, exec, s[18:19]
	s_mov_b64 s[18:19], -1
	s_waitcnt lgkmcnt(0)
	; wave barrier
	s_cbranch_vccz .LBB157_114
; %bb.14:
	s_cmpk_lg_i32 s8, 0x7a
	s_cselect_b64 s[18:19], -1, 0
	s_xor_b64 s[6:7], s[6:7], -1
	s_add_i32 s11, s24, -1
	s_or_b64 s[18:19], s[18:19], s[6:7]
	v_mov_b32_e32 v1, 0xc80
	s_cmp_gt_i32 s12, 3
	s_mov_b64 s[8:9], -1
	v_lshl_add_u32 v15, v0, 3, v1
	s_cselect_b64 s[6:7], -1, 0
	s_and_b64 vcc, exec, s[18:19]
	s_cbranch_vccz .LBB157_81
; %bb.15:
	s_andn2_b64 vcc, exec, s[14:15]
	s_cbranch_vccnz .LBB157_48
; %bb.16:
	s_andn2_b64 vcc, exec, s[6:7]
	s_mov_b32 s15, 0
	s_cbranch_vccnz .LBB157_38
; %bb.17:
	v_mov_b32_e32 v1, 0xc80
	v_lshl_add_u32 v16, v0, 3, v1
	s_mov_b32 s13, 0
	s_mov_b32 s14, 0
.LBB157_18:                             ; =>This Loop Header: Depth=1
                                        ;     Child Loop BB157_19 Depth 2
	s_or_b32 s9, s14, 3
	s_mul_i32 s8, s14, 0xa0
	v_add_u32_e32 v18, s8, v15
	s_mulk_i32 s9, 0xa0
	ds_read2_b64 v[1:4], v18 offset1:20
	v_add_u32_e32 v17, s9, v15
	ds_read_b64 v[11:12], v18 offset:320
	ds_read_b64 v[9:10], v17
	s_cmp_eq_u32 s14, 0
	v_mov_b32_e32 v5, v16
	s_mov_b32 s9, s13
	s_mov_b32 s15, s14
	s_cbranch_scc1 .LBB157_20
.LBB157_19:                             ;   Parent Loop BB157_18 Depth=1
                                        ; =>  This Inner Loop Header: Depth=2
	v_mov_b32_e32 v8, s9
	ds_read_b64 v[6:7], v5
	ds_read_b128 v[19:22], v8
	ds_read_b128 v[23:26], v8 offset:16
	s_add_i32 s15, s15, -1
	s_addk_i32 s9, 0xa0
	v_add_u32_e32 v5, 0xa0, v5
	s_waitcnt lgkmcnt(1)
	v_mul_f32_e32 v8, v20, v7
	v_mul_f32_e32 v13, v19, v7
	;; [unrolled: 1-line block ×4, first 2 shown]
	s_waitcnt lgkmcnt(0)
	v_mul_f32_e32 v27, v24, v7
	v_mul_f32_e32 v24, v24, v6
	;; [unrolled: 1-line block ×4, first 2 shown]
	v_fma_f32 v8, v19, v6, -v8
	v_fmac_f32_e32 v13, v20, v6
	v_fma_f32 v14, v21, v6, -v14
	v_fmac_f32_e32 v22, v21, v7
	;; [unrolled: 2-line block ×4, first 2 shown]
	s_cmp_eq_u32 s15, 0
	v_sub_f32_e32 v1, v1, v8
	v_sub_f32_e32 v2, v2, v13
	;; [unrolled: 1-line block ×8, first 2 shown]
	s_cbranch_scc0 .LBB157_19
.LBB157_20:                             ;   in Loop: Header=BB157_18 Depth=1
	s_lshl_b32 s15, s14, 3
	s_add_i32 s18, s15, s8
	v_mov_b32_e32 v5, s18
	ds_read_b64 v[5:6], v5
	s_mov_b64 s[8:9], -1
                                        ; implicit-def: $vgpr14
	s_waitcnt lgkmcnt(0)
	v_cmp_ngt_f32_e64 s[22:23], |v5|, |v6|
	s_and_b64 vcc, exec, s[22:23]
	s_cbranch_vccz .LBB157_22
; %bb.21:                               ;   in Loop: Header=BB157_18 Depth=1
	v_div_scale_f32 v7, s[8:9], v6, v6, v5
	v_div_scale_f32 v8, vcc, v5, v6, v5
	v_rcp_f32_e32 v13, v7
	v_fma_f32 v14, -v7, v13, 1.0
	v_fmac_f32_e32 v13, v14, v13
	v_mul_f32_e32 v14, v8, v13
	v_fma_f32 v19, -v7, v14, v8
	v_fmac_f32_e32 v14, v19, v13
	v_fma_f32 v7, -v7, v14, v8
	v_div_fmas_f32 v7, v7, v13, v14
	v_div_fixup_f32 v7, v7, v6, v5
	v_fma_f32 v8, v5, v7, v6
	v_div_scale_f32 v13, s[8:9], v8, v8, 1.0
	v_div_scale_f32 v14, vcc, 1.0, v8, 1.0
	s_mov_b64 s[8:9], 0
	v_rcp_f32_e32 v19, v13
	v_fma_f32 v20, -v13, v19, 1.0
	v_fmac_f32_e32 v19, v20, v19
	v_mul_f32_e32 v20, v14, v19
	v_fma_f32 v21, -v13, v20, v14
	v_fmac_f32_e32 v20, v21, v19
	v_fma_f32 v13, -v13, v20, v14
	v_div_fmas_f32 v13, v13, v19, v20
	v_fma_f32 v14, v1, v7, v2
	v_fma_f32 v7, v2, v7, -v1
	v_div_fixup_f32 v8, v13, v8, 1.0
	v_mul_f32_e32 v13, v14, v8
	v_mul_f32_e32 v14, v7, v8
.LBB157_22:                             ;   in Loop: Header=BB157_18 Depth=1
	s_andn2_b64 vcc, exec, s[8:9]
	s_cbranch_vccnz .LBB157_24
; %bb.23:                               ;   in Loop: Header=BB157_18 Depth=1
	v_div_scale_f32 v7, s[8:9], v5, v5, v6
	v_div_scale_f32 v8, vcc, v6, v5, v6
	v_rcp_f32_e32 v13, v7
	v_fma_f32 v14, -v7, v13, 1.0
	v_fmac_f32_e32 v13, v14, v13
	v_mul_f32_e32 v14, v8, v13
	v_fma_f32 v19, -v7, v14, v8
	v_fmac_f32_e32 v14, v19, v13
	v_fma_f32 v7, -v7, v14, v8
	v_div_fmas_f32 v7, v7, v13, v14
	v_div_fixup_f32 v7, v7, v5, v6
	v_fmac_f32_e32 v5, v6, v7
	v_div_scale_f32 v6, s[8:9], v5, v5, 1.0
	v_div_scale_f32 v8, vcc, 1.0, v5, 1.0
	v_rcp_f32_e32 v13, v6
	v_fma_f32 v14, -v6, v13, 1.0
	v_fmac_f32_e32 v13, v14, v13
	v_mul_f32_e32 v14, v8, v13
	v_fma_f32 v19, -v6, v14, v8
	v_fmac_f32_e32 v14, v19, v13
	v_fma_f32 v6, -v6, v14, v8
	v_div_fmas_f32 v6, v6, v13, v14
	v_fma_f32 v8, v2, v7, v1
	v_fma_f32 v1, -v1, v7, v2
	v_div_fixup_f32 v2, v6, v5, 1.0
	v_mul_f32_e32 v13, v8, v2
	v_mul_f32_e32 v14, v1, v2
.LBB157_24:                             ;   in Loop: Header=BB157_18 Depth=1
	v_mov_b32_e32 v1, s18
	ds_read2_b64 v[5:8], v1 offset0:1 offset1:21
	s_mov_b64 s[8:9], -1
	ds_write_b64 v18, v[13:14]
	s_waitcnt lgkmcnt(1)
	v_mul_f32_e32 v1, v14, v6
	v_mul_f32_e32 v2, v13, v6
	v_fma_f32 v1, v13, v5, -v1
	v_fmac_f32_e32 v2, v14, v5
	v_cmp_ngt_f32_e64 s[22:23], |v7|, |v8|
	v_sub_f32_e32 v1, v3, v1
	v_sub_f32_e32 v2, v4, v2
	s_and_b64 vcc, exec, s[22:23]
                                        ; implicit-def: $vgpr6
	s_cbranch_vccz .LBB157_26
; %bb.25:                               ;   in Loop: Header=BB157_18 Depth=1
	v_div_scale_f32 v3, s[8:9], v8, v8, v7
	v_div_scale_f32 v4, vcc, v7, v8, v7
	v_rcp_f32_e32 v5, v3
	v_fma_f32 v6, -v3, v5, 1.0
	v_fmac_f32_e32 v5, v6, v5
	v_mul_f32_e32 v6, v4, v5
	v_fma_f32 v19, -v3, v6, v4
	v_fmac_f32_e32 v6, v19, v5
	v_fma_f32 v3, -v3, v6, v4
	v_div_fmas_f32 v3, v3, v5, v6
	v_div_fixup_f32 v3, v3, v8, v7
	v_fma_f32 v4, v7, v3, v8
	v_div_scale_f32 v5, s[8:9], v4, v4, 1.0
	v_div_scale_f32 v6, vcc, 1.0, v4, 1.0
	s_mov_b64 s[8:9], 0
	v_rcp_f32_e32 v19, v5
	v_fma_f32 v20, -v5, v19, 1.0
	v_fmac_f32_e32 v19, v20, v19
	v_mul_f32_e32 v20, v6, v19
	v_fma_f32 v21, -v5, v20, v6
	v_fmac_f32_e32 v20, v21, v19
	v_fma_f32 v5, -v5, v20, v6
	v_div_fmas_f32 v5, v5, v19, v20
	v_fma_f32 v6, v3, v1, v2
	v_fma_f32 v3, v3, v2, -v1
	v_div_fixup_f32 v4, v5, v4, 1.0
	v_mul_f32_e32 v5, v6, v4
	v_mul_f32_e32 v6, v3, v4
.LBB157_26:                             ;   in Loop: Header=BB157_18 Depth=1
	s_andn2_b64 vcc, exec, s[8:9]
	s_cbranch_vccnz .LBB157_28
; %bb.27:                               ;   in Loop: Header=BB157_18 Depth=1
	v_div_scale_f32 v3, s[8:9], v7, v7, v8
	v_div_scale_f32 v4, vcc, v8, v7, v8
	v_rcp_f32_e32 v5, v3
	v_fma_f32 v6, -v3, v5, 1.0
	v_fmac_f32_e32 v5, v6, v5
	v_mul_f32_e32 v6, v4, v5
	v_fma_f32 v19, -v3, v6, v4
	v_fmac_f32_e32 v6, v19, v5
	v_fma_f32 v3, -v3, v6, v4
	v_div_fmas_f32 v3, v3, v5, v6
	v_div_fixup_f32 v3, v3, v7, v8
	v_fmac_f32_e32 v7, v8, v3
	v_div_scale_f32 v4, s[8:9], v7, v7, 1.0
	v_div_scale_f32 v5, vcc, 1.0, v7, 1.0
	v_rcp_f32_e32 v6, v4
	v_fma_f32 v8, -v4, v6, 1.0
	v_fmac_f32_e32 v6, v8, v6
	v_mul_f32_e32 v8, v5, v6
	v_fma_f32 v19, -v4, v8, v5
	v_fmac_f32_e32 v8, v19, v6
	v_fma_f32 v4, -v4, v8, v5
	v_div_fmas_f32 v4, v4, v6, v8
	v_fma_f32 v5, v3, v2, v1
	v_fma_f32 v1, -v3, v1, v2
	v_div_fixup_f32 v2, v4, v7, 1.0
	v_mul_f32_e32 v5, v5, v2
	v_mul_f32_e32 v6, v1, v2
.LBB157_28:                             ;   in Loop: Header=BB157_18 Depth=1
	v_mov_b32_e32 v1, s18
	ds_read2_b64 v[1:4], v1 offset0:2 offset1:42
	s_add_i32 s19, s18, 0xa8
	s_or_b32 s8, s15, 8
	s_sub_i32 s22, s19, s8
	s_add_i32 s22, s22, s15
	s_waitcnt lgkmcnt(0)
	v_mul_f32_e32 v7, v14, v2
	v_fma_f32 v19, v13, v1, -v7
	v_mov_b32_e32 v7, s22
	ds_read_b64 v[7:8], v7 offset:16
	v_mul_f32_e32 v2, v13, v2
	v_fmac_f32_e32 v2, v14, v1
	v_sub_f32_e32 v1, v11, v19
	v_sub_f32_e32 v2, v12, v2
	s_waitcnt lgkmcnt(0)
	v_mul_f32_e32 v11, v6, v8
	v_mul_f32_e32 v8, v5, v8
	v_fma_f32 v11, v5, v7, -v11
	v_fmac_f32_e32 v8, v6, v7
	v_cmp_ngt_f32_e64 s[26:27], |v3|, |v4|
	v_sub_f32_e32 v1, v1, v11
	v_sub_f32_e32 v2, v2, v8
	s_mov_b64 s[8:9], -1
	s_and_b64 vcc, exec, s[26:27]
	ds_write_b64 v18, v[5:6] offset:160
                                        ; implicit-def: $vgpr8
	s_cbranch_vccz .LBB157_30
; %bb.29:                               ;   in Loop: Header=BB157_18 Depth=1
	v_div_scale_f32 v7, s[8:9], v4, v4, v3
	v_div_scale_f32 v8, vcc, v3, v4, v3
	v_rcp_f32_e32 v11, v7
	v_fma_f32 v12, -v7, v11, 1.0
	v_fmac_f32_e32 v11, v12, v11
	v_mul_f32_e32 v12, v8, v11
	v_fma_f32 v19, -v7, v12, v8
	v_fmac_f32_e32 v12, v19, v11
	v_fma_f32 v7, -v7, v12, v8
	v_div_fmas_f32 v7, v7, v11, v12
	v_div_fixup_f32 v7, v7, v4, v3
	v_fma_f32 v8, v3, v7, v4
	v_div_scale_f32 v11, s[8:9], v8, v8, 1.0
	v_div_scale_f32 v12, vcc, 1.0, v8, 1.0
	s_mov_b64 s[8:9], 0
	v_rcp_f32_e32 v19, v11
	v_fma_f32 v20, -v11, v19, 1.0
	v_fmac_f32_e32 v19, v20, v19
	v_mul_f32_e32 v20, v12, v19
	v_fma_f32 v21, -v11, v20, v12
	v_fmac_f32_e32 v20, v21, v19
	v_fma_f32 v11, -v11, v20, v12
	v_div_fmas_f32 v11, v11, v19, v20
	v_fma_f32 v12, v7, v1, v2
	v_fma_f32 v19, v7, v2, -v1
	v_div_fixup_f32 v8, v11, v8, 1.0
	v_mul_f32_e32 v7, v12, v8
	v_mul_f32_e32 v8, v19, v8
.LBB157_30:                             ;   in Loop: Header=BB157_18 Depth=1
	s_andn2_b64 vcc, exec, s[8:9]
	s_cbranch_vccnz .LBB157_32
; %bb.31:                               ;   in Loop: Header=BB157_18 Depth=1
	v_div_scale_f32 v7, s[8:9], v3, v3, v4
	v_div_scale_f32 v8, vcc, v4, v3, v4
	v_rcp_f32_e32 v11, v7
	v_fma_f32 v12, -v7, v11, 1.0
	v_fmac_f32_e32 v11, v12, v11
	v_mul_f32_e32 v12, v8, v11
	v_fma_f32 v19, -v7, v12, v8
	v_fmac_f32_e32 v12, v19, v11
	v_fma_f32 v7, -v7, v12, v8
	v_div_fmas_f32 v7, v7, v11, v12
	v_div_fixup_f32 v7, v7, v3, v4
	v_fmac_f32_e32 v3, v4, v7
	v_div_scale_f32 v4, s[8:9], v3, v3, 1.0
	v_div_scale_f32 v8, vcc, 1.0, v3, 1.0
	v_rcp_f32_e32 v11, v4
	v_fma_f32 v12, -v4, v11, 1.0
	v_fmac_f32_e32 v11, v12, v11
	v_mul_f32_e32 v12, v8, v11
	v_fma_f32 v19, -v4, v12, v8
	v_fmac_f32_e32 v12, v19, v11
	v_fma_f32 v4, -v4, v12, v8
	v_div_fmas_f32 v4, v4, v11, v12
	v_fma_f32 v8, v7, v2, v1
	v_fma_f32 v1, -v7, v1, v2
	v_div_fixup_f32 v2, v4, v3, 1.0
	v_mul_f32_e32 v7, v8, v2
	v_mul_f32_e32 v8, v1, v2
.LBB157_32:                             ;   in Loop: Header=BB157_18 Depth=1
	v_mov_b32_e32 v1, s18
	ds_read2_b64 v[1:4], v1 offset0:3 offset1:63
	s_or_b32 s8, s15, 16
	s_sub_i32 s8, s19, s8
	s_add_i32 s8, s8, s15
	ds_write_b64 v18, v[7:8] offset:320
	s_waitcnt lgkmcnt(1)
	v_mul_f32_e32 v11, v14, v2
	v_mul_f32_e32 v12, v13, v2
	v_fma_f32 v2, v13, v1, -v11
	v_fmac_f32_e32 v12, v14, v1
	v_mov_b32_e32 v1, s22
	v_sub_f32_e32 v11, v9, v2
	ds_read_b64 v[1:2], v1 offset:24
	v_mov_b32_e32 v9, s8
	v_sub_f32_e32 v12, v10, v12
	ds_read_b64 v[9:10], v9 offset:192
	v_cmp_ngt_f32_e64 s[18:19], |v3|, |v4|
	s_waitcnt lgkmcnt(1)
	v_mul_f32_e32 v13, v6, v2
	v_mul_f32_e32 v2, v5, v2
	v_fma_f32 v13, v5, v1, -v13
	v_fmac_f32_e32 v2, v6, v1
	s_waitcnt lgkmcnt(0)
	v_mul_f32_e32 v5, v8, v10
	v_mul_f32_e32 v6, v7, v10
	v_sub_f32_e32 v1, v11, v13
	v_sub_f32_e32 v2, v12, v2
	v_fma_f32 v5, v7, v9, -v5
	v_fmac_f32_e32 v6, v8, v9
	v_sub_f32_e32 v5, v1, v5
	v_sub_f32_e32 v6, v2, v6
	s_mov_b64 s[8:9], -1
	s_and_b64 vcc, exec, s[18:19]
                                        ; implicit-def: $vgpr2
	s_cbranch_vccz .LBB157_34
; %bb.33:                               ;   in Loop: Header=BB157_18 Depth=1
	v_div_scale_f32 v1, s[8:9], v4, v4, v3
	v_div_scale_f32 v2, vcc, v3, v4, v3
	v_rcp_f32_e32 v7, v1
	v_fma_f32 v8, -v1, v7, 1.0
	v_fmac_f32_e32 v7, v8, v7
	v_mul_f32_e32 v8, v2, v7
	v_fma_f32 v9, -v1, v8, v2
	v_fmac_f32_e32 v8, v9, v7
	v_fma_f32 v1, -v1, v8, v2
	v_div_fmas_f32 v1, v1, v7, v8
	v_div_fixup_f32 v1, v1, v4, v3
	v_fma_f32 v2, v3, v1, v4
	v_div_scale_f32 v7, s[8:9], v2, v2, 1.0
	v_div_scale_f32 v8, vcc, 1.0, v2, 1.0
	s_mov_b64 s[8:9], 0
	v_rcp_f32_e32 v9, v7
	v_fma_f32 v10, -v7, v9, 1.0
	v_fmac_f32_e32 v9, v10, v9
	v_mul_f32_e32 v10, v8, v9
	v_fma_f32 v11, -v7, v10, v8
	v_fmac_f32_e32 v10, v11, v9
	v_fma_f32 v7, -v7, v10, v8
	v_div_fmas_f32 v7, v7, v9, v10
	v_fma_f32 v8, v1, v5, v6
	v_fma_f32 v9, v1, v6, -v5
	v_div_fixup_f32 v2, v7, v2, 1.0
	v_mul_f32_e32 v1, v8, v2
	v_mul_f32_e32 v2, v9, v2
.LBB157_34:                             ;   in Loop: Header=BB157_18 Depth=1
	s_andn2_b64 vcc, exec, s[8:9]
	s_cbranch_vccnz .LBB157_36
; %bb.35:                               ;   in Loop: Header=BB157_18 Depth=1
	v_div_scale_f32 v1, s[8:9], v3, v3, v4
	v_div_scale_f32 v2, vcc, v4, v3, v4
	v_rcp_f32_e32 v7, v1
	v_fma_f32 v8, -v1, v7, 1.0
	v_fmac_f32_e32 v7, v8, v7
	v_mul_f32_e32 v8, v2, v7
	v_fma_f32 v9, -v1, v8, v2
	v_fmac_f32_e32 v8, v9, v7
	v_fma_f32 v1, -v1, v8, v2
	v_div_fmas_f32 v1, v1, v7, v8
	v_div_fixup_f32 v1, v1, v3, v4
	v_fmac_f32_e32 v3, v4, v1
	v_div_scale_f32 v2, s[8:9], v3, v3, 1.0
	v_div_scale_f32 v4, vcc, 1.0, v3, 1.0
	v_rcp_f32_e32 v7, v2
	v_fma_f32 v8, -v2, v7, 1.0
	v_fmac_f32_e32 v7, v8, v7
	v_mul_f32_e32 v8, v4, v7
	v_fma_f32 v9, -v2, v8, v4
	v_fmac_f32_e32 v8, v9, v7
	v_fma_f32 v2, -v2, v8, v4
	v_div_fmas_f32 v2, v2, v7, v8
	v_fma_f32 v4, v1, v6, v5
	v_fma_f32 v5, -v1, v5, v6
	v_div_fixup_f32 v2, v2, v3, 1.0
	v_mul_f32_e32 v1, v4, v2
	v_mul_f32_e32 v2, v5, v2
.LBB157_36:                             ;   in Loop: Header=BB157_18 Depth=1
	s_add_i32 s15, s14, 4
	s_add_i32 s8, s14, 7
	s_add_i32 s13, s13, 32
	s_cmp_ge_i32 s8, s24
	ds_write_b64 v17, v[1:2]
	s_cbranch_scc1 .LBB157_38
; %bb.37:                               ;   in Loop: Header=BB157_18 Depth=1
	s_mov_b32 s14, s15
	s_branch .LBB157_18
.LBB157_38:
	s_cmp_ge_i32 s15, s24
	s_cbranch_scc1 .LBB157_47
; %bb.39:
	v_mov_b32_e32 v1, 0xc80
	s_lshl_b32 s13, s15, 3
	v_lshl_add_u32 v7, v0, 3, v1
	s_branch .LBB157_41
.LBB157_40:                             ;   in Loop: Header=BB157_41 Depth=1
	s_add_i32 s15, s15, 1
	s_add_i32 s13, s13, 8
	s_cmp_ge_i32 s15, s24
	ds_write_b64 v8, v[5:6]
	s_cbranch_scc1 .LBB157_47
.LBB157_41:                             ; =>This Loop Header: Depth=1
                                        ;     Child Loop BB157_42 Depth 2
	s_mul_i32 s8, s15, 0xa0
	v_add_u32_e32 v8, s8, v15
	ds_read_b64 v[1:2], v8
	s_cmp_eq_u32 s15, 0
	v_mov_b32_e32 v3, v7
	s_mov_b32 s9, s13
	s_mov_b32 s14, s15
	s_cbranch_scc1 .LBB157_43
.LBB157_42:                             ;   Parent Loop BB157_41 Depth=1
                                        ; =>  This Inner Loop Header: Depth=2
	v_mov_b32_e32 v6, s9
	ds_read_b64 v[4:5], v3
	ds_read_b64 v[9:10], v6
	s_add_i32 s14, s14, -1
	s_addk_i32 s9, 0xa0
	v_add_u32_e32 v3, 0xa0, v3
	s_cmp_eq_u32 s14, 0
	s_waitcnt lgkmcnt(0)
	v_mul_f32_e32 v6, v10, v5
	v_mul_f32_e32 v5, v9, v5
	v_fma_f32 v6, v9, v4, -v6
	v_fmac_f32_e32 v5, v10, v4
	v_sub_f32_e32 v1, v1, v6
	v_sub_f32_e32 v2, v2, v5
	s_cbranch_scc0 .LBB157_42
.LBB157_43:                             ;   in Loop: Header=BB157_41 Depth=1
	s_lshl_b32 s9, s15, 3
	s_add_i32 s8, s9, s8
	v_mov_b32_e32 v3, s8
	ds_read_b64 v[3:4], v3
	s_mov_b64 s[8:9], -1
                                        ; implicit-def: $vgpr5
	s_waitcnt lgkmcnt(0)
	v_cmp_ngt_f32_e64 s[18:19], |v3|, |v4|
	s_and_b64 vcc, exec, s[18:19]
	s_cbranch_vccz .LBB157_45
; %bb.44:                               ;   in Loop: Header=BB157_41 Depth=1
	v_div_scale_f32 v5, s[8:9], v4, v4, v3
	v_div_scale_f32 v6, vcc, v3, v4, v3
	v_rcp_f32_e32 v9, v5
	v_fma_f32 v10, -v5, v9, 1.0
	v_fmac_f32_e32 v9, v10, v9
	v_mul_f32_e32 v10, v6, v9
	v_fma_f32 v11, -v5, v10, v6
	v_fmac_f32_e32 v10, v11, v9
	v_fma_f32 v5, -v5, v10, v6
	v_div_fmas_f32 v5, v5, v9, v10
	v_div_fixup_f32 v5, v5, v4, v3
	v_fma_f32 v6, v3, v5, v4
	v_div_scale_f32 v9, s[8:9], v6, v6, 1.0
	v_div_scale_f32 v10, vcc, 1.0, v6, 1.0
	s_mov_b64 s[8:9], 0
	v_rcp_f32_e32 v11, v9
	v_fma_f32 v12, -v9, v11, 1.0
	v_fmac_f32_e32 v11, v12, v11
	v_mul_f32_e32 v12, v10, v11
	v_fma_f32 v13, -v9, v12, v10
	v_fmac_f32_e32 v12, v13, v11
	v_fma_f32 v9, -v9, v12, v10
	v_div_fmas_f32 v9, v9, v11, v12
	v_fma_f32 v10, v1, v5, v2
	v_fma_f32 v11, v2, v5, -v1
	v_div_fixup_f32 v6, v9, v6, 1.0
	v_mul_f32_e32 v5, v10, v6
	v_mul_f32_e32 v6, v11, v6
.LBB157_45:                             ;   in Loop: Header=BB157_41 Depth=1
	s_andn2_b64 vcc, exec, s[8:9]
	s_cbranch_vccnz .LBB157_40
; %bb.46:                               ;   in Loop: Header=BB157_41 Depth=1
	v_div_scale_f32 v5, s[8:9], v3, v3, v4
	v_div_scale_f32 v6, vcc, v4, v3, v4
	v_rcp_f32_e32 v9, v5
	v_fma_f32 v10, -v5, v9, 1.0
	v_fmac_f32_e32 v9, v10, v9
	v_mul_f32_e32 v10, v6, v9
	v_fma_f32 v11, -v5, v10, v6
	v_fmac_f32_e32 v10, v11, v9
	v_fma_f32 v5, -v5, v10, v6
	v_div_fmas_f32 v5, v5, v9, v10
	v_div_fixup_f32 v5, v5, v3, v4
	v_fmac_f32_e32 v3, v4, v5
	v_div_scale_f32 v4, s[8:9], v3, v3, 1.0
	v_div_scale_f32 v6, vcc, 1.0, v3, 1.0
	v_rcp_f32_e32 v9, v4
	v_fma_f32 v10, -v4, v9, 1.0
	v_fmac_f32_e32 v9, v10, v9
	v_mul_f32_e32 v10, v6, v9
	v_fma_f32 v11, -v4, v10, v6
	v_fmac_f32_e32 v10, v11, v9
	v_fma_f32 v4, -v4, v10, v6
	v_div_fmas_f32 v4, v4, v9, v10
	v_fma_f32 v6, v2, v5, v1
	v_fma_f32 v1, -v1, v5, v2
	v_div_fixup_f32 v2, v4, v3, 1.0
	v_mul_f32_e32 v5, v6, v2
	v_mul_f32_e32 v6, v1, v2
	s_branch .LBB157_40
.LBB157_47:
	s_mov_b64 s[8:9], 0
.LBB157_48:
	s_and_b64 vcc, exec, s[8:9]
	s_cbranch_vccz .LBB157_80
; %bb.49:
	s_andn2_b64 vcc, exec, s[6:7]
	s_mov_b32 s15, s11
	s_cbranch_vccnz .LBB157_71
; %bb.50:
	s_mul_i32 s8, s24, 0xa8
	s_add_i32 s13, s8, 0xffffff40
	s_mul_i32 s8, s24, 0xa0
	v_lshl_add_u32 v1, v0, 3, s8
	v_add_u32_e32 v13, 0xbe0, v1
	s_mov_b32 s14, s11
.LBB157_51:                             ; =>This Loop Header: Depth=1
                                        ;     Child Loop BB157_52 Depth 2
	s_mul_i32 s8, s14, 0xa0
	v_add_u32_e32 v18, s8, v15
	s_add_i32 s9, s8, 0xfffffe20
	v_add_u32_e32 v17, 0xffffff60, v18
	v_add_u32_e32 v16, 0xfffffec0, v18
	;; [unrolled: 1-line block ×3, first 2 shown]
	ds_read_b64 v[9:10], v18
	ds_read_b64 v[7:8], v17
	;; [unrolled: 1-line block ×4, first 2 shown]
	s_cmp_le_i32 s11, s14
	v_mov_b32_e32 v5, v13
	s_mov_b32 s9, s13
	s_mov_b32 s15, s11
	s_cbranch_scc1 .LBB157_53
.LBB157_52:                             ;   Parent Loop BB157_51 Depth=1
                                        ; =>  This Inner Loop Header: Depth=2
	v_mov_b32_e32 v6, s9
	ds_read_b64 v[11:12], v5
	ds_read2_b64 v[19:22], v6 offset0:2 offset1:3
	ds_read2_b64 v[23:26], v6 offset1:1
	s_add_i32 s15, s15, -1
	s_addk_i32 s9, 0xff60
	v_add_u32_e32 v5, 0xffffff60, v5
	s_waitcnt lgkmcnt(1)
	v_mul_f32_e32 v6, v22, v12
	v_mul_f32_e32 v27, v21, v12
	;; [unrolled: 1-line block ×4, first 2 shown]
	s_waitcnt lgkmcnt(0)
	v_mul_f32_e32 v29, v26, v12
	v_mul_f32_e32 v26, v26, v11
	;; [unrolled: 1-line block ×4, first 2 shown]
	v_fma_f32 v6, v21, v11, -v6
	v_fmac_f32_e32 v27, v22, v11
	v_fma_f32 v21, v19, v11, -v28
	v_fmac_f32_e32 v20, v19, v12
	;; [unrolled: 2-line block ×4, first 2 shown]
	s_cmp_le_i32 s15, s14
	v_sub_f32_e32 v9, v9, v6
	v_sub_f32_e32 v10, v10, v27
	;; [unrolled: 1-line block ×8, first 2 shown]
	s_cbranch_scc0 .LBB157_52
.LBB157_53:                             ;   in Loop: Header=BB157_51 Depth=1
	s_lshl_b32 s18, s14, 3
	s_add_i32 s18, s18, s8
	v_mov_b32_e32 v5, s18
	ds_read_b64 v[11:12], v5
	s_add_i32 s15, s14, -3
	s_mov_b64 s[8:9], -1
                                        ; implicit-def: $vgpr6
	s_waitcnt lgkmcnt(0)
	v_cmp_ngt_f32_e64 s[22:23], |v11|, |v12|
	s_and_b64 vcc, exec, s[22:23]
	s_cbranch_vccz .LBB157_55
; %bb.54:                               ;   in Loop: Header=BB157_51 Depth=1
	v_div_scale_f32 v5, s[8:9], v12, v12, v11
	v_div_scale_f32 v6, vcc, v11, v12, v11
	v_rcp_f32_e32 v19, v5
	v_fma_f32 v20, -v5, v19, 1.0
	v_fmac_f32_e32 v19, v20, v19
	v_mul_f32_e32 v20, v6, v19
	v_fma_f32 v21, -v5, v20, v6
	v_fmac_f32_e32 v20, v21, v19
	v_fma_f32 v5, -v5, v20, v6
	v_div_fmas_f32 v5, v5, v19, v20
	v_div_fixup_f32 v5, v5, v12, v11
	v_fma_f32 v6, v11, v5, v12
	v_div_scale_f32 v19, s[8:9], v6, v6, 1.0
	v_div_scale_f32 v20, vcc, 1.0, v6, 1.0
	s_mov_b64 s[8:9], 0
	v_rcp_f32_e32 v21, v19
	v_fma_f32 v22, -v19, v21, 1.0
	v_fmac_f32_e32 v21, v22, v21
	v_mul_f32_e32 v22, v20, v21
	v_fma_f32 v23, -v19, v22, v20
	v_fmac_f32_e32 v22, v23, v21
	v_fma_f32 v19, -v19, v22, v20
	v_div_fmas_f32 v19, v19, v21, v22
	v_fma_f32 v20, v9, v5, v10
	v_fma_f32 v21, v10, v5, -v9
	v_div_fixup_f32 v6, v19, v6, 1.0
	v_mul_f32_e32 v5, v20, v6
	v_mul_f32_e32 v6, v21, v6
.LBB157_55:                             ;   in Loop: Header=BB157_51 Depth=1
	s_andn2_b64 vcc, exec, s[8:9]
	s_cbranch_vccnz .LBB157_57
; %bb.56:                               ;   in Loop: Header=BB157_51 Depth=1
	v_div_scale_f32 v5, s[8:9], v11, v11, v12
	v_div_scale_f32 v6, vcc, v12, v11, v12
	v_rcp_f32_e32 v19, v5
	v_fma_f32 v20, -v5, v19, 1.0
	v_fmac_f32_e32 v19, v20, v19
	v_mul_f32_e32 v20, v6, v19
	v_fma_f32 v21, -v5, v20, v6
	v_fmac_f32_e32 v20, v21, v19
	v_fma_f32 v5, -v5, v20, v6
	v_div_fmas_f32 v5, v5, v19, v20
	v_div_fixup_f32 v5, v5, v11, v12
	v_fmac_f32_e32 v11, v12, v5
	v_div_scale_f32 v6, s[8:9], v11, v11, 1.0
	v_div_scale_f32 v12, vcc, 1.0, v11, 1.0
	v_rcp_f32_e32 v19, v6
	v_fma_f32 v20, -v6, v19, 1.0
	v_fmac_f32_e32 v19, v20, v19
	v_mul_f32_e32 v20, v12, v19
	v_fma_f32 v21, -v6, v20, v12
	v_fmac_f32_e32 v20, v21, v19
	v_fma_f32 v6, -v6, v20, v12
	v_div_fmas_f32 v6, v6, v19, v20
	v_fma_f32 v12, v10, v5, v9
	v_fma_f32 v9, -v9, v5, v10
	v_div_fixup_f32 v6, v6, v11, 1.0
	v_mul_f32_e32 v5, v12, v6
	v_mul_f32_e32 v6, v9, v6
.LBB157_57:                             ;   in Loop: Header=BB157_51 Depth=1
	s_add_i32 s8, s18, -8
	v_mov_b32_e32 v9, s8
	s_add_i32 s19, s18, 0xffffff58
	ds_read_b64 v[11:12], v9
	v_mov_b32_e32 v9, s19
	ds_read_b64 v[9:10], v9
	ds_write_b64 v18, v[5:6]
	s_mov_b64 s[8:9], -1
	s_waitcnt lgkmcnt(2)
	v_mul_f32_e32 v18, v6, v12
	v_mul_f32_e32 v12, v5, v12
	v_fma_f32 v18, v5, v11, -v18
	v_fmac_f32_e32 v12, v6, v11
	s_waitcnt lgkmcnt(1)
	v_cmp_ngt_f32_e64 s[22:23], |v9|, |v10|
	v_sub_f32_e32 v11, v7, v18
	v_sub_f32_e32 v12, v8, v12
	s_and_b64 vcc, exec, s[22:23]
                                        ; implicit-def: $vgpr8
	s_cbranch_vccz .LBB157_59
; %bb.58:                               ;   in Loop: Header=BB157_51 Depth=1
	v_div_scale_f32 v7, s[8:9], v10, v10, v9
	v_div_scale_f32 v8, vcc, v9, v10, v9
	v_rcp_f32_e32 v18, v7
	v_fma_f32 v19, -v7, v18, 1.0
	v_fmac_f32_e32 v18, v19, v18
	v_mul_f32_e32 v19, v8, v18
	v_fma_f32 v20, -v7, v19, v8
	v_fmac_f32_e32 v19, v20, v18
	v_fma_f32 v7, -v7, v19, v8
	v_div_fmas_f32 v7, v7, v18, v19
	v_div_fixup_f32 v7, v7, v10, v9
	v_fma_f32 v8, v9, v7, v10
	v_div_scale_f32 v18, s[8:9], v8, v8, 1.0
	v_div_scale_f32 v19, vcc, 1.0, v8, 1.0
	s_mov_b64 s[8:9], 0
	v_rcp_f32_e32 v20, v18
	v_fma_f32 v21, -v18, v20, 1.0
	v_fmac_f32_e32 v20, v21, v20
	v_mul_f32_e32 v21, v19, v20
	v_fma_f32 v22, -v18, v21, v19
	v_fmac_f32_e32 v21, v22, v20
	v_fma_f32 v18, -v18, v21, v19
	v_div_fmas_f32 v18, v18, v20, v21
	v_fma_f32 v19, v7, v11, v12
	v_fma_f32 v20, v7, v12, -v11
	v_div_fixup_f32 v8, v18, v8, 1.0
	v_mul_f32_e32 v7, v19, v8
	v_mul_f32_e32 v8, v20, v8
.LBB157_59:                             ;   in Loop: Header=BB157_51 Depth=1
	s_andn2_b64 vcc, exec, s[8:9]
	s_cbranch_vccnz .LBB157_61
; %bb.60:                               ;   in Loop: Header=BB157_51 Depth=1
	v_div_scale_f32 v7, s[8:9], v9, v9, v10
	v_div_scale_f32 v8, vcc, v10, v9, v10
	v_rcp_f32_e32 v18, v7
	v_fma_f32 v19, -v7, v18, 1.0
	v_fmac_f32_e32 v18, v19, v18
	v_mul_f32_e32 v19, v8, v18
	v_fma_f32 v20, -v7, v19, v8
	v_fmac_f32_e32 v19, v20, v18
	v_fma_f32 v7, -v7, v19, v8
	v_div_fmas_f32 v7, v7, v18, v19
	v_div_fixup_f32 v7, v7, v9, v10
	v_fmac_f32_e32 v9, v10, v7
	v_div_scale_f32 v8, s[8:9], v9, v9, 1.0
	v_div_scale_f32 v10, vcc, 1.0, v9, 1.0
	v_rcp_f32_e32 v18, v8
	v_fma_f32 v19, -v8, v18, 1.0
	v_fmac_f32_e32 v18, v19, v18
	v_mul_f32_e32 v19, v10, v18
	v_fma_f32 v20, -v8, v19, v10
	v_fmac_f32_e32 v19, v20, v18
	v_fma_f32 v8, -v8, v19, v10
	v_div_fmas_f32 v8, v8, v18, v19
	v_fma_f32 v10, v7, v12, v11
	v_fma_f32 v11, -v7, v11, v12
	v_div_fixup_f32 v8, v8, v9, 1.0
	v_mul_f32_e32 v7, v10, v8
	v_mul_f32_e32 v8, v11, v8
.LBB157_61:                             ;   in Loop: Header=BB157_51 Depth=1
	s_add_i32 s8, s14, -1
	s_add_i32 s22, s18, -16
	;; [unrolled: 1-line block ×3, first 2 shown]
	v_mov_b32_e32 v9, s22
	s_lshl_b32 s8, s8, 3
	ds_read_b64 v[11:12], v9
	s_sub_i32 s23, s19, s8
	s_lshl_b32 s22, s9, 3
	s_add_i32 s8, s23, s22
	s_add_i32 s19, s18, 0xfffffeb0
	ds_write_b64 v17, v[7:8]
	v_mov_b32_e32 v9, s8
	v_mov_b32_e32 v10, s19
	ds_read_b64 v[17:18], v9
	ds_read_b64 v[9:10], v10
	s_waitcnt lgkmcnt(3)
	v_mul_f32_e32 v19, v6, v12
	v_mul_f32_e32 v12, v5, v12
	v_fmac_f32_e32 v12, v6, v11
	v_fma_f32 v19, v5, v11, -v19
	v_sub_f32_e32 v4, v4, v12
	s_waitcnt lgkmcnt(1)
	v_mul_f32_e32 v11, v8, v18
	v_mul_f32_e32 v12, v7, v18
	v_sub_f32_e32 v3, v3, v19
	v_fma_f32 v11, v7, v17, -v11
	v_fmac_f32_e32 v12, v8, v17
	s_waitcnt lgkmcnt(0)
	v_cmp_ngt_f32_e64 s[26:27], |v9|, |v10|
	v_sub_f32_e32 v3, v3, v11
	v_sub_f32_e32 v4, v4, v12
	s_mov_b64 s[8:9], -1
	s_and_b64 vcc, exec, s[26:27]
                                        ; implicit-def: $vgpr12
	s_cbranch_vccz .LBB157_63
; %bb.62:                               ;   in Loop: Header=BB157_51 Depth=1
	v_div_scale_f32 v11, s[8:9], v10, v10, v9
	v_div_scale_f32 v12, vcc, v9, v10, v9
	v_rcp_f32_e32 v17, v11
	v_fma_f32 v18, -v11, v17, 1.0
	v_fmac_f32_e32 v17, v18, v17
	v_mul_f32_e32 v18, v12, v17
	v_fma_f32 v19, -v11, v18, v12
	v_fmac_f32_e32 v18, v19, v17
	v_fma_f32 v11, -v11, v18, v12
	v_div_fmas_f32 v11, v11, v17, v18
	v_div_fixup_f32 v11, v11, v10, v9
	v_fma_f32 v12, v9, v11, v10
	v_div_scale_f32 v17, s[8:9], v12, v12, 1.0
	v_div_scale_f32 v18, vcc, 1.0, v12, 1.0
	s_mov_b64 s[8:9], 0
	v_rcp_f32_e32 v19, v17
	v_fma_f32 v20, -v17, v19, 1.0
	v_fmac_f32_e32 v19, v20, v19
	v_mul_f32_e32 v20, v18, v19
	v_fma_f32 v21, -v17, v20, v18
	v_fmac_f32_e32 v20, v21, v19
	v_fma_f32 v17, -v17, v20, v18
	v_div_fmas_f32 v17, v17, v19, v20
	v_fma_f32 v18, v11, v3, v4
	v_fma_f32 v19, v11, v4, -v3
	v_div_fixup_f32 v12, v17, v12, 1.0
	v_mul_f32_e32 v11, v18, v12
	v_mul_f32_e32 v12, v19, v12
.LBB157_63:                             ;   in Loop: Header=BB157_51 Depth=1
	s_andn2_b64 vcc, exec, s[8:9]
	s_cbranch_vccnz .LBB157_65
; %bb.64:                               ;   in Loop: Header=BB157_51 Depth=1
	v_div_scale_f32 v11, s[8:9], v9, v9, v10
	v_div_scale_f32 v12, vcc, v10, v9, v10
	v_rcp_f32_e32 v17, v11
	v_fma_f32 v18, -v11, v17, 1.0
	v_fmac_f32_e32 v17, v18, v17
	v_mul_f32_e32 v18, v12, v17
	v_fma_f32 v19, -v11, v18, v12
	v_fmac_f32_e32 v18, v19, v17
	v_fma_f32 v11, -v11, v18, v12
	v_div_fmas_f32 v11, v11, v17, v18
	v_div_fixup_f32 v11, v11, v9, v10
	v_fmac_f32_e32 v9, v10, v11
	v_div_scale_f32 v10, s[8:9], v9, v9, 1.0
	v_div_scale_f32 v12, vcc, 1.0, v9, 1.0
	v_rcp_f32_e32 v17, v10
	v_fma_f32 v18, -v10, v17, 1.0
	v_fmac_f32_e32 v17, v18, v17
	v_mul_f32_e32 v18, v12, v17
	v_fma_f32 v19, -v10, v18, v12
	v_fmac_f32_e32 v18, v19, v17
	v_fma_f32 v10, -v10, v18, v12
	v_div_fmas_f32 v10, v10, v17, v18
	v_fma_f32 v12, v11, v4, v3
	v_fma_f32 v3, -v11, v3, v4
	v_div_fixup_f32 v4, v10, v9, 1.0
	v_mul_f32_e32 v11, v12, v4
	v_mul_f32_e32 v12, v3, v4
.LBB157_65:                             ;   in Loop: Header=BB157_51 Depth=1
	s_sub_i32 s8, s18, 24
	v_mov_b32_e32 v3, s8
	s_lshl_b32 s8, s15, 3
	ds_read_b64 v[9:10], v3
	s_add_i32 s9, s23, s8
	v_mov_b32_e32 v3, s9
	s_sub_i32 s9, s19, s22
	s_add_i32 s8, s9, s8
	v_mov_b32_e32 v4, s8
	s_add_i32 s8, s19, 0xffffff58
	ds_write_b64 v16, v[11:12]
	v_mov_b32_e32 v20, s8
	ds_read_b64 v[16:17], v3
	ds_read_b64 v[18:19], v4
	;; [unrolled: 1-line block ×3, first 2 shown]
	s_waitcnt lgkmcnt(4)
	v_mul_f32_e32 v20, v6, v10
	v_fma_f32 v20, v5, v9, -v20
	v_mul_f32_e32 v5, v5, v10
	v_fmac_f32_e32 v5, v6, v9
	v_sub_f32_e32 v2, v2, v5
	s_waitcnt lgkmcnt(2)
	v_mul_f32_e32 v5, v8, v17
	v_mul_f32_e32 v6, v7, v17
	v_sub_f32_e32 v1, v1, v20
	v_fma_f32 v5, v7, v16, -v5
	v_fmac_f32_e32 v6, v8, v16
	v_sub_f32_e32 v1, v1, v5
	v_sub_f32_e32 v2, v2, v6
	s_waitcnt lgkmcnt(1)
	v_mul_f32_e32 v5, v12, v19
	v_mul_f32_e32 v6, v11, v19
	v_fma_f32 v5, v11, v18, -v5
	v_fmac_f32_e32 v6, v12, v18
	s_waitcnt lgkmcnt(0)
	v_cmp_ngt_f32_e64 s[18:19], |v3|, |v4|
	v_sub_f32_e32 v5, v1, v5
	v_sub_f32_e32 v6, v2, v6
	s_mov_b64 s[8:9], -1
	s_and_b64 vcc, exec, s[18:19]
                                        ; implicit-def: $vgpr2
	s_cbranch_vccz .LBB157_67
; %bb.66:                               ;   in Loop: Header=BB157_51 Depth=1
	v_div_scale_f32 v1, s[8:9], v4, v4, v3
	v_div_scale_f32 v2, vcc, v3, v4, v3
	v_rcp_f32_e32 v7, v1
	v_fma_f32 v8, -v1, v7, 1.0
	v_fmac_f32_e32 v7, v8, v7
	v_mul_f32_e32 v8, v2, v7
	v_fma_f32 v9, -v1, v8, v2
	v_fmac_f32_e32 v8, v9, v7
	v_fma_f32 v1, -v1, v8, v2
	v_div_fmas_f32 v1, v1, v7, v8
	v_div_fixup_f32 v1, v1, v4, v3
	v_fma_f32 v2, v3, v1, v4
	v_div_scale_f32 v7, s[8:9], v2, v2, 1.0
	v_div_scale_f32 v8, vcc, 1.0, v2, 1.0
	s_mov_b64 s[8:9], 0
	v_rcp_f32_e32 v9, v7
	v_fma_f32 v10, -v7, v9, 1.0
	v_fmac_f32_e32 v9, v10, v9
	v_mul_f32_e32 v10, v8, v9
	v_fma_f32 v11, -v7, v10, v8
	v_fmac_f32_e32 v10, v11, v9
	v_fma_f32 v7, -v7, v10, v8
	v_div_fmas_f32 v7, v7, v9, v10
	v_fma_f32 v8, v1, v5, v6
	v_fma_f32 v9, v1, v6, -v5
	v_div_fixup_f32 v2, v7, v2, 1.0
	v_mul_f32_e32 v1, v8, v2
	v_mul_f32_e32 v2, v9, v2
.LBB157_67:                             ;   in Loop: Header=BB157_51 Depth=1
	s_andn2_b64 vcc, exec, s[8:9]
	s_cbranch_vccnz .LBB157_69
; %bb.68:                               ;   in Loop: Header=BB157_51 Depth=1
	v_div_scale_f32 v1, s[8:9], v3, v3, v4
	v_div_scale_f32 v2, vcc, v4, v3, v4
	v_rcp_f32_e32 v7, v1
	v_fma_f32 v8, -v1, v7, 1.0
	v_fmac_f32_e32 v7, v8, v7
	v_mul_f32_e32 v8, v2, v7
	v_fma_f32 v9, -v1, v8, v2
	v_fmac_f32_e32 v8, v9, v7
	v_fma_f32 v1, -v1, v8, v2
	v_div_fmas_f32 v1, v1, v7, v8
	v_div_fixup_f32 v1, v1, v3, v4
	v_fmac_f32_e32 v3, v4, v1
	v_div_scale_f32 v2, s[8:9], v3, v3, 1.0
	v_div_scale_f32 v4, vcc, 1.0, v3, 1.0
	v_rcp_f32_e32 v7, v2
	v_fma_f32 v8, -v2, v7, 1.0
	v_fmac_f32_e32 v7, v8, v7
	v_mul_f32_e32 v8, v4, v7
	v_fma_f32 v9, -v2, v8, v4
	v_fmac_f32_e32 v8, v9, v7
	v_fma_f32 v2, -v2, v8, v4
	v_div_fmas_f32 v2, v2, v7, v8
	v_fma_f32 v4, v1, v6, v5
	v_fma_f32 v5, -v1, v5, v6
	v_div_fixup_f32 v2, v2, v3, 1.0
	v_mul_f32_e32 v1, v4, v2
	v_mul_f32_e32 v2, v5, v2
.LBB157_69:                             ;   in Loop: Header=BB157_51 Depth=1
	s_add_i32 s15, s14, -4
	s_sub_i32 s13, s13, 32
	s_cmp_lt_i32 s14, 7
	ds_write_b64 v14, v[1:2]
	s_cbranch_scc1 .LBB157_71
; %bb.70:                               ;   in Loop: Header=BB157_51 Depth=1
	s_mov_b32 s14, s15
	s_branch .LBB157_51
.LBB157_71:
	s_cmp_lt_i32 s15, 0
	s_cbranch_scc1 .LBB157_80
; %bb.72:
	s_mul_i32 s8, s24, 0xa0
	s_lshl_b32 s9, s15, 3
	s_add_i32 s9, s8, s9
	v_lshl_add_u32 v1, v0, 3, s8
	s_add_i32 s13, s9, 0xffffff60
	v_add_u32_e32 v7, 0xbe0, v1
	s_branch .LBB157_74
.LBB157_73:                             ;   in Loop: Header=BB157_74 Depth=1
	v_sub_co_u32_e64 v1, s[8:9], s15, 1
	v_readfirstlane_b32 s15, v1
	s_add_i32 s13, s13, -8
	s_and_b64 vcc, exec, s[8:9]
	ds_write_b64 v8, v[5:6]
	s_cbranch_vccnz .LBB157_80
.LBB157_74:                             ; =>This Loop Header: Depth=1
                                        ;     Child Loop BB157_75 Depth 2
	s_mul_i32 s8, s15, 0xa0
	v_add_u32_e32 v8, s8, v15
	ds_read_b64 v[1:2], v8
	s_cmp_le_i32 s11, s15
	v_mov_b32_e32 v3, v7
	s_mov_b32 s9, s13
	s_mov_b32 s14, s11
	s_cbranch_scc1 .LBB157_76
.LBB157_75:                             ;   Parent Loop BB157_74 Depth=1
                                        ; =>  This Inner Loop Header: Depth=2
	v_mov_b32_e32 v6, s9
	ds_read_b64 v[4:5], v3
	ds_read_b64 v[9:10], v6
	s_add_i32 s14, s14, -1
	s_addk_i32 s9, 0xff60
	v_add_u32_e32 v3, 0xffffff60, v3
	s_cmp_le_u32 s14, s15
	s_waitcnt lgkmcnt(0)
	v_mul_f32_e32 v6, v10, v5
	v_mul_f32_e32 v5, v9, v5
	v_fma_f32 v6, v9, v4, -v6
	v_fmac_f32_e32 v5, v10, v4
	v_sub_f32_e32 v1, v1, v6
	v_sub_f32_e32 v2, v2, v5
	s_cbranch_scc0 .LBB157_75
.LBB157_76:                             ;   in Loop: Header=BB157_74 Depth=1
	s_lshl_b32 s9, s15, 3
	s_add_i32 s8, s9, s8
	v_mov_b32_e32 v3, s8
	ds_read_b64 v[3:4], v3
	s_mov_b64 s[8:9], -1
                                        ; implicit-def: $vgpr5
	s_waitcnt lgkmcnt(0)
	v_cmp_ngt_f32_e64 s[18:19], |v3|, |v4|
	s_and_b64 vcc, exec, s[18:19]
	s_cbranch_vccz .LBB157_78
; %bb.77:                               ;   in Loop: Header=BB157_74 Depth=1
	v_div_scale_f32 v5, s[8:9], v4, v4, v3
	v_div_scale_f32 v6, vcc, v3, v4, v3
	v_rcp_f32_e32 v9, v5
	v_fma_f32 v10, -v5, v9, 1.0
	v_fmac_f32_e32 v9, v10, v9
	v_mul_f32_e32 v10, v6, v9
	v_fma_f32 v11, -v5, v10, v6
	v_fmac_f32_e32 v10, v11, v9
	v_fma_f32 v5, -v5, v10, v6
	v_div_fmas_f32 v5, v5, v9, v10
	v_div_fixup_f32 v5, v5, v4, v3
	v_fma_f32 v6, v3, v5, v4
	v_div_scale_f32 v9, s[8:9], v6, v6, 1.0
	v_div_scale_f32 v10, vcc, 1.0, v6, 1.0
	s_mov_b64 s[8:9], 0
	v_rcp_f32_e32 v11, v9
	v_fma_f32 v12, -v9, v11, 1.0
	v_fmac_f32_e32 v11, v12, v11
	v_mul_f32_e32 v12, v10, v11
	v_fma_f32 v13, -v9, v12, v10
	v_fmac_f32_e32 v12, v13, v11
	v_fma_f32 v9, -v9, v12, v10
	v_div_fmas_f32 v9, v9, v11, v12
	v_fma_f32 v10, v1, v5, v2
	v_fma_f32 v11, v2, v5, -v1
	v_div_fixup_f32 v6, v9, v6, 1.0
	v_mul_f32_e32 v5, v10, v6
	v_mul_f32_e32 v6, v11, v6
.LBB157_78:                             ;   in Loop: Header=BB157_74 Depth=1
	s_andn2_b64 vcc, exec, s[8:9]
	s_cbranch_vccnz .LBB157_73
; %bb.79:                               ;   in Loop: Header=BB157_74 Depth=1
	v_div_scale_f32 v5, s[8:9], v3, v3, v4
	v_div_scale_f32 v6, vcc, v4, v3, v4
	v_rcp_f32_e32 v9, v5
	v_fma_f32 v10, -v5, v9, 1.0
	v_fmac_f32_e32 v9, v10, v9
	v_mul_f32_e32 v10, v6, v9
	v_fma_f32 v11, -v5, v10, v6
	v_fmac_f32_e32 v10, v11, v9
	v_fma_f32 v5, -v5, v10, v6
	v_div_fmas_f32 v5, v5, v9, v10
	v_div_fixup_f32 v5, v5, v3, v4
	v_fmac_f32_e32 v3, v4, v5
	v_div_scale_f32 v4, s[8:9], v3, v3, 1.0
	v_div_scale_f32 v6, vcc, 1.0, v3, 1.0
	v_rcp_f32_e32 v9, v4
	v_fma_f32 v10, -v4, v9, 1.0
	v_fmac_f32_e32 v9, v10, v9
	v_mul_f32_e32 v10, v6, v9
	v_fma_f32 v11, -v4, v10, v6
	v_fmac_f32_e32 v10, v11, v9
	v_fma_f32 v4, -v4, v10, v6
	v_div_fmas_f32 v4, v4, v9, v10
	v_fma_f32 v6, v2, v5, v1
	v_fma_f32 v1, -v1, v5, v2
	v_div_fixup_f32 v2, v4, v3, 1.0
	v_mul_f32_e32 v5, v6, v2
	v_mul_f32_e32 v6, v1, v2
	s_branch .LBB157_73
.LBB157_80:
	s_mov_b64 s[8:9], 0
.LBB157_81:
	s_andn2_b64 vcc, exec, s[8:9]
	s_cbranch_vccnz .LBB157_113
; %bb.82:
	s_andn2_b64 vcc, exec, s[6:7]
	s_mul_i32 s8, s24, 0xa0
	s_mov_b32 s14, s11
	s_cbranch_vccnz .LBB157_104
; %bb.83:
	v_lshl_add_u32 v1, v0, 3, s8
	s_mul_i32 s6, s24, 0xa8
	v_add_u32_e32 v13, 0xbe0, v1
	s_add_i32 s9, s6, 0xfffffd78
	s_mov_b32 s13, s11
.LBB157_84:                             ; =>This Loop Header: Depth=1
                                        ;     Child Loop BB157_85 Depth 2
	s_mul_i32 s14, s13, 20
	v_lshl_add_u32 v18, s14, 3, v15
	v_add_u32_e32 v17, 0xffffff60, v18
	v_add_u32_e32 v16, 0xfffffec0, v18
	;; [unrolled: 1-line block ×3, first 2 shown]
	ds_read_b64 v[1:2], v18
	ds_read_b64 v[11:12], v17
	;; [unrolled: 1-line block ×4, first 2 shown]
	s_cmp_le_i32 s11, s13
	s_mov_b32 s6, s9
	v_mov_b32_e32 v3, v13
	s_mov_b32 s7, s11
	s_cbranch_scc1 .LBB157_86
.LBB157_85:                             ;   Parent Loop BB157_84 Depth=1
                                        ; =>  This Inner Loop Header: Depth=2
	v_mov_b32_e32 v4, s6
	ds_read_b64 v[9:10], v3
	ds_read2_b64 v[19:22], v4 offset0:40 offset1:60
	ds_read2_b64 v[23:26], v4 offset1:20
	s_add_i32 s7, s7, -1
	s_add_i32 s6, s6, -8
	v_add_u32_e32 v3, 0xffffff60, v3
	s_waitcnt lgkmcnt(1)
	v_mul_f32_e32 v4, v22, v10
	v_mul_f32_e32 v27, v21, v10
	;; [unrolled: 1-line block ×4, first 2 shown]
	s_waitcnt lgkmcnt(0)
	v_mul_f32_e32 v29, v26, v10
	v_mul_f32_e32 v26, v26, v9
	;; [unrolled: 1-line block ×4, first 2 shown]
	v_fma_f32 v4, v21, v9, -v4
	v_fmac_f32_e32 v27, v22, v9
	v_fma_f32 v21, v19, v9, -v28
	v_fmac_f32_e32 v20, v19, v10
	;; [unrolled: 2-line block ×4, first 2 shown]
	s_cmp_le_i32 s7, s13
	v_sub_f32_e32 v1, v1, v4
	v_sub_f32_e32 v2, v2, v27
	;; [unrolled: 1-line block ×8, first 2 shown]
	s_cbranch_scc0 .LBB157_85
.LBB157_86:                             ;   in Loop: Header=BB157_84 Depth=1
	s_mul_i32 s6, s13, 0xa8
	v_mov_b32_e32 v3, s6
	ds_read_b64 v[3:4], v3
	s_mov_b64 s[6:7], -1
                                        ; implicit-def: $vgpr10
	s_waitcnt lgkmcnt(0)
	v_cmp_ngt_f32_e64 s[18:19], |v3|, |v4|
	s_and_b64 vcc, exec, s[18:19]
	s_cbranch_vccz .LBB157_88
; %bb.87:                               ;   in Loop: Header=BB157_84 Depth=1
	v_div_scale_f32 v9, s[6:7], v4, v4, v3
	v_div_scale_f32 v10, vcc, v3, v4, v3
	v_rcp_f32_e32 v19, v9
	v_fma_f32 v20, -v9, v19, 1.0
	v_fmac_f32_e32 v19, v20, v19
	v_mul_f32_e32 v20, v10, v19
	v_fma_f32 v21, -v9, v20, v10
	v_fmac_f32_e32 v20, v21, v19
	v_fma_f32 v9, -v9, v20, v10
	v_div_fmas_f32 v9, v9, v19, v20
	v_div_fixup_f32 v9, v9, v4, v3
	v_fma_f32 v10, v3, v9, v4
	v_div_scale_f32 v19, s[6:7], v10, v10, 1.0
	v_div_scale_f32 v20, vcc, 1.0, v10, 1.0
	s_mov_b64 s[6:7], 0
	v_rcp_f32_e32 v21, v19
	v_fma_f32 v22, -v19, v21, 1.0
	v_fmac_f32_e32 v21, v22, v21
	v_mul_f32_e32 v22, v20, v21
	v_fma_f32 v23, -v19, v22, v20
	v_fmac_f32_e32 v22, v23, v21
	v_fma_f32 v19, -v19, v22, v20
	v_div_fmas_f32 v19, v19, v21, v22
	v_fma_f32 v20, v1, v9, v2
	v_fma_f32 v21, v2, v9, -v1
	v_div_fixup_f32 v10, v19, v10, 1.0
	v_mul_f32_e32 v9, v20, v10
	v_mul_f32_e32 v10, v21, v10
.LBB157_88:                             ;   in Loop: Header=BB157_84 Depth=1
	s_andn2_b64 vcc, exec, s[6:7]
	s_cbranch_vccnz .LBB157_90
; %bb.89:                               ;   in Loop: Header=BB157_84 Depth=1
	v_div_scale_f32 v9, s[6:7], v3, v3, v4
	v_div_scale_f32 v10, vcc, v4, v3, v4
	v_rcp_f32_e32 v19, v9
	v_fma_f32 v20, -v9, v19, 1.0
	v_fmac_f32_e32 v19, v20, v19
	v_mul_f32_e32 v20, v10, v19
	v_fma_f32 v21, -v9, v20, v10
	v_fmac_f32_e32 v20, v21, v19
	v_fma_f32 v9, -v9, v20, v10
	v_div_fmas_f32 v9, v9, v19, v20
	v_div_fixup_f32 v9, v9, v3, v4
	v_fmac_f32_e32 v3, v4, v9
	v_div_scale_f32 v4, s[6:7], v3, v3, 1.0
	v_div_scale_f32 v10, vcc, 1.0, v3, 1.0
	v_rcp_f32_e32 v19, v4
	v_fma_f32 v20, -v4, v19, 1.0
	v_fmac_f32_e32 v19, v20, v19
	v_mul_f32_e32 v20, v10, v19
	v_fma_f32 v21, -v4, v20, v10
	v_fmac_f32_e32 v20, v21, v19
	v_fma_f32 v4, -v4, v20, v10
	v_div_fmas_f32 v4, v4, v19, v20
	v_fma_f32 v10, v2, v9, v1
	v_fma_f32 v1, -v1, v9, v2
	v_div_fixup_f32 v2, v4, v3, 1.0
	v_mul_f32_e32 v9, v10, v2
	v_mul_f32_e32 v10, v1, v2
.LBB157_90:                             ;   in Loop: Header=BB157_84 Depth=1
	s_lshl_b32 s14, s14, 3
	s_lshl_b32 s15, s13, 3
	s_addk_i32 s14, 0xff60
	s_add_i32 s6, s15, s14
	s_add_i32 s6, s6, -8
	v_mov_b32_e32 v1, s6
	ds_read2_b64 v[1:4], v1 offset1:1
	ds_write_b64 v18, v[9:10]
	s_mov_b64 s[6:7], -1
	s_waitcnt lgkmcnt(1)
	v_mul_f32_e32 v18, v10, v4
	v_mul_f32_e32 v4, v9, v4
	v_fma_f32 v18, v9, v3, -v18
	v_fmac_f32_e32 v4, v10, v3
	v_cmp_ngt_f32_e64 s[18:19], |v1|, |v2|
	v_sub_f32_e32 v3, v11, v18
	v_sub_f32_e32 v4, v12, v4
	s_and_b64 vcc, exec, s[18:19]
                                        ; implicit-def: $vgpr12
	s_cbranch_vccz .LBB157_92
; %bb.91:                               ;   in Loop: Header=BB157_84 Depth=1
	v_div_scale_f32 v11, s[6:7], v2, v2, v1
	v_div_scale_f32 v12, vcc, v1, v2, v1
	v_rcp_f32_e32 v18, v11
	v_fma_f32 v19, -v11, v18, 1.0
	v_fmac_f32_e32 v18, v19, v18
	v_mul_f32_e32 v19, v12, v18
	v_fma_f32 v20, -v11, v19, v12
	v_fmac_f32_e32 v19, v20, v18
	v_fma_f32 v11, -v11, v19, v12
	v_div_fmas_f32 v11, v11, v18, v19
	v_div_fixup_f32 v11, v11, v2, v1
	v_fma_f32 v12, v1, v11, v2
	v_div_scale_f32 v18, s[6:7], v12, v12, 1.0
	v_div_scale_f32 v19, vcc, 1.0, v12, 1.0
	s_mov_b64 s[6:7], 0
	v_rcp_f32_e32 v20, v18
	v_fma_f32 v21, -v18, v20, 1.0
	v_fmac_f32_e32 v20, v21, v20
	v_mul_f32_e32 v21, v19, v20
	v_fma_f32 v22, -v18, v21, v19
	v_fmac_f32_e32 v21, v22, v20
	v_fma_f32 v18, -v18, v21, v19
	v_div_fmas_f32 v18, v18, v20, v21
	v_fma_f32 v19, v11, v3, v4
	v_fma_f32 v20, v11, v4, -v3
	v_div_fixup_f32 v12, v18, v12, 1.0
	v_mul_f32_e32 v11, v19, v12
	v_mul_f32_e32 v12, v20, v12
.LBB157_92:                             ;   in Loop: Header=BB157_84 Depth=1
	s_andn2_b64 vcc, exec, s[6:7]
	s_cbranch_vccnz .LBB157_94
; %bb.93:                               ;   in Loop: Header=BB157_84 Depth=1
	v_div_scale_f32 v11, s[6:7], v1, v1, v2
	v_div_scale_f32 v12, vcc, v2, v1, v2
	v_rcp_f32_e32 v18, v11
	v_fma_f32 v19, -v11, v18, 1.0
	v_fmac_f32_e32 v18, v19, v18
	v_mul_f32_e32 v19, v12, v18
	v_fma_f32 v20, -v11, v19, v12
	v_fmac_f32_e32 v19, v20, v18
	v_fma_f32 v11, -v11, v19, v12
	v_div_fmas_f32 v11, v11, v18, v19
	v_div_fixup_f32 v11, v11, v1, v2
	v_fmac_f32_e32 v1, v2, v11
	v_div_scale_f32 v2, s[6:7], v1, v1, 1.0
	v_div_scale_f32 v12, vcc, 1.0, v1, 1.0
	v_rcp_f32_e32 v18, v2
	v_fma_f32 v19, -v2, v18, 1.0
	v_fmac_f32_e32 v18, v19, v18
	v_mul_f32_e32 v19, v12, v18
	v_fma_f32 v20, -v2, v19, v12
	v_fmac_f32_e32 v19, v20, v18
	v_fma_f32 v2, -v2, v19, v12
	v_div_fmas_f32 v2, v2, v18, v19
	v_fma_f32 v12, v11, v4, v3
	v_fma_f32 v3, -v11, v3, v4
	v_div_fixup_f32 v1, v2, v1, 1.0
	v_mul_f32_e32 v11, v12, v1
	v_mul_f32_e32 v12, v3, v1
.LBB157_94:                             ;   in Loop: Header=BB157_84 Depth=1
	s_addk_i32 s14, 0xff60
	s_add_i32 s14, s14, s15
	v_mov_b32_e32 v1, s14
	ds_read_b64 v[18:19], v1
	s_add_i32 s6, s14, -16
	v_mov_b32_e32 v1, s6
	ds_read2_b64 v[1:4], v1 offset1:1
	ds_write_b64 v17, v[11:12]
	s_waitcnt lgkmcnt(2)
	v_mul_f32_e32 v17, v10, v19
	v_fma_f32 v17, v9, v18, -v17
	v_mul_f32_e32 v19, v9, v19
	v_fmac_f32_e32 v19, v10, v18
	v_sub_f32_e32 v7, v7, v17
	s_waitcnt lgkmcnt(1)
	v_mul_f32_e32 v17, v12, v4
	v_mul_f32_e32 v4, v11, v4
	v_sub_f32_e32 v8, v8, v19
	v_fma_f32 v17, v11, v3, -v17
	v_fmac_f32_e32 v4, v12, v3
	v_cmp_ngt_f32_e64 s[18:19], |v1|, |v2|
	v_sub_f32_e32 v3, v7, v17
	v_sub_f32_e32 v4, v8, v4
	s_mov_b64 s[6:7], -1
	s_and_b64 vcc, exec, s[18:19]
                                        ; implicit-def: $vgpr8
	s_cbranch_vccz .LBB157_96
; %bb.95:                               ;   in Loop: Header=BB157_84 Depth=1
	v_div_scale_f32 v7, s[6:7], v2, v2, v1
	v_div_scale_f32 v8, vcc, v1, v2, v1
	v_rcp_f32_e32 v17, v7
	v_fma_f32 v18, -v7, v17, 1.0
	v_fmac_f32_e32 v17, v18, v17
	v_mul_f32_e32 v18, v8, v17
	v_fma_f32 v19, -v7, v18, v8
	v_fmac_f32_e32 v18, v19, v17
	v_fma_f32 v7, -v7, v18, v8
	v_div_fmas_f32 v7, v7, v17, v18
	v_div_fixup_f32 v7, v7, v2, v1
	v_fma_f32 v8, v1, v7, v2
	v_div_scale_f32 v17, s[6:7], v8, v8, 1.0
	v_div_scale_f32 v18, vcc, 1.0, v8, 1.0
	s_mov_b64 s[6:7], 0
	v_rcp_f32_e32 v19, v17
	v_fma_f32 v20, -v17, v19, 1.0
	v_fmac_f32_e32 v19, v20, v19
	v_mul_f32_e32 v20, v18, v19
	v_fma_f32 v21, -v17, v20, v18
	v_fmac_f32_e32 v20, v21, v19
	v_fma_f32 v17, -v17, v20, v18
	v_div_fmas_f32 v17, v17, v19, v20
	v_fma_f32 v18, v7, v3, v4
	v_fma_f32 v19, v7, v4, -v3
	v_div_fixup_f32 v8, v17, v8, 1.0
	v_mul_f32_e32 v7, v18, v8
	v_mul_f32_e32 v8, v19, v8
.LBB157_96:                             ;   in Loop: Header=BB157_84 Depth=1
	s_andn2_b64 vcc, exec, s[6:7]
	s_cbranch_vccnz .LBB157_98
; %bb.97:                               ;   in Loop: Header=BB157_84 Depth=1
	v_div_scale_f32 v7, s[6:7], v1, v1, v2
	v_div_scale_f32 v8, vcc, v2, v1, v2
	v_rcp_f32_e32 v17, v7
	v_fma_f32 v18, -v7, v17, 1.0
	v_fmac_f32_e32 v17, v18, v17
	v_mul_f32_e32 v18, v8, v17
	v_fma_f32 v19, -v7, v18, v8
	v_fmac_f32_e32 v18, v19, v17
	v_fma_f32 v7, -v7, v18, v8
	v_div_fmas_f32 v7, v7, v17, v18
	v_div_fixup_f32 v7, v7, v1, v2
	v_fmac_f32_e32 v1, v2, v7
	v_div_scale_f32 v2, s[6:7], v1, v1, 1.0
	v_div_scale_f32 v8, vcc, 1.0, v1, 1.0
	v_rcp_f32_e32 v17, v2
	v_fma_f32 v18, -v2, v17, 1.0
	v_fmac_f32_e32 v17, v18, v17
	v_mul_f32_e32 v18, v8, v17
	v_fma_f32 v19, -v2, v18, v8
	v_fmac_f32_e32 v18, v19, v17
	v_fma_f32 v2, -v2, v18, v8
	v_div_fmas_f32 v2, v2, v17, v18
	v_fma_f32 v8, v7, v4, v3
	v_fma_f32 v3, -v7, v3, v4
	v_div_fixup_f32 v1, v2, v1, 1.0
	v_mul_f32_e32 v7, v8, v1
	v_mul_f32_e32 v8, v3, v1
.LBB157_98:                             ;   in Loop: Header=BB157_84 Depth=1
	s_add_i32 s6, s14, 0xffffff58
	v_mov_b32_e32 v1, s6
	ds_read2_b64 v[17:20], v1 offset1:1
	s_add_i32 s6, s14, 0xffffff48
	v_mov_b32_e32 v1, s6
	ds_write_b64 v16, v[7:8]
	ds_read2_b64 v[1:4], v1 offset1:1
	s_waitcnt lgkmcnt(2)
	v_mul_f32_e32 v16, v10, v20
	v_fma_f32 v16, v9, v19, -v16
	v_mul_f32_e32 v9, v9, v20
	v_fmac_f32_e32 v9, v10, v19
	v_sub_f32_e32 v6, v6, v9
	v_mul_f32_e32 v9, v12, v18
	v_sub_f32_e32 v5, v5, v16
	v_fma_f32 v9, v11, v17, -v9
	v_mul_f32_e32 v10, v11, v18
	v_fmac_f32_e32 v10, v12, v17
	v_sub_f32_e32 v5, v5, v9
	s_waitcnt lgkmcnt(0)
	v_mul_f32_e32 v9, v8, v4
	v_mul_f32_e32 v4, v7, v4
	v_sub_f32_e32 v6, v6, v10
	v_fma_f32 v9, v7, v3, -v9
	v_fmac_f32_e32 v4, v8, v3
	v_cmp_ngt_f32_e64 s[14:15], |v1|, |v2|
	v_sub_f32_e32 v5, v5, v9
	v_sub_f32_e32 v6, v6, v4
	s_mov_b64 s[6:7], -1
	s_and_b64 vcc, exec, s[14:15]
                                        ; implicit-def: $vgpr4
	s_cbranch_vccz .LBB157_100
; %bb.99:                               ;   in Loop: Header=BB157_84 Depth=1
	v_div_scale_f32 v3, s[6:7], v2, v2, v1
	v_div_scale_f32 v4, vcc, v1, v2, v1
	v_rcp_f32_e32 v7, v3
	v_fma_f32 v8, -v3, v7, 1.0
	v_fmac_f32_e32 v7, v8, v7
	v_mul_f32_e32 v8, v4, v7
	v_fma_f32 v9, -v3, v8, v4
	v_fmac_f32_e32 v8, v9, v7
	v_fma_f32 v3, -v3, v8, v4
	v_div_fmas_f32 v3, v3, v7, v8
	v_div_fixup_f32 v3, v3, v2, v1
	v_fma_f32 v4, v1, v3, v2
	v_div_scale_f32 v7, s[6:7], v4, v4, 1.0
	v_div_scale_f32 v8, vcc, 1.0, v4, 1.0
	s_mov_b64 s[6:7], 0
	v_rcp_f32_e32 v9, v7
	v_fma_f32 v10, -v7, v9, 1.0
	v_fmac_f32_e32 v9, v10, v9
	v_mul_f32_e32 v10, v8, v9
	v_fma_f32 v11, -v7, v10, v8
	v_fmac_f32_e32 v10, v11, v9
	v_fma_f32 v7, -v7, v10, v8
	v_div_fmas_f32 v7, v7, v9, v10
	v_fma_f32 v8, v3, v5, v6
	v_fma_f32 v9, v3, v6, -v5
	v_div_fixup_f32 v4, v7, v4, 1.0
	v_mul_f32_e32 v3, v8, v4
	v_mul_f32_e32 v4, v9, v4
.LBB157_100:                            ;   in Loop: Header=BB157_84 Depth=1
	s_andn2_b64 vcc, exec, s[6:7]
	s_cbranch_vccnz .LBB157_102
; %bb.101:                              ;   in Loop: Header=BB157_84 Depth=1
	v_div_scale_f32 v3, s[6:7], v1, v1, v2
	v_div_scale_f32 v4, vcc, v2, v1, v2
	v_rcp_f32_e32 v7, v3
	v_fma_f32 v8, -v3, v7, 1.0
	v_fmac_f32_e32 v7, v8, v7
	v_mul_f32_e32 v8, v4, v7
	v_fma_f32 v9, -v3, v8, v4
	v_fmac_f32_e32 v8, v9, v7
	v_fma_f32 v3, -v3, v8, v4
	v_div_fmas_f32 v3, v3, v7, v8
	v_div_fixup_f32 v3, v3, v1, v2
	v_fmac_f32_e32 v1, v2, v3
	v_div_scale_f32 v2, s[6:7], v1, v1, 1.0
	v_div_scale_f32 v4, vcc, 1.0, v1, 1.0
	v_rcp_f32_e32 v7, v2
	v_fma_f32 v8, -v2, v7, 1.0
	v_fmac_f32_e32 v7, v8, v7
	v_mul_f32_e32 v8, v4, v7
	v_fma_f32 v9, -v2, v8, v4
	v_fmac_f32_e32 v8, v9, v7
	v_fma_f32 v2, -v2, v8, v4
	v_div_fmas_f32 v2, v2, v7, v8
	v_fma_f32 v4, v3, v6, v5
	v_fma_f32 v5, -v3, v5, v6
	v_div_fixup_f32 v1, v2, v1, 1.0
	v_mul_f32_e32 v3, v4, v1
	v_mul_f32_e32 v4, v5, v1
.LBB157_102:                            ;   in Loop: Header=BB157_84 Depth=1
	s_add_i32 s14, s13, -4
	s_addk_i32 s9, 0xfd80
	s_cmp_lt_i32 s13, 7
	ds_write_b64 v14, v[3:4]
	s_cbranch_scc1 .LBB157_104
; %bb.103:                              ;   in Loop: Header=BB157_84 Depth=1
	s_mov_b32 s13, s14
	s_branch .LBB157_84
.LBB157_104:
	s_cmp_lt_i32 s14, 0
	s_cbranch_scc1 .LBB157_113
; %bb.105:
	s_mul_i32 s6, s14, 0xa0
	s_lshl_b32 s7, s24, 3
	v_lshl_add_u32 v1, v0, 3, s8
	s_add_i32 s6, s6, s7
	v_add_u32_e32 v7, 0xbe0, v1
	s_add_i32 s8, s6, -8
	s_branch .LBB157_107
.LBB157_106:                            ;   in Loop: Header=BB157_107 Depth=1
	v_sub_co_u32_e64 v1, s[6:7], s14, 1
	v_readfirstlane_b32 s14, v1
	s_addk_i32 s8, 0xff60
	s_and_b64 vcc, exec, s[6:7]
	ds_write_b64 v8, v[5:6]
	s_cbranch_vccnz .LBB157_113
.LBB157_107:                            ; =>This Loop Header: Depth=1
                                        ;     Child Loop BB157_108 Depth 2
	s_mul_i32 s6, s14, 0xa0
	v_add_u32_e32 v8, s6, v15
	ds_read_b64 v[1:2], v8
	s_cmp_le_i32 s11, s14
	s_mov_b32 s6, s8
	v_mov_b32_e32 v3, v7
	s_mov_b32 s7, s11
	s_cbranch_scc1 .LBB157_109
.LBB157_108:                            ;   Parent Loop BB157_107 Depth=1
                                        ; =>  This Inner Loop Header: Depth=2
	v_mov_b32_e32 v6, s6
	ds_read_b64 v[4:5], v3
	ds_read_b64 v[9:10], v6
	s_add_i32 s7, s7, -1
	s_add_i32 s6, s6, -8
	v_add_u32_e32 v3, 0xffffff60, v3
	s_cmp_le_u32 s7, s14
	s_waitcnt lgkmcnt(0)
	v_mul_f32_e32 v6, v10, v5
	v_mul_f32_e32 v5, v9, v5
	v_fma_f32 v6, v9, v4, -v6
	v_fmac_f32_e32 v5, v10, v4
	v_sub_f32_e32 v1, v1, v6
	v_sub_f32_e32 v2, v2, v5
	s_cbranch_scc0 .LBB157_108
.LBB157_109:                            ;   in Loop: Header=BB157_107 Depth=1
	s_mul_i32 s6, s14, 0xa8
	v_mov_b32_e32 v3, s6
	ds_read_b64 v[3:4], v3
	s_mov_b64 s[6:7], -1
                                        ; implicit-def: $vgpr5
	s_waitcnt lgkmcnt(0)
	v_cmp_ngt_f32_e64 s[18:19], |v3|, |v4|
	s_and_b64 vcc, exec, s[18:19]
	s_cbranch_vccz .LBB157_111
; %bb.110:                              ;   in Loop: Header=BB157_107 Depth=1
	v_div_scale_f32 v5, s[6:7], v4, v4, v3
	v_div_scale_f32 v6, vcc, v3, v4, v3
	v_rcp_f32_e32 v9, v5
	v_fma_f32 v10, -v5, v9, 1.0
	v_fmac_f32_e32 v9, v10, v9
	v_mul_f32_e32 v10, v6, v9
	v_fma_f32 v11, -v5, v10, v6
	v_fmac_f32_e32 v10, v11, v9
	v_fma_f32 v5, -v5, v10, v6
	v_div_fmas_f32 v5, v5, v9, v10
	v_div_fixup_f32 v5, v5, v4, v3
	v_fma_f32 v6, v3, v5, v4
	v_div_scale_f32 v9, s[6:7], v6, v6, 1.0
	v_div_scale_f32 v10, vcc, 1.0, v6, 1.0
	s_mov_b64 s[6:7], 0
	v_rcp_f32_e32 v11, v9
	v_fma_f32 v12, -v9, v11, 1.0
	v_fmac_f32_e32 v11, v12, v11
	v_mul_f32_e32 v12, v10, v11
	v_fma_f32 v13, -v9, v12, v10
	v_fmac_f32_e32 v12, v13, v11
	v_fma_f32 v9, -v9, v12, v10
	v_div_fmas_f32 v9, v9, v11, v12
	v_fma_f32 v10, v1, v5, v2
	v_fma_f32 v11, v2, v5, -v1
	v_div_fixup_f32 v6, v9, v6, 1.0
	v_mul_f32_e32 v5, v10, v6
	v_mul_f32_e32 v6, v11, v6
.LBB157_111:                            ;   in Loop: Header=BB157_107 Depth=1
	s_andn2_b64 vcc, exec, s[6:7]
	s_cbranch_vccnz .LBB157_106
; %bb.112:                              ;   in Loop: Header=BB157_107 Depth=1
	v_div_scale_f32 v5, s[6:7], v3, v3, v4
	v_div_scale_f32 v6, vcc, v4, v3, v4
	v_rcp_f32_e32 v9, v5
	v_fma_f32 v10, -v5, v9, 1.0
	v_fmac_f32_e32 v9, v10, v9
	v_mul_f32_e32 v10, v6, v9
	v_fma_f32 v11, -v5, v10, v6
	v_fmac_f32_e32 v10, v11, v9
	v_fma_f32 v5, -v5, v10, v6
	v_div_fmas_f32 v5, v5, v9, v10
	v_div_fixup_f32 v5, v5, v3, v4
	v_fmac_f32_e32 v3, v4, v5
	v_div_scale_f32 v4, s[6:7], v3, v3, 1.0
	v_div_scale_f32 v6, vcc, 1.0, v3, 1.0
	v_rcp_f32_e32 v9, v4
	v_fma_f32 v10, -v4, v9, 1.0
	v_fmac_f32_e32 v9, v10, v9
	v_mul_f32_e32 v10, v6, v9
	v_fma_f32 v11, -v4, v10, v6
	v_fmac_f32_e32 v10, v11, v9
	v_fma_f32 v4, -v4, v10, v6
	v_div_fmas_f32 v4, v4, v9, v10
	v_fma_f32 v6, v2, v5, v1
	v_fma_f32 v1, -v1, v5, v2
	v_div_fixup_f32 v2, v4, v3, 1.0
	v_mul_f32_e32 v5, v6, v2
	v_mul_f32_e32 v6, v1, v2
	s_branch .LBB157_106
.LBB157_113:
	s_mov_b64 s[18:19], 0
.LBB157_114:
	s_andn2_b64 vcc, exec, s[18:19]
	s_cbranch_vccnz .LBB157_146
; %bb.115:
	v_mov_b32_e32 v1, 0xc80
	v_lshl_add_u32 v15, v0, 3, v1
	s_cmp_lt_i32 s12, 4
	s_mov_b32 s11, 0
	s_cbranch_scc1 .LBB157_137
; %bb.116:
	s_mov_b32 s8, 0
	s_mov_b32 s9, 0
.LBB157_117:                            ; =>This Loop Header: Depth=1
                                        ;     Child Loop BB157_118 Depth 2
	s_mul_i32 s11, s9, 20
	v_lshl_add_u32 v16, s11, 3, v15
	ds_read2_b64 v[5:8], v16 offset1:20
	ds_read2_b64 v[1:4], v16 offset0:40 offset1:60
	s_cmp_eq_u32 s9, 0
	s_mov_b32 s6, s8
	v_mov_b32_e32 v9, v15
	s_mov_b32 s7, s9
	s_cbranch_scc1 .LBB157_119
.LBB157_118:                            ;   Parent Loop BB157_117 Depth=1
                                        ; =>  This Inner Loop Header: Depth=2
	v_mov_b32_e32 v14, s6
	ds_read_b64 v[21:22], v9
	ds_read2_b64 v[10:13], v14 offset1:20
	ds_read2_b64 v[17:20], v14 offset0:40 offset1:60
	s_add_i32 s7, s7, -1
	s_add_i32 s6, s6, 8
	v_add_u32_e32 v9, 0xa0, v9
	s_waitcnt lgkmcnt(1)
	v_mul_f32_e32 v14, v11, v22
	v_mul_f32_e32 v23, v10, v22
	;; [unrolled: 1-line block ×4, first 2 shown]
	s_waitcnt lgkmcnt(0)
	v_mul_f32_e32 v25, v18, v22
	v_mul_f32_e32 v18, v18, v21
	;; [unrolled: 1-line block ×4, first 2 shown]
	v_fma_f32 v10, v10, v21, -v14
	v_fmac_f32_e32 v23, v11, v21
	v_fma_f32 v11, v12, v21, -v24
	v_fmac_f32_e32 v13, v12, v22
	;; [unrolled: 2-line block ×4, first 2 shown]
	s_cmp_eq_u32 s7, 0
	v_sub_f32_e32 v5, v5, v10
	v_sub_f32_e32 v6, v6, v23
	;; [unrolled: 1-line block ×8, first 2 shown]
	s_cbranch_scc0 .LBB157_118
.LBB157_119:                            ;   in Loop: Header=BB157_117 Depth=1
	s_mul_i32 s6, s9, 0xa8
	v_mov_b32_e32 v9, s6
	ds_read_b64 v[9:10], v9
	s_mov_b64 s[6:7], -1
                                        ; implicit-def: $vgpr14
	s_waitcnt lgkmcnt(0)
	v_cmp_ngt_f32_e64 s[14:15], |v9|, |v10|
	s_and_b64 vcc, exec, s[14:15]
	s_cbranch_vccz .LBB157_121
; %bb.120:                              ;   in Loop: Header=BB157_117 Depth=1
	v_div_scale_f32 v11, s[6:7], v10, v10, v9
	v_div_scale_f32 v12, vcc, v9, v10, v9
	v_rcp_f32_e32 v13, v11
	v_fma_f32 v14, -v11, v13, 1.0
	v_fmac_f32_e32 v13, v14, v13
	v_mul_f32_e32 v14, v12, v13
	v_fma_f32 v17, -v11, v14, v12
	v_fmac_f32_e32 v14, v17, v13
	v_fma_f32 v11, -v11, v14, v12
	v_div_fmas_f32 v11, v11, v13, v14
	v_div_fixup_f32 v11, v11, v10, v9
	v_fma_f32 v12, v9, v11, v10
	v_div_scale_f32 v13, s[6:7], v12, v12, 1.0
	v_div_scale_f32 v14, vcc, 1.0, v12, 1.0
	s_mov_b64 s[6:7], 0
	v_rcp_f32_e32 v17, v13
	v_fma_f32 v18, -v13, v17, 1.0
	v_fmac_f32_e32 v17, v18, v17
	v_mul_f32_e32 v18, v14, v17
	v_fma_f32 v19, -v13, v18, v14
	v_fmac_f32_e32 v18, v19, v17
	v_fma_f32 v13, -v13, v18, v14
	v_div_fmas_f32 v13, v13, v17, v18
	v_fma_f32 v14, v5, v11, v6
	v_fma_f32 v11, v6, v11, -v5
	v_div_fixup_f32 v12, v13, v12, 1.0
	v_mul_f32_e32 v13, v14, v12
	v_mul_f32_e32 v14, v11, v12
.LBB157_121:                            ;   in Loop: Header=BB157_117 Depth=1
	s_andn2_b64 vcc, exec, s[6:7]
	s_cbranch_vccnz .LBB157_123
; %bb.122:                              ;   in Loop: Header=BB157_117 Depth=1
	v_div_scale_f32 v11, s[6:7], v9, v9, v10
	v_div_scale_f32 v12, vcc, v10, v9, v10
	v_rcp_f32_e32 v13, v11
	v_fma_f32 v14, -v11, v13, 1.0
	v_fmac_f32_e32 v13, v14, v13
	v_mul_f32_e32 v14, v12, v13
	v_fma_f32 v17, -v11, v14, v12
	v_fmac_f32_e32 v14, v17, v13
	v_fma_f32 v11, -v11, v14, v12
	v_div_fmas_f32 v11, v11, v13, v14
	v_div_fixup_f32 v11, v11, v9, v10
	v_fmac_f32_e32 v9, v10, v11
	v_div_scale_f32 v10, s[6:7], v9, v9, 1.0
	v_div_scale_f32 v12, vcc, 1.0, v9, 1.0
	v_rcp_f32_e32 v13, v10
	v_fma_f32 v14, -v10, v13, 1.0
	v_fmac_f32_e32 v13, v14, v13
	v_mul_f32_e32 v14, v12, v13
	v_fma_f32 v17, -v10, v14, v12
	v_fmac_f32_e32 v14, v17, v13
	v_fma_f32 v10, -v10, v14, v12
	v_div_fmas_f32 v10, v10, v13, v14
	v_fma_f32 v12, v6, v11, v5
	v_fma_f32 v5, -v5, v11, v6
	v_div_fixup_f32 v6, v10, v9, 1.0
	v_mul_f32_e32 v13, v12, v6
	v_mul_f32_e32 v14, v5, v6
.LBB157_123:                            ;   in Loop: Header=BB157_117 Depth=1
	s_lshl_b32 s11, s11, 3
	s_addk_i32 s11, 0xa0
	s_lshl_b32 s13, s9, 3
	s_add_i32 s6, s11, s13
	v_mov_b32_e32 v5, s6
	ds_read_b128 v[9:12], v5
	s_mov_b64 s[6:7], -1
	ds_write_b64 v16, v[13:14]
	s_waitcnt lgkmcnt(1)
	v_mul_f32_e32 v5, v14, v10
	v_mul_f32_e32 v6, v13, v10
	v_fma_f32 v5, v13, v9, -v5
	v_fmac_f32_e32 v6, v14, v9
	v_cmp_ngt_f32_e64 s[14:15], |v11|, |v12|
	v_sub_f32_e32 v5, v7, v5
	v_sub_f32_e32 v6, v8, v6
	s_and_b64 vcc, exec, s[14:15]
                                        ; implicit-def: $vgpr10
	s_cbranch_vccz .LBB157_125
; %bb.124:                              ;   in Loop: Header=BB157_117 Depth=1
	v_div_scale_f32 v7, s[6:7], v12, v12, v11
	v_div_scale_f32 v8, vcc, v11, v12, v11
	v_rcp_f32_e32 v9, v7
	v_fma_f32 v10, -v7, v9, 1.0
	v_fmac_f32_e32 v9, v10, v9
	v_mul_f32_e32 v10, v8, v9
	v_fma_f32 v17, -v7, v10, v8
	v_fmac_f32_e32 v10, v17, v9
	v_fma_f32 v7, -v7, v10, v8
	v_div_fmas_f32 v7, v7, v9, v10
	v_div_fixup_f32 v7, v7, v12, v11
	v_fma_f32 v8, v11, v7, v12
	v_div_scale_f32 v9, s[6:7], v8, v8, 1.0
	v_div_scale_f32 v10, vcc, 1.0, v8, 1.0
	s_mov_b64 s[6:7], 0
	v_rcp_f32_e32 v17, v9
	v_fma_f32 v18, -v9, v17, 1.0
	v_fmac_f32_e32 v17, v18, v17
	v_mul_f32_e32 v18, v10, v17
	v_fma_f32 v19, -v9, v18, v10
	v_fmac_f32_e32 v18, v19, v17
	v_fma_f32 v9, -v9, v18, v10
	v_div_fmas_f32 v9, v9, v17, v18
	v_fma_f32 v10, v7, v5, v6
	v_fma_f32 v7, v7, v6, -v5
	v_div_fixup_f32 v8, v9, v8, 1.0
	v_mul_f32_e32 v9, v10, v8
	v_mul_f32_e32 v10, v7, v8
.LBB157_125:                            ;   in Loop: Header=BB157_117 Depth=1
	s_andn2_b64 vcc, exec, s[6:7]
	s_cbranch_vccnz .LBB157_127
; %bb.126:                              ;   in Loop: Header=BB157_117 Depth=1
	v_div_scale_f32 v7, s[6:7], v11, v11, v12
	v_div_scale_f32 v8, vcc, v12, v11, v12
	v_rcp_f32_e32 v9, v7
	v_fma_f32 v10, -v7, v9, 1.0
	v_fmac_f32_e32 v9, v10, v9
	v_mul_f32_e32 v10, v8, v9
	v_fma_f32 v17, -v7, v10, v8
	v_fmac_f32_e32 v10, v17, v9
	v_fma_f32 v7, -v7, v10, v8
	v_div_fmas_f32 v7, v7, v9, v10
	v_div_fixup_f32 v7, v7, v11, v12
	v_fmac_f32_e32 v11, v12, v7
	v_div_scale_f32 v8, s[6:7], v11, v11, 1.0
	v_div_scale_f32 v9, vcc, 1.0, v11, 1.0
	v_rcp_f32_e32 v10, v8
	v_fma_f32 v12, -v8, v10, 1.0
	v_fmac_f32_e32 v10, v12, v10
	v_mul_f32_e32 v12, v9, v10
	v_fma_f32 v17, -v8, v12, v9
	v_fmac_f32_e32 v12, v17, v10
	v_fma_f32 v8, -v8, v12, v9
	v_div_fmas_f32 v8, v8, v10, v12
	v_fma_f32 v9, v7, v6, v5
	v_fma_f32 v5, -v7, v5, v6
	v_div_fixup_f32 v6, v8, v11, 1.0
	v_mul_f32_e32 v9, v9, v6
	v_mul_f32_e32 v10, v5, v6
.LBB157_127:                            ;   in Loop: Header=BB157_117 Depth=1
	s_addk_i32 s11, 0xa0
	s_add_i32 s11, s11, s13
	v_mov_b32_e32 v5, s11
	ds_read_b128 v[17:20], v5
	ds_read_b64 v[5:6], v5 offset:16
	s_mov_b64 s[6:7], -1
	ds_write_b64 v16, v[9:10] offset:160
	s_waitcnt lgkmcnt(2)
	v_mul_f32_e32 v7, v14, v18
	v_mul_f32_e32 v8, v13, v18
	v_fma_f32 v7, v13, v17, -v7
	v_fmac_f32_e32 v8, v14, v17
	v_sub_f32_e32 v1, v1, v7
	v_sub_f32_e32 v2, v2, v8
	v_mul_f32_e32 v7, v10, v20
	v_mul_f32_e32 v8, v9, v20
	v_fma_f32 v7, v9, v19, -v7
	v_fmac_f32_e32 v8, v10, v19
	s_waitcnt lgkmcnt(1)
	v_cmp_ngt_f32_e64 s[14:15], |v5|, |v6|
	v_sub_f32_e32 v7, v1, v7
	v_sub_f32_e32 v8, v2, v8
	s_and_b64 vcc, exec, s[14:15]
                                        ; implicit-def: $vgpr2
	s_cbranch_vccz .LBB157_129
; %bb.128:                              ;   in Loop: Header=BB157_117 Depth=1
	v_div_scale_f32 v1, s[6:7], v6, v6, v5
	v_div_scale_f32 v2, vcc, v5, v6, v5
	v_rcp_f32_e32 v11, v1
	v_fma_f32 v12, -v1, v11, 1.0
	v_fmac_f32_e32 v11, v12, v11
	v_mul_f32_e32 v12, v2, v11
	v_fma_f32 v17, -v1, v12, v2
	v_fmac_f32_e32 v12, v17, v11
	v_fma_f32 v1, -v1, v12, v2
	v_div_fmas_f32 v1, v1, v11, v12
	v_div_fixup_f32 v1, v1, v6, v5
	v_fma_f32 v2, v5, v1, v6
	v_div_scale_f32 v11, s[6:7], v2, v2, 1.0
	v_div_scale_f32 v12, vcc, 1.0, v2, 1.0
	s_mov_b64 s[6:7], 0
	v_rcp_f32_e32 v17, v11
	v_fma_f32 v18, -v11, v17, 1.0
	v_fmac_f32_e32 v17, v18, v17
	v_mul_f32_e32 v18, v12, v17
	v_fma_f32 v19, -v11, v18, v12
	v_fmac_f32_e32 v18, v19, v17
	v_fma_f32 v11, -v11, v18, v12
	v_div_fmas_f32 v11, v11, v17, v18
	v_fma_f32 v12, v1, v7, v8
	v_fma_f32 v17, v1, v8, -v7
	v_div_fixup_f32 v2, v11, v2, 1.0
	v_mul_f32_e32 v1, v12, v2
	v_mul_f32_e32 v2, v17, v2
.LBB157_129:                            ;   in Loop: Header=BB157_117 Depth=1
	s_andn2_b64 vcc, exec, s[6:7]
	s_cbranch_vccnz .LBB157_131
; %bb.130:                              ;   in Loop: Header=BB157_117 Depth=1
	v_div_scale_f32 v1, s[6:7], v5, v5, v6
	v_div_scale_f32 v2, vcc, v6, v5, v6
	v_rcp_f32_e32 v11, v1
	v_fma_f32 v12, -v1, v11, 1.0
	v_fmac_f32_e32 v11, v12, v11
	v_mul_f32_e32 v12, v2, v11
	v_fma_f32 v17, -v1, v12, v2
	v_fmac_f32_e32 v12, v17, v11
	v_fma_f32 v1, -v1, v12, v2
	v_div_fmas_f32 v1, v1, v11, v12
	v_div_fixup_f32 v1, v1, v5, v6
	v_fmac_f32_e32 v5, v6, v1
	v_div_scale_f32 v2, s[6:7], v5, v5, 1.0
	v_div_scale_f32 v6, vcc, 1.0, v5, 1.0
	v_rcp_f32_e32 v11, v2
	v_fma_f32 v12, -v2, v11, 1.0
	v_fmac_f32_e32 v11, v12, v11
	v_mul_f32_e32 v12, v6, v11
	v_fma_f32 v17, -v2, v12, v6
	v_fmac_f32_e32 v12, v17, v11
	v_fma_f32 v2, -v2, v12, v6
	v_div_fmas_f32 v2, v2, v11, v12
	v_fma_f32 v6, v1, v8, v7
	v_fma_f32 v7, -v1, v7, v8
	v_div_fixup_f32 v2, v2, v5, 1.0
	v_mul_f32_e32 v1, v6, v2
	v_mul_f32_e32 v2, v7, v2
.LBB157_131:                            ;   in Loop: Header=BB157_117 Depth=1
	v_mov_b32_e32 v5, s11
	ds_read_b128 v[17:20], v5 offset:160
	ds_read_b128 v[5:8], v5 offset:176
	ds_write_b64 v16, v[1:2] offset:320
	s_mov_b64 s[6:7], -1
	s_waitcnt lgkmcnt(2)
	v_mul_f32_e32 v11, v14, v18
	v_fma_f32 v11, v13, v17, -v11
	v_mul_f32_e32 v12, v13, v18
	v_sub_f32_e32 v3, v3, v11
	v_mul_f32_e32 v11, v10, v20
	v_fmac_f32_e32 v12, v14, v17
	v_fma_f32 v11, v9, v19, -v11
	v_mul_f32_e32 v9, v9, v20
	v_sub_f32_e32 v4, v4, v12
	v_fmac_f32_e32 v9, v10, v19
	v_sub_f32_e32 v4, v4, v9
	s_waitcnt lgkmcnt(1)
	v_mul_f32_e32 v9, v2, v6
	v_fma_f32 v9, v1, v5, -v9
	v_mul_f32_e32 v1, v1, v6
	v_sub_f32_e32 v3, v3, v11
	v_fmac_f32_e32 v1, v2, v5
	v_cmp_ngt_f32_e64 s[14:15], |v7|, |v8|
	v_sub_f32_e32 v3, v3, v9
	v_sub_f32_e32 v4, v4, v1
	s_and_b64 vcc, exec, s[14:15]
                                        ; implicit-def: $vgpr2
	s_cbranch_vccz .LBB157_133
; %bb.132:                              ;   in Loop: Header=BB157_117 Depth=1
	v_div_scale_f32 v1, s[6:7], v8, v8, v7
	v_div_scale_f32 v2, vcc, v7, v8, v7
	v_rcp_f32_e32 v5, v1
	v_fma_f32 v6, -v1, v5, 1.0
	v_fmac_f32_e32 v5, v6, v5
	v_mul_f32_e32 v6, v2, v5
	v_fma_f32 v9, -v1, v6, v2
	v_fmac_f32_e32 v6, v9, v5
	v_fma_f32 v1, -v1, v6, v2
	v_div_fmas_f32 v1, v1, v5, v6
	v_div_fixup_f32 v1, v1, v8, v7
	v_fma_f32 v2, v7, v1, v8
	v_div_scale_f32 v5, s[6:7], v2, v2, 1.0
	v_div_scale_f32 v6, vcc, 1.0, v2, 1.0
	s_mov_b64 s[6:7], 0
	v_rcp_f32_e32 v9, v5
	v_fma_f32 v10, -v5, v9, 1.0
	v_fmac_f32_e32 v9, v10, v9
	v_mul_f32_e32 v10, v6, v9
	v_fma_f32 v11, -v5, v10, v6
	v_fmac_f32_e32 v10, v11, v9
	v_fma_f32 v5, -v5, v10, v6
	v_div_fmas_f32 v5, v5, v9, v10
	v_fma_f32 v6, v1, v3, v4
	v_fma_f32 v9, v1, v4, -v3
	v_div_fixup_f32 v2, v5, v2, 1.0
	v_mul_f32_e32 v1, v6, v2
	v_mul_f32_e32 v2, v9, v2
.LBB157_133:                            ;   in Loop: Header=BB157_117 Depth=1
	s_andn2_b64 vcc, exec, s[6:7]
	s_cbranch_vccnz .LBB157_135
; %bb.134:                              ;   in Loop: Header=BB157_117 Depth=1
	v_div_scale_f32 v1, s[6:7], v7, v7, v8
	v_div_scale_f32 v2, vcc, v8, v7, v8
	v_rcp_f32_e32 v5, v1
	v_fma_f32 v6, -v1, v5, 1.0
	v_fmac_f32_e32 v5, v6, v5
	v_mul_f32_e32 v6, v2, v5
	v_fma_f32 v9, -v1, v6, v2
	v_fmac_f32_e32 v6, v9, v5
	v_fma_f32 v1, -v1, v6, v2
	v_div_fmas_f32 v1, v1, v5, v6
	v_div_fixup_f32 v1, v1, v7, v8
	v_fmac_f32_e32 v7, v8, v1
	v_div_scale_f32 v2, s[6:7], v7, v7, 1.0
	v_div_scale_f32 v5, vcc, 1.0, v7, 1.0
	v_rcp_f32_e32 v6, v2
	v_fma_f32 v8, -v2, v6, 1.0
	v_fmac_f32_e32 v6, v8, v6
	v_mul_f32_e32 v8, v5, v6
	v_fma_f32 v9, -v2, v8, v5
	v_fmac_f32_e32 v8, v9, v6
	v_fma_f32 v2, -v2, v8, v5
	v_div_fmas_f32 v2, v2, v6, v8
	v_fma_f32 v5, v1, v4, v3
	v_fma_f32 v3, -v1, v3, v4
	v_div_fixup_f32 v2, v2, v7, 1.0
	v_mul_f32_e32 v1, v5, v2
	v_mul_f32_e32 v2, v3, v2
.LBB157_135:                            ;   in Loop: Header=BB157_117 Depth=1
	s_add_i32 s11, s9, 4
	s_add_i32 s6, s9, 7
	s_addk_i32 s8, 0x280
	s_cmp_ge_i32 s6, s24
	ds_write_b64 v16, v[1:2] offset:480
	s_cbranch_scc1 .LBB157_137
; %bb.136:                              ;   in Loop: Header=BB157_117 Depth=1
	s_mov_b32 s9, s11
	s_branch .LBB157_117
.LBB157_137:
	s_cmp_ge_i32 s11, s24
	s_cbranch_scc1 .LBB157_146
; %bb.138:
	v_mov_b32_e32 v1, 0xc80
	v_lshl_add_u32 v7, v0, 3, v1
	s_mul_i32 s8, s11, 0xa0
	s_branch .LBB157_140
.LBB157_139:                            ;   in Loop: Header=BB157_140 Depth=1
	s_add_i32 s11, s11, 1
	s_addk_i32 s8, 0xa0
	s_cmp_ge_i32 s11, s24
	ds_write_b64 v8, v[5:6]
	s_cbranch_scc1 .LBB157_146
.LBB157_140:                            ; =>This Loop Header: Depth=1
                                        ;     Child Loop BB157_141 Depth 2
	s_mul_i32 s6, s11, 0xa0
	v_add_u32_e32 v8, s6, v15
	ds_read_b64 v[1:2], v8
	s_cmp_eq_u32 s11, 0
	s_mov_b32 s6, s8
	v_mov_b32_e32 v3, v7
	s_mov_b32 s7, s11
	s_cbranch_scc1 .LBB157_142
.LBB157_141:                            ;   Parent Loop BB157_140 Depth=1
                                        ; =>  This Inner Loop Header: Depth=2
	v_mov_b32_e32 v6, s6
	ds_read_b64 v[4:5], v3
	ds_read_b64 v[9:10], v6
	s_add_i32 s7, s7, -1
	s_add_i32 s6, s6, 8
	v_add_u32_e32 v3, 0xa0, v3
	s_cmp_eq_u32 s7, 0
	s_waitcnt lgkmcnt(0)
	v_mul_f32_e32 v6, v10, v5
	v_mul_f32_e32 v5, v9, v5
	v_fma_f32 v6, v9, v4, -v6
	v_fmac_f32_e32 v5, v10, v4
	v_sub_f32_e32 v1, v1, v6
	v_sub_f32_e32 v2, v2, v5
	s_cbranch_scc0 .LBB157_141
.LBB157_142:                            ;   in Loop: Header=BB157_140 Depth=1
	s_mul_i32 s6, s11, 0xa8
	v_mov_b32_e32 v3, s6
	ds_read_b64 v[3:4], v3
	s_mov_b64 s[6:7], -1
                                        ; implicit-def: $vgpr5
	s_waitcnt lgkmcnt(0)
	v_cmp_ngt_f32_e64 s[14:15], |v3|, |v4|
	s_and_b64 vcc, exec, s[14:15]
	s_cbranch_vccz .LBB157_144
; %bb.143:                              ;   in Loop: Header=BB157_140 Depth=1
	v_div_scale_f32 v5, s[6:7], v4, v4, v3
	v_div_scale_f32 v6, vcc, v3, v4, v3
	v_rcp_f32_e32 v9, v5
	v_fma_f32 v10, -v5, v9, 1.0
	v_fmac_f32_e32 v9, v10, v9
	v_mul_f32_e32 v10, v6, v9
	v_fma_f32 v11, -v5, v10, v6
	v_fmac_f32_e32 v10, v11, v9
	v_fma_f32 v5, -v5, v10, v6
	v_div_fmas_f32 v5, v5, v9, v10
	v_div_fixup_f32 v5, v5, v4, v3
	v_fma_f32 v6, v3, v5, v4
	v_div_scale_f32 v9, s[6:7], v6, v6, 1.0
	v_div_scale_f32 v10, vcc, 1.0, v6, 1.0
	s_mov_b64 s[6:7], 0
	v_rcp_f32_e32 v11, v9
	v_fma_f32 v12, -v9, v11, 1.0
	v_fmac_f32_e32 v11, v12, v11
	v_mul_f32_e32 v12, v10, v11
	v_fma_f32 v13, -v9, v12, v10
	v_fmac_f32_e32 v12, v13, v11
	v_fma_f32 v9, -v9, v12, v10
	v_div_fmas_f32 v9, v9, v11, v12
	v_fma_f32 v10, v1, v5, v2
	v_fma_f32 v11, v2, v5, -v1
	v_div_fixup_f32 v6, v9, v6, 1.0
	v_mul_f32_e32 v5, v10, v6
	v_mul_f32_e32 v6, v11, v6
.LBB157_144:                            ;   in Loop: Header=BB157_140 Depth=1
	s_andn2_b64 vcc, exec, s[6:7]
	s_cbranch_vccnz .LBB157_139
; %bb.145:                              ;   in Loop: Header=BB157_140 Depth=1
	v_div_scale_f32 v5, s[6:7], v3, v3, v4
	v_div_scale_f32 v6, vcc, v4, v3, v4
	v_rcp_f32_e32 v9, v5
	v_fma_f32 v10, -v5, v9, 1.0
	v_fmac_f32_e32 v9, v10, v9
	v_mul_f32_e32 v10, v6, v9
	v_fma_f32 v11, -v5, v10, v6
	v_fmac_f32_e32 v10, v11, v9
	v_fma_f32 v5, -v5, v10, v6
	v_div_fmas_f32 v5, v5, v9, v10
	v_div_fixup_f32 v5, v5, v3, v4
	v_fmac_f32_e32 v3, v4, v5
	v_div_scale_f32 v4, s[6:7], v3, v3, 1.0
	v_div_scale_f32 v6, vcc, 1.0, v3, 1.0
	v_rcp_f32_e32 v9, v4
	v_fma_f32 v10, -v4, v9, 1.0
	v_fmac_f32_e32 v9, v10, v9
	v_mul_f32_e32 v10, v6, v9
	v_fma_f32 v11, -v4, v10, v6
	v_fmac_f32_e32 v10, v11, v9
	v_fma_f32 v4, -v4, v10, v6
	v_div_fmas_f32 v4, v4, v9, v10
	v_fma_f32 v6, v2, v5, v1
	v_fma_f32 v1, -v1, v5, v2
	v_div_fixup_f32 v2, v4, v3, 1.0
	v_mul_f32_e32 v5, v6, v2
	v_mul_f32_e32 v6, v1, v2
	s_branch .LBB157_139
.LBB157_146:
	s_and_saveexec_b64 s[6:7], s[0:1]
	s_cbranch_execz .LBB157_150
; %bb.147:
	s_cmp_lt_i32 s12, 1
	s_cbranch_scc1 .LBB157_150
; %bb.148:
	s_lshl_b64 s[0:1], s[4:5], 3
	s_add_u32 s2, s2, s0
	s_addc_u32 s3, s3, s1
	s_lshl_b64 s[0:1], s[16:17], 3
	s_add_u32 s0, s2, s0
	s_addc_u32 s1, s3, s1
	s_add_u32 s0, s0, s21
	s_addc_u32 s1, s1, s20
	s_ashr_i32 s11, s10, 31
	v_lshlrev_b32_e32 v2, 3, v0
	v_mov_b32_e32 v1, s1
	v_add_co_u32_e32 v0, vcc, s0, v2
	s_lshl_b64 s[0:1], s[10:11], 3
	v_addc_co_u32_e32 v1, vcc, 0, v1, vcc
	v_add_u32_e32 v2, 0xc80, v2
	v_mov_b32_e32 v3, s1
.LBB157_149:                            ; =>This Inner Loop Header: Depth=1
	ds_read_b64 v[4:5], v2
	s_add_i32 s12, s12, -1
	v_add_u32_e32 v2, 0xa0, v2
	s_cmp_lg_u32 s12, 0
	s_waitcnt lgkmcnt(0)
	global_store_dwordx2 v[0:1], v[4:5], off
	v_add_co_u32_e32 v0, vcc, s0, v0
	v_addc_co_u32_e32 v1, vcc, v1, v3, vcc
	s_cbranch_scc1 .LBB157_149
.LBB157_150:
	s_endpgm
	.section	.rodata,"a",@progbits
	.p2align	6, 0x0
	.amdhsa_kernel _ZL31rocblas_trsm_small_right_deviceI19rocblas_complex_numIfES1_PKS1_PS1_Li20EEv13rocblas_fill_18rocblas_operation_17rocblas_diagonal_iiT0_T1_lilT2_lili
		.amdhsa_group_segment_fixed_size 6400
		.amdhsa_private_segment_fixed_size 0
		.amdhsa_kernarg_size 360
		.amdhsa_user_sgpr_count 6
		.amdhsa_user_sgpr_private_segment_buffer 1
		.amdhsa_user_sgpr_dispatch_ptr 0
		.amdhsa_user_sgpr_queue_ptr 0
		.amdhsa_user_sgpr_kernarg_segment_ptr 1
		.amdhsa_user_sgpr_dispatch_id 0
		.amdhsa_user_sgpr_flat_scratch_init 0
		.amdhsa_user_sgpr_private_segment_size 0
		.amdhsa_uses_dynamic_stack 0
		.amdhsa_system_sgpr_private_segment_wavefront_offset 0
		.amdhsa_system_sgpr_workgroup_id_x 1
		.amdhsa_system_sgpr_workgroup_id_y 0
		.amdhsa_system_sgpr_workgroup_id_z 1
		.amdhsa_system_sgpr_workgroup_info 0
		.amdhsa_system_vgpr_workitem_id 0
		.amdhsa_next_free_vgpr 65
		.amdhsa_next_free_sgpr 98
		.amdhsa_reserve_vcc 1
		.amdhsa_reserve_flat_scratch 0
		.amdhsa_float_round_mode_32 0
		.amdhsa_float_round_mode_16_64 0
		.amdhsa_float_denorm_mode_32 3
		.amdhsa_float_denorm_mode_16_64 3
		.amdhsa_dx10_clamp 1
		.amdhsa_ieee_mode 1
		.amdhsa_fp16_overflow 0
		.amdhsa_exception_fp_ieee_invalid_op 0
		.amdhsa_exception_fp_denorm_src 0
		.amdhsa_exception_fp_ieee_div_zero 0
		.amdhsa_exception_fp_ieee_overflow 0
		.amdhsa_exception_fp_ieee_underflow 0
		.amdhsa_exception_fp_ieee_inexact 0
		.amdhsa_exception_int_div_zero 0
	.end_amdhsa_kernel
	.section	.text._ZL31rocblas_trsm_small_right_deviceI19rocblas_complex_numIfES1_PKS1_PS1_Li20EEv13rocblas_fill_18rocblas_operation_17rocblas_diagonal_iiT0_T1_lilT2_lili,"axG",@progbits,_ZL31rocblas_trsm_small_right_deviceI19rocblas_complex_numIfES1_PKS1_PS1_Li20EEv13rocblas_fill_18rocblas_operation_17rocblas_diagonal_iiT0_T1_lilT2_lili,comdat
.Lfunc_end157:
	.size	_ZL31rocblas_trsm_small_right_deviceI19rocblas_complex_numIfES1_PKS1_PS1_Li20EEv13rocblas_fill_18rocblas_operation_17rocblas_diagonal_iiT0_T1_lilT2_lili, .Lfunc_end157-_ZL31rocblas_trsm_small_right_deviceI19rocblas_complex_numIfES1_PKS1_PS1_Li20EEv13rocblas_fill_18rocblas_operation_17rocblas_diagonal_iiT0_T1_lilT2_lili
                                        ; -- End function
	.set _ZL31rocblas_trsm_small_right_deviceI19rocblas_complex_numIfES1_PKS1_PS1_Li20EEv13rocblas_fill_18rocblas_operation_17rocblas_diagonal_iiT0_T1_lilT2_lili.num_vgpr, 31
	.set _ZL31rocblas_trsm_small_right_deviceI19rocblas_complex_numIfES1_PKS1_PS1_Li20EEv13rocblas_fill_18rocblas_operation_17rocblas_diagonal_iiT0_T1_lilT2_lili.num_agpr, 0
	.set _ZL31rocblas_trsm_small_right_deviceI19rocblas_complex_numIfES1_PKS1_PS1_Li20EEv13rocblas_fill_18rocblas_operation_17rocblas_diagonal_iiT0_T1_lilT2_lili.numbered_sgpr, 32
	.set _ZL31rocblas_trsm_small_right_deviceI19rocblas_complex_numIfES1_PKS1_PS1_Li20EEv13rocblas_fill_18rocblas_operation_17rocblas_diagonal_iiT0_T1_lilT2_lili.num_named_barrier, 0
	.set _ZL31rocblas_trsm_small_right_deviceI19rocblas_complex_numIfES1_PKS1_PS1_Li20EEv13rocblas_fill_18rocblas_operation_17rocblas_diagonal_iiT0_T1_lilT2_lili.private_seg_size, 0
	.set _ZL31rocblas_trsm_small_right_deviceI19rocblas_complex_numIfES1_PKS1_PS1_Li20EEv13rocblas_fill_18rocblas_operation_17rocblas_diagonal_iiT0_T1_lilT2_lili.uses_vcc, 1
	.set _ZL31rocblas_trsm_small_right_deviceI19rocblas_complex_numIfES1_PKS1_PS1_Li20EEv13rocblas_fill_18rocblas_operation_17rocblas_diagonal_iiT0_T1_lilT2_lili.uses_flat_scratch, 0
	.set _ZL31rocblas_trsm_small_right_deviceI19rocblas_complex_numIfES1_PKS1_PS1_Li20EEv13rocblas_fill_18rocblas_operation_17rocblas_diagonal_iiT0_T1_lilT2_lili.has_dyn_sized_stack, 0
	.set _ZL31rocblas_trsm_small_right_deviceI19rocblas_complex_numIfES1_PKS1_PS1_Li20EEv13rocblas_fill_18rocblas_operation_17rocblas_diagonal_iiT0_T1_lilT2_lili.has_recursion, 0
	.set _ZL31rocblas_trsm_small_right_deviceI19rocblas_complex_numIfES1_PKS1_PS1_Li20EEv13rocblas_fill_18rocblas_operation_17rocblas_diagonal_iiT0_T1_lilT2_lili.has_indirect_call, 0
	.section	.AMDGPU.csdata,"",@progbits
; Kernel info:
; codeLenInByte = 12044
; TotalNumSgprs: 36
; NumVgprs: 31
; ScratchSize: 0
; MemoryBound: 0
; FloatMode: 240
; IeeeMode: 1
; LDSByteSize: 6400 bytes/workgroup (compile time only)
; SGPRBlocks: 12
; VGPRBlocks: 16
; NumSGPRsForWavesPerEU: 102
; NumVGPRsForWavesPerEU: 65
; Occupancy: 3
; WaveLimiterHint : 0
; COMPUTE_PGM_RSRC2:SCRATCH_EN: 0
; COMPUTE_PGM_RSRC2:USER_SGPR: 6
; COMPUTE_PGM_RSRC2:TRAP_HANDLER: 0
; COMPUTE_PGM_RSRC2:TGID_X_EN: 1
; COMPUTE_PGM_RSRC2:TGID_Y_EN: 0
; COMPUTE_PGM_RSRC2:TGID_Z_EN: 1
; COMPUTE_PGM_RSRC2:TIDIG_COMP_CNT: 0
	.section	.text._ZL38rocblas_trsm_small_left_device_sharedBILi24ELi24ELb0E19rocblas_complex_numIfES1_PKS1_PS1_Ev13rocblas_fill_18rocblas_operation_17rocblas_diagonal_iiT3_T4_lilT5_lili,"axG",@progbits,_ZL38rocblas_trsm_small_left_device_sharedBILi24ELi24ELb0E19rocblas_complex_numIfES1_PKS1_PS1_Ev13rocblas_fill_18rocblas_operation_17rocblas_diagonal_iiT3_T4_lilT5_lili,comdat
	.globl	_ZL38rocblas_trsm_small_left_device_sharedBILi24ELi24ELb0E19rocblas_complex_numIfES1_PKS1_PS1_Ev13rocblas_fill_18rocblas_operation_17rocblas_diagonal_iiT3_T4_lilT5_lili ; -- Begin function _ZL38rocblas_trsm_small_left_device_sharedBILi24ELi24ELb0E19rocblas_complex_numIfES1_PKS1_PS1_Ev13rocblas_fill_18rocblas_operation_17rocblas_diagonal_iiT3_T4_lilT5_lili
	.p2align	8
	.type	_ZL38rocblas_trsm_small_left_device_sharedBILi24ELi24ELb0E19rocblas_complex_numIfES1_PKS1_PS1_Ev13rocblas_fill_18rocblas_operation_17rocblas_diagonal_iiT3_T4_lilT5_lili,@function
_ZL38rocblas_trsm_small_left_device_sharedBILi24ELi24ELb0E19rocblas_complex_numIfES1_PKS1_PS1_Ev13rocblas_fill_18rocblas_operation_17rocblas_diagonal_iiT3_T4_lilT5_lili: ; @_ZL38rocblas_trsm_small_left_device_sharedBILi24ELi24ELb0E19rocblas_complex_numIfES1_PKS1_PS1_Ev13rocblas_fill_18rocblas_operation_17rocblas_diagonal_iiT3_T4_lilT5_lili
; %bb.0:
	s_add_u32 s0, s0, s8
	s_load_dwordx4 s[12:15], s[4:5], 0x4
	s_load_dwordx2 s[18:19], s[4:5], 0x14
	s_load_dwordx4 s[8:11], s[4:5], 0x38
	s_load_dwordx2 s[16:17], s[4:5], 0x48
	s_load_dword s27, s[4:5], 0x68
	s_addc_u32 s1, s1, 0
	s_waitcnt lgkmcnt(0)
	s_min_i32 s26, s14, 24
	v_cmp_gt_i32_e32 vcc, s26, v0
	s_and_saveexec_b64 s[20:21], vcc
	s_cbranch_execz .LBB158_15
; %bb.1:
	s_load_dword s24, s[4:5], 0x30
	s_load_dwordx4 s[28:31], s[4:5], 0x20
	s_mul_i32 s9, s9, s7
	s_mul_hi_u32 s33, s8, s7
	s_mul_i32 s8, s8, s7
	s_waitcnt lgkmcnt(0)
	s_ashr_i32 s25, s24, 31
	s_cmpk_lg_i32 s12, 0x71
	s_cselect_b64 s[22:23], -1, 0
	s_add_i32 s9, s33, s9
	s_lshl_b64 s[8:9], s[8:9], 3
	s_lshl_b64 s[30:31], s[30:31], 3
	s_add_u32 s8, s8, s30
	s_addc_u32 s9, s9, s31
	s_add_u32 s8, s28, s8
	v_lshlrev_b32_e32 v5, 3, v0
	s_addc_u32 s9, s29, s9
	v_mov_b32_e32 v1, s9
	v_add_co_u32_e32 v2, vcc, s8, v5
	v_addc_co_u32_e32 v3, vcc, 0, v1, vcc
	v_add_co_u32_e32 v1, vcc, 4, v2
	s_lshl_b64 s[8:9], s[24:25], 3
	v_addc_co_u32_e32 v2, vcc, 0, v3, vcc
	v_mov_b32_e32 v6, s9
	v_mov_b32_e32 v7, v5
	s_mov_b32 s9, s26
	s_branch .LBB158_3
.LBB158_2:                              ;   in Loop: Header=BB158_3 Depth=1
	global_load_dword v3, v[1:2], off offset:-4
	s_add_i32 s9, s9, -1
	v_add_co_u32_e32 v1, vcc, s8, v1
	v_addc_co_u32_e32 v2, vcc, v2, v6, vcc
	s_cmp_eq_u32 s9, 0
	s_waitcnt vmcnt(0)
	ds_write_b64 v7, v[3:4]
	v_add_u32_e32 v7, 0xc0, v7
	s_cbranch_scc1 .LBB158_7
.LBB158_3:                              ; =>This Inner Loop Header: Depth=1
	s_mov_b64 s[24:25], -1
	s_and_b64 vcc, exec, s[22:23]
                                        ; implicit-def: $vgpr4
	s_cbranch_vccz .LBB158_5
; %bb.4:                                ;   in Loop: Header=BB158_3 Depth=1
	global_load_dword v4, v[1:2], off
	s_mov_b64 s[24:25], 0
.LBB158_5:                              ;   in Loop: Header=BB158_3 Depth=1
	s_andn2_b64 vcc, exec, s[24:25]
	s_cbranch_vccnz .LBB158_2
; %bb.6:                                ;   in Loop: Header=BB158_3 Depth=1
	global_load_dword v3, v[1:2], off
	s_waitcnt vmcnt(0)
	v_xor_b32_e32 v4, 0x80000000, v3
	s_branch .LBB158_2
.LBB158_7:
	v_mul_u32_u24_e32 v1, 0xc0, v0
	s_cmpk_lg_i32 s13, 0x84
	s_mov_b64 s[8:9], -1
	v_add_u32_e32 v5, v5, v1
	s_cbranch_scc0 .LBB158_13
; %bb.8:
	ds_read_b64 v[1:2], v5
                                        ; implicit-def: $vgpr3
	s_waitcnt lgkmcnt(0)
	v_cmp_ngt_f32_e64 s[8:9], |v1|, |v2|
	s_and_saveexec_b64 s[22:23], s[8:9]
	s_xor_b64 s[8:9], exec, s[22:23]
	s_cbranch_execz .LBB158_10
; %bb.9:
	v_div_scale_f32 v3, s[22:23], v2, v2, v1
	v_div_scale_f32 v4, vcc, v1, v2, v1
	v_rcp_f32_e32 v6, v3
	v_fma_f32 v7, -v3, v6, 1.0
	v_fmac_f32_e32 v6, v7, v6
	v_mul_f32_e32 v7, v4, v6
	v_fma_f32 v8, -v3, v7, v4
	v_fmac_f32_e32 v7, v8, v6
	v_fma_f32 v3, -v3, v7, v4
	v_div_fmas_f32 v3, v3, v6, v7
	v_div_fixup_f32 v3, v3, v2, v1
	v_fmac_f32_e32 v2, v1, v3
	v_div_scale_f32 v1, s[22:23], v2, v2, 1.0
	v_div_scale_f32 v4, vcc, 1.0, v2, 1.0
	v_rcp_f32_e32 v6, v1
	v_fma_f32 v7, -v1, v6, 1.0
	v_fmac_f32_e32 v6, v7, v6
	v_mul_f32_e32 v7, v4, v6
	v_fma_f32 v8, -v1, v7, v4
	v_fmac_f32_e32 v7, v8, v6
	v_fma_f32 v1, -v1, v7, v4
	v_div_fmas_f32 v1, v1, v6, v7
	v_add_f32_e32 v4, 0, v3
	v_fma_f32 v6, v3, 0, -1.0
	v_div_fixup_f32 v1, v1, v2, 1.0
	v_mul_f32_e32 v3, v4, v1
	v_mul_f32_e32 v4, v6, v1
                                        ; implicit-def: $vgpr1_vgpr2
.LBB158_10:
	s_andn2_saveexec_b64 s[8:9], s[8:9]
	s_cbranch_execz .LBB158_12
; %bb.11:
	v_div_scale_f32 v3, s[22:23], v1, v1, v2
	v_div_scale_f32 v4, vcc, v2, v1, v2
	v_rcp_f32_e32 v6, v3
	v_fma_f32 v7, -v3, v6, 1.0
	v_fmac_f32_e32 v6, v7, v6
	v_mul_f32_e32 v7, v4, v6
	v_fma_f32 v8, -v3, v7, v4
	v_fmac_f32_e32 v7, v8, v6
	v_fma_f32 v3, -v3, v7, v4
	v_div_fmas_f32 v3, v3, v6, v7
	v_div_fixup_f32 v4, v3, v1, v2
	v_fmac_f32_e32 v1, v2, v4
	v_div_scale_f32 v2, s[22:23], v1, v1, 1.0
	v_div_scale_f32 v3, vcc, 1.0, v1, 1.0
	v_rcp_f32_e32 v6, v2
	v_fma_f32 v7, -v2, v6, 1.0
	v_fmac_f32_e32 v6, v7, v6
	v_mul_f32_e32 v7, v3, v6
	v_fma_f32 v8, -v2, v7, v3
	v_fmac_f32_e32 v7, v8, v6
	v_fma_f32 v2, -v2, v7, v3
	v_div_fmas_f32 v2, v2, v6, v7
	v_fma_f32 v3, v4, 0, 1.0
	v_div_fixup_f32 v1, v2, v1, 1.0
	v_mul_f32_e32 v3, v3, v1
	v_mul_f32_e64 v4, -v4, v1
.LBB158_12:
	s_or_b64 exec, exec, s[8:9]
	s_mov_b64 s[8:9], 0
	ds_write_b64 v5, v[3:4]
.LBB158_13:
	s_and_b64 vcc, exec, s[8:9]
	s_cbranch_vccz .LBB158_15
; %bb.14:
	v_mov_b32_e32 v1, 1.0
	v_mov_b32_e32 v2, 0
	ds_write_b64 v5, v[1:2]
.LBB158_15:
	s_or_b64 exec, exec, s[20:21]
	s_load_dword s22, s[4:5], 0x50
	s_load_dwordx2 s[8:9], s[4:5], 0x58
	s_add_i32 s27, s27, -1
	s_waitcnt lgkmcnt(0)
	s_ashr_i32 s13, s22, 31
	s_mul_i32 s4, s9, s7
	s_mul_hi_u32 s5, s8, s7
	s_add_i32 s9, s5, s4
	s_mul_i32 s4, s6, 0xffffffe8
	s_add_i32 s4, s15, s4
	s_cmp_ge_u32 s6, s27
	s_mul_i32 s6, s6, 24
	s_mul_i32 s8, s8, s7
	s_cselect_b32 s4, s4, 24
	s_ashr_i32 s7, s6, 31
	s_cmp_gt_i32 s14, 0
	v_cmp_gt_i32_e64 s[4:5], s4, v0
	s_cselect_b64 s[14:15], -1, 0
	s_and_b64 s[24:25], s[4:5], s[14:15]
	s_and_saveexec_b64 s[20:21], s[24:25]
	s_cbranch_execz .LBB158_18
; %bb.16:
	v_lshlrev_b32_e32 v3, 3, v0
	s_lshl_b64 s[28:29], s[6:7], 3
	s_lshl_b64 s[24:25], s[8:9], 3
	v_mov_b32_e32 v1, s29
	v_add_co_u32_e32 v4, vcc, s28, v3
	s_lshl_b64 s[28:29], s[16:17], 3
	s_add_u32 s7, s10, s28
	s_addc_u32 s23, s11, s29
	s_add_u32 s24, s7, s24
	v_addc_co_u32_e32 v5, vcc, 0, v1, vcc
	s_addc_u32 s25, s23, s25
	v_mov_b32_e32 v1, s24
	v_mov_b32_e32 v2, s25
	v_mad_u64_u32 v[1:2], s[24:25], v4, s22, v[1:2]
	v_mul_lo_u32 v4, v4, s13
	v_mul_lo_u32 v5, v5, s22
	v_add_co_u32_e32 v1, vcc, 4, v1
	v_or_b32_e32 v3, 0x1200, v3
	v_add3_u32 v2, v5, v2, v4
	v_addc_co_u32_e32 v2, vcc, 0, v2, vcc
	s_mov_b32 s7, s26
.LBB158_17:                             ; =>This Inner Loop Header: Depth=1
	global_load_dwordx2 v[4:5], v[1:2], off offset:-4
	s_add_i32 s7, s7, -1
	v_add_co_u32_e32 v1, vcc, 8, v1
	v_addc_co_u32_e32 v2, vcc, 0, v2, vcc
	s_cmp_lg_u32 s7, 0
	s_waitcnt vmcnt(0)
	v_mul_f32_e32 v7, s19, v5
	v_mul_f32_e32 v6, s18, v5
	v_fma_f32 v5, s18, v4, -v7
	v_fmac_f32_e32 v6, s19, v4
	ds_write_b64 v3, v[5:6]
	v_add_u32_e32 v3, 0xc0, v3
	s_cbranch_scc1 .LBB158_17
.LBB158_18:
	s_or_b64 exec, exec, s[20:21]
	v_mov_b32_e32 v1, 0x1200
	s_cmpk_eq_i32 s12, 0x6f
	v_lshl_or_b32 v3, v0, 3, v1
	s_mov_b64 s[12:13], -1
	s_waitcnt lgkmcnt(0)
	; wave barrier
	s_cbranch_scc1 .LBB158_40
; %bb.19:
	s_mov_b32 s13, 0
	s_mov_b32 s12, s13
	;; [unrolled: 1-line block ×3, first 2 shown]
	s_branch .LBB158_21
.LBB158_20:                             ;   in Loop: Header=BB158_21 Depth=1
	s_cmp_ge_i32 s7, s26
	s_cselect_b64 s[18:19], -1, 0
	s_add_i32 s12, s12, 1
	s_cmp_eq_u32 s12, 3
	s_cselect_b64 s[20:21], -1, 0
	s_or_b64 s[18:19], s[18:19], s[20:21]
	s_andn2_b64 vcc, exec, s[18:19]
	s_cbranch_vccz .LBB158_39
.LBB158_21:                             ; =>This Loop Header: Depth=1
                                        ;     Child Loop BB158_24 Depth 2
                                        ;       Child Loop BB158_25 Depth 3
                                        ;       Child Loop BB158_28 Depth 3
                                        ;         Child Loop BB158_29 Depth 4
                                        ;       Child Loop BB158_33 Depth 3
                                        ;         Child Loop BB158_35 Depth 4
	s_lshl_b64 s[18:19], s[12:13], 2
	s_getpc_b64 s[20:21]
	s_add_u32 s20, s20, __const._ZL38rocblas_trsm_small_left_device_sharedBILi24ELi24ELb0E19rocblas_complex_numIfES1_PKS1_PS1_Ev13rocblas_fill_18rocblas_operation_17rocblas_diagonal_iiT3_T4_lilT5_lili.step_sizes@rel32@lo+4
	s_addc_u32 s21, s21, __const._ZL38rocblas_trsm_small_left_device_sharedBILi24ELi24ELb0E19rocblas_complex_numIfES1_PKS1_PS1_Ev13rocblas_fill_18rocblas_operation_17rocblas_diagonal_iiT3_T4_lilT5_lili.step_sizes@rel32@hi+12
	s_add_u32 s18, s20, s18
	s_addc_u32 s19, s21, s19
	s_load_dword s20, s[18:19], 0x0
	s_waitcnt lgkmcnt(0)
	s_add_i32 s21, s20, -1
	s_add_i32 s18, s21, s7
	s_cmp_ge_i32 s18, s26
	s_cbranch_scc1 .LBB158_20
; %bb.22:                               ;   in Loop: Header=BB158_21 Depth=1
	s_mul_i32 s24, s7, 0xc0
	s_max_i32 s23, s20, 1
	v_add_u32_e32 v4, s24, v3
	s_mul_i32 s25, s20, 0xc0
	s_mul_i32 s27, s7, 0xc8
	;; [unrolled: 1-line block ×3, first 2 shown]
	s_branch .LBB158_24
.LBB158_23:                             ;   in Loop: Header=BB158_24 Depth=2
	s_add_i32 s7, s7, s20
	s_add_i32 s18, s21, s7
	s_add_i32 s24, s24, s25
	s_add_i32 s27, s27, s28
	s_cmp_ge_i32 s18, s26
	v_add_u32_e32 v4, s25, v4
	s_cbranch_scc1 .LBB158_20
.LBB158_24:                             ;   Parent Loop BB158_21 Depth=1
                                        ; =>  This Loop Header: Depth=2
                                        ;       Child Loop BB158_25 Depth 3
                                        ;       Child Loop BB158_28 Depth 3
                                        ;         Child Loop BB158_29 Depth 4
                                        ;       Child Loop BB158_33 Depth 3
                                        ;         Child Loop BB158_35 Depth 4
	s_mov_b32 s18, 0
	v_mov_b32_e32 v1, v4
	s_mov_b32 s19, s23
.LBB158_25:                             ;   Parent Loop BB158_21 Depth=1
                                        ;     Parent Loop BB158_24 Depth=2
                                        ; =>    This Inner Loop Header: Depth=3
	ds_read_b64 v[5:6], v1
	v_mov_b32_e32 v2, s18
	s_add_i32 s19, s19, -1
	s_add_i32 s18, s18, 8
	v_add_u32_e32 v1, 0xc0, v1
	s_cmp_eq_u32 s19, 0
	s_waitcnt lgkmcnt(0)
	buffer_store_dword v6, v2, s[0:3], 0 offen offset:4
	buffer_store_dword v5, v2, s[0:3], 0 offen
	s_cbranch_scc0 .LBB158_25
; %bb.26:                               ;   in Loop: Header=BB158_24 Depth=2
	s_cmp_lt_i32 s7, 1
	s_cbranch_scc1 .LBB158_31
; %bb.27:                               ;   in Loop: Header=BB158_24 Depth=2
	s_mov_b32 s18, 0
	s_mov_b32 s19, s24
.LBB158_28:                             ;   Parent Loop BB158_21 Depth=1
                                        ;     Parent Loop BB158_24 Depth=2
                                        ; =>    This Loop Header: Depth=3
                                        ;         Child Loop BB158_29 Depth 4
	s_mul_i32 s29, s18, 0xc0
	v_add_u32_e32 v1, s29, v3
	ds_read_b64 v[1:2], v1
	s_mov_b32 s29, 0
	s_mov_b32 s30, s19
	;; [unrolled: 1-line block ×3, first 2 shown]
.LBB158_29:                             ;   Parent Loop BB158_21 Depth=1
                                        ;     Parent Loop BB158_24 Depth=2
                                        ;       Parent Loop BB158_28 Depth=3
                                        ; =>      This Inner Loop Header: Depth=4
	v_mov_b32_e32 v7, s29
	buffer_load_dword v8, v7, s[0:3], 0 offen
	buffer_load_dword v9, v7, s[0:3], 0 offen offset:4
	v_mov_b32_e32 v5, s30
	ds_read_b64 v[5:6], v5
	s_add_i32 s31, s31, -1
	s_addk_i32 s30, 0xc0
	s_add_i32 s29, s29, 8
	s_cmp_eq_u32 s31, 0
	s_waitcnt lgkmcnt(0)
	v_mul_f32_e32 v10, v6, v2
	v_mul_f32_e32 v6, v6, v1
	v_fma_f32 v10, v5, v1, -v10
	v_fmac_f32_e32 v6, v5, v2
	s_waitcnt vmcnt(1)
	v_sub_f32_e32 v5, v8, v10
	s_waitcnt vmcnt(0)
	v_sub_f32_e32 v6, v9, v6
	buffer_store_dword v5, v7, s[0:3], 0 offen
	buffer_store_dword v6, v7, s[0:3], 0 offen offset:4
	s_cbranch_scc0 .LBB158_29
; %bb.30:                               ;   in Loop: Header=BB158_28 Depth=3
	s_add_i32 s18, s18, 1
	s_add_i32 s19, s19, 8
	s_cmp_eq_u32 s18, s7
	s_cbranch_scc0 .LBB158_28
.LBB158_31:                             ;   in Loop: Header=BB158_24 Depth=2
	s_mul_i32 s29, s7, 0xc0
	s_mov_b32 s30, 0
	s_mov_b32 s31, s27
	s_branch .LBB158_33
.LBB158_32:                             ;   in Loop: Header=BB158_33 Depth=3
	s_mul_i32 s18, s34, 0xc8
	v_mov_b32_e32 v5, s18
	ds_read_b64 v[5:6], v5
	s_lshl_b32 s18, s30, 3
	s_add_i32 s30, s30, 1
	s_addk_i32 s31, 0xc0
	v_mov_b32_e32 v9, s18
	s_waitcnt vmcnt(0) lgkmcnt(0)
	v_mul_f32_e32 v7, v6, v2
	v_mul_f32_e32 v8, v5, v2
	v_fma_f32 v7, v5, v1, -v7
	v_fmac_f32_e32 v8, v6, v1
	v_add_u32_e32 v1, s33, v3
	s_cmp_eq_u32 s30, s23
	buffer_store_dword v7, v9, s[0:3], 0 offen
	buffer_store_dword v8, v9, s[0:3], 0 offen offset:4
	ds_write_b64 v1, v[7:8]
	s_cbranch_scc1 .LBB158_23
.LBB158_33:                             ;   Parent Loop BB158_21 Depth=1
                                        ;     Parent Loop BB158_24 Depth=2
                                        ; =>    This Loop Header: Depth=3
                                        ;         Child Loop BB158_35 Depth 4
	s_cmp_lg_u32 s30, 0
	s_cbranch_scc0 .LBB158_37
; %bb.34:                               ;   in Loop: Header=BB158_33 Depth=3
	s_lshl_b32 s18, s30, 3
	v_mov_b32_e32 v5, s18
	buffer_load_dword v1, v5, s[0:3], 0 offen
	buffer_load_dword v2, v5, s[0:3], 0 offen offset:4
	s_add_i32 s34, s30, s7
	s_mul_i32 s33, s34, 0xc0
	s_mov_b32 s18, 0
	s_mov_b32 s19, s31
	;; [unrolled: 1-line block ×3, first 2 shown]
.LBB158_35:                             ;   Parent Loop BB158_21 Depth=1
                                        ;     Parent Loop BB158_24 Depth=2
                                        ;       Parent Loop BB158_33 Depth=3
                                        ; =>      This Inner Loop Header: Depth=4
	v_mov_b32_e32 v6, s18
	buffer_load_dword v8, v6, s[0:3], 0 offen offset:4
	buffer_load_dword v9, v6, s[0:3], 0 offen
	v_mov_b32_e32 v6, s19
	ds_read_b64 v[6:7], v6
	s_add_i32 s35, s35, -1
	s_add_i32 s18, s18, 8
	s_add_i32 s19, s19, 8
	s_cmp_eq_u32 s35, 0
	s_waitcnt vmcnt(1) lgkmcnt(0)
	v_mul_f32_e32 v10, v7, v8
	v_mul_f32_e32 v8, v6, v8
	s_waitcnt vmcnt(0)
	v_fma_f32 v6, v6, v9, -v10
	v_fmac_f32_e32 v8, v7, v9
	v_sub_f32_e32 v1, v1, v6
	v_sub_f32_e32 v2, v2, v8
	buffer_store_dword v1, v5, s[0:3], 0 offen
	buffer_store_dword v2, v5, s[0:3], 0 offen offset:4
	s_cbranch_scc0 .LBB158_35
; %bb.36:                               ;   in Loop: Header=BB158_33 Depth=3
	s_branch .LBB158_32
.LBB158_37:                             ;   in Loop: Header=BB158_33 Depth=3
                                        ; implicit-def: $vgpr1
                                        ; implicit-def: $vgpr2
                                        ; implicit-def: $sgpr34
                                        ; implicit-def: $sgpr33
	s_cbranch_execz .LBB158_32
; %bb.38:                               ;   in Loop: Header=BB158_33 Depth=3
	buffer_load_dword v1, off, s[0:3], 0
	buffer_load_dword v2, off, s[0:3], 0 offset:4
	s_mov_b32 s33, s29
	s_mov_b32 s34, s7
	s_branch .LBB158_32
.LBB158_39:
	s_mov_b64 s[12:13], 0
.LBB158_40:
	s_and_b64 vcc, exec, s[12:13]
	s_cbranch_vccz .LBB158_60
; %bb.41:
	s_add_i32 s7, s26, -1
	v_mov_b32_e32 v1, 0x1200
	s_mul_i32 s20, s26, 0xc0
	s_mov_b32 s13, 0
	v_lshl_or_b32 v4, v0, 3, v1
	s_addk_i32 s20, 0xff40
	s_mov_b32 s12, s13
	s_mov_b32 s21, s7
	s_branch .LBB158_43
.LBB158_42:                             ;   in Loop: Header=BB158_43 Depth=1
	s_cmp_lt_i32 s21, 0
	s_cselect_b64 s[18:19], -1, 0
	s_add_i32 s12, s12, 1
	s_cmp_eq_u32 s12, 3
	s_cselect_b64 s[24:25], -1, 0
	s_or_b64 s[18:19], s[18:19], s[24:25]
	s_and_b64 vcc, exec, s[18:19]
	s_cbranch_vccnz .LBB158_60
.LBB158_43:                             ; =>This Loop Header: Depth=1
                                        ;     Child Loop BB158_46 Depth 2
                                        ;       Child Loop BB158_47 Depth 3
                                        ;       Child Loop BB158_49 Depth 3
                                        ;         Child Loop BB158_50 Depth 4
                                        ;       Child Loop BB158_54 Depth 3
                                        ;         Child Loop BB158_56 Depth 4
	s_lshl_b64 s[18:19], s[12:13], 2
	s_getpc_b64 s[24:25]
	s_add_u32 s24, s24, __const._ZL38rocblas_trsm_small_left_device_sharedBILi24ELi24ELb0E19rocblas_complex_numIfES1_PKS1_PS1_Ev13rocblas_fill_18rocblas_operation_17rocblas_diagonal_iiT3_T4_lilT5_lili.step_sizes@rel32@lo+4
	s_addc_u32 s25, s25, __const._ZL38rocblas_trsm_small_left_device_sharedBILi24ELi24ELb0E19rocblas_complex_numIfES1_PKS1_PS1_Ev13rocblas_fill_18rocblas_operation_17rocblas_diagonal_iiT3_T4_lilT5_lili.step_sizes@rel32@hi+12
	s_add_u32 s18, s24, s18
	s_addc_u32 s19, s25, s19
	s_load_dword s23, s[18:19], 0x0
	s_waitcnt lgkmcnt(0)
	s_add_i32 s24, s23, -1
	s_cmp_lt_i32 s21, s24
	s_cbranch_scc1 .LBB158_42
; %bb.44:                               ;   in Loop: Header=BB158_43 Depth=1
	s_mul_i32 s18, s21, 0xc0
	v_add_u32_e32 v5, s18, v4
	s_lshl_b32 s18, s21, 3
	s_add_i32 s28, s20, s18
	s_lshl_b32 s18, s23, 3
	s_max_i32 s25, s23, 1
	s_mul_i32 s27, s23, 0xffffff40
	s_sub_i32 s29, 0, s18
	s_mul_i32 s30, s21, 0xc8
	s_mul_i32 s31, s23, 0xffffff38
	s_branch .LBB158_46
.LBB158_45:                             ;   in Loop: Header=BB158_46 Depth=2
	s_sub_i32 s21, s21, s23
	s_add_i32 s28, s28, s29
	s_add_i32 s30, s30, s31
	s_cmp_lt_i32 s21, s24
	v_add_u32_e32 v5, s27, v5
	s_cbranch_scc1 .LBB158_42
.LBB158_46:                             ;   Parent Loop BB158_43 Depth=1
                                        ; =>  This Loop Header: Depth=2
                                        ;       Child Loop BB158_47 Depth 3
                                        ;       Child Loop BB158_49 Depth 3
                                        ;         Child Loop BB158_50 Depth 4
                                        ;       Child Loop BB158_54 Depth 3
                                        ;         Child Loop BB158_56 Depth 4
	s_mov_b32 s18, 0
	v_mov_b32_e32 v1, v5
	s_mov_b32 s19, s25
.LBB158_47:                             ;   Parent Loop BB158_43 Depth=1
                                        ;     Parent Loop BB158_46 Depth=2
                                        ; =>    This Inner Loop Header: Depth=3
	ds_read_b64 v[6:7], v1
	v_mov_b32_e32 v2, s18
	s_add_i32 s19, s19, -1
	s_add_i32 s18, s18, 8
	v_add_u32_e32 v1, 0xffffff40, v1
	s_cmp_eq_u32 s19, 0
	s_waitcnt lgkmcnt(0)
	buffer_store_dword v7, v2, s[0:3], 0 offen offset:4
	buffer_store_dword v6, v2, s[0:3], 0 offen
	s_cbranch_scc0 .LBB158_47
; %bb.48:                               ;   in Loop: Header=BB158_46 Depth=2
	s_cmp_le_i32 s7, s21
	s_mov_b32 s18, s28
	s_mov_b32 s19, s7
	s_cbranch_scc1 .LBB158_52
.LBB158_49:                             ;   Parent Loop BB158_43 Depth=1
                                        ;     Parent Loop BB158_46 Depth=2
                                        ; =>    This Loop Header: Depth=3
                                        ;         Child Loop BB158_50 Depth 4
	s_mul_i32 s33, s19, 0xc0
	v_add_u32_e32 v1, s33, v3
	ds_read_b64 v[1:2], v1
	s_mov_b32 s33, 0
	s_mov_b32 s34, s18
	;; [unrolled: 1-line block ×3, first 2 shown]
.LBB158_50:                             ;   Parent Loop BB158_43 Depth=1
                                        ;     Parent Loop BB158_46 Depth=2
                                        ;       Parent Loop BB158_49 Depth=3
                                        ; =>      This Inner Loop Header: Depth=4
	v_mov_b32_e32 v8, s33
	buffer_load_dword v9, v8, s[0:3], 0 offen
	buffer_load_dword v10, v8, s[0:3], 0 offen offset:4
	v_mov_b32_e32 v6, s34
	ds_read_b64 v[6:7], v6
	s_add_i32 s35, s35, -1
	s_add_i32 s34, s34, -8
	s_add_i32 s33, s33, 8
	s_cmp_eq_u32 s35, 0
	s_waitcnt lgkmcnt(0)
	v_mul_f32_e32 v11, v7, v2
	v_mul_f32_e32 v7, v7, v1
	v_fma_f32 v11, v6, v1, -v11
	v_fmac_f32_e32 v7, v6, v2
	s_waitcnt vmcnt(1)
	v_sub_f32_e32 v6, v9, v11
	s_waitcnt vmcnt(0)
	v_sub_f32_e32 v7, v10, v7
	buffer_store_dword v6, v8, s[0:3], 0 offen
	buffer_store_dword v7, v8, s[0:3], 0 offen offset:4
	s_cbranch_scc0 .LBB158_50
; %bb.51:                               ;   in Loop: Header=BB158_49 Depth=3
	s_add_i32 s19, s19, -1
	s_addk_i32 s18, 0xff40
	s_cmp_le_i32 s19, s21
	s_cbranch_scc0 .LBB158_49
.LBB158_52:                             ;   in Loop: Header=BB158_46 Depth=2
	s_mov_b32 s33, 0
	s_mov_b32 s34, s30
	s_branch .LBB158_54
.LBB158_53:                             ;   in Loop: Header=BB158_54 Depth=3
	s_mul_i32 s18, s35, 0xc8
	v_mov_b32_e32 v6, s18
	ds_read_b64 v[6:7], v6
	s_lshl_b32 s18, s33, 3
	v_mov_b32_e32 v10, s18
	s_mul_i32 s18, s35, 0xc0
	s_add_i32 s33, s33, 1
	s_waitcnt vmcnt(0) lgkmcnt(0)
	v_mul_f32_e32 v8, v7, v2
	v_mul_f32_e32 v9, v6, v2
	s_add_i32 s34, s34, -8
	v_fma_f32 v8, v6, v1, -v8
	v_fmac_f32_e32 v9, v7, v1
	v_add_u32_e32 v1, s18, v3
	s_cmp_eq_u32 s33, s25
	buffer_store_dword v8, v10, s[0:3], 0 offen
	buffer_store_dword v9, v10, s[0:3], 0 offen offset:4
	ds_write_b64 v1, v[8:9]
	s_cbranch_scc1 .LBB158_45
.LBB158_54:                             ;   Parent Loop BB158_43 Depth=1
                                        ;     Parent Loop BB158_46 Depth=2
                                        ; =>    This Loop Header: Depth=3
                                        ;         Child Loop BB158_56 Depth 4
	s_cmp_lg_u32 s33, 0
	s_cbranch_scc0 .LBB158_58
; %bb.55:                               ;   in Loop: Header=BB158_54 Depth=3
	s_lshl_b32 s18, s33, 3
	v_mov_b32_e32 v6, s18
	buffer_load_dword v1, v6, s[0:3], 0 offen
	buffer_load_dword v2, v6, s[0:3], 0 offen offset:4
	s_sub_i32 s35, s21, s33
	s_mov_b32 s18, 0
	s_mov_b32 s19, s34
	;; [unrolled: 1-line block ×3, first 2 shown]
.LBB158_56:                             ;   Parent Loop BB158_43 Depth=1
                                        ;     Parent Loop BB158_46 Depth=2
                                        ;       Parent Loop BB158_54 Depth=3
                                        ; =>      This Inner Loop Header: Depth=4
	v_mov_b32_e32 v7, s18
	buffer_load_dword v9, v7, s[0:3], 0 offen offset:4
	buffer_load_dword v10, v7, s[0:3], 0 offen
	v_mov_b32_e32 v7, s19
	ds_read_b64 v[7:8], v7
	s_add_i32 s36, s36, -1
	s_addk_i32 s19, 0xff40
	s_add_i32 s18, s18, 8
	s_cmp_eq_u32 s36, 0
	s_waitcnt vmcnt(1) lgkmcnt(0)
	v_mul_f32_e32 v11, v8, v9
	v_mul_f32_e32 v9, v7, v9
	s_waitcnt vmcnt(0)
	v_fma_f32 v7, v7, v10, -v11
	v_fmac_f32_e32 v9, v8, v10
	v_sub_f32_e32 v1, v1, v7
	v_sub_f32_e32 v2, v2, v9
	buffer_store_dword v1, v6, s[0:3], 0 offen
	buffer_store_dword v2, v6, s[0:3], 0 offen offset:4
	s_cbranch_scc0 .LBB158_56
; %bb.57:                               ;   in Loop: Header=BB158_54 Depth=3
	s_branch .LBB158_53
.LBB158_58:                             ;   in Loop: Header=BB158_54 Depth=3
                                        ; implicit-def: $vgpr1
                                        ; implicit-def: $vgpr2
                                        ; implicit-def: $sgpr35
	s_cbranch_execz .LBB158_53
; %bb.59:                               ;   in Loop: Header=BB158_54 Depth=3
	buffer_load_dword v1, off, s[0:3], 0
	buffer_load_dword v2, off, s[0:3], 0 offset:4
	s_mov_b32 s35, s21
	s_branch .LBB158_53
.LBB158_60:
	s_waitcnt lgkmcnt(0)
	; wave barrier
	s_and_saveexec_b64 s[12:13], s[4:5]
	s_cbranch_execz .LBB158_64
; %bb.61:
	s_andn2_b64 vcc, exec, s[14:15]
	s_cbranch_vccnz .LBB158_64
; %bb.62:
	s_lshl_b64 s[4:5], s[8:9], 3
	s_add_u32 s7, s10, s4
	s_addc_u32 s8, s11, s5
	s_lshl_b64 s[4:5], s[16:17], 3
	s_add_u32 s9, s7, s4
	s_addc_u32 s8, s8, s5
	s_mul_hi_i32 s5, s22, s6
	s_mul_i32 s4, s22, s6
	v_mad_i64_i32 v[1:2], s[6:7], s22, v0, 0
	s_lshl_b64 s[4:5], s[4:5], 3
	s_add_u32 s4, s9, s4
	v_lshlrev_b64 v[1:2], 3, v[1:2]
	s_addc_u32 s5, s8, s5
	v_mov_b32_e32 v3, s5
	v_add_co_u32_e32 v1, vcc, s4, v1
	v_addc_co_u32_e32 v2, vcc, v3, v2, vcc
	v_mov_b32_e32 v3, 0x1200
	v_lshl_or_b32 v0, v0, 3, v3
.LBB158_63:                             ; =>This Inner Loop Header: Depth=1
	ds_read_b64 v[3:4], v0
	s_add_i32 s26, s26, -1
	v_add_u32_e32 v0, 0xc0, v0
	s_cmp_lg_u32 s26, 0
	s_waitcnt lgkmcnt(0)
	global_store_dwordx2 v[1:2], v[3:4], off
	v_add_co_u32_e32 v1, vcc, 8, v1
	v_addc_co_u32_e32 v2, vcc, 0, v2, vcc
	s_cbranch_scc1 .LBB158_63
.LBB158_64:
	s_endpgm
	.section	.rodata,"a",@progbits
	.p2align	6, 0x0
	.amdhsa_kernel _ZL38rocblas_trsm_small_left_device_sharedBILi24ELi24ELb0E19rocblas_complex_numIfES1_PKS1_PS1_Ev13rocblas_fill_18rocblas_operation_17rocblas_diagonal_iiT3_T4_lilT5_lili
		.amdhsa_group_segment_fixed_size 9216
		.amdhsa_private_segment_fixed_size 208
		.amdhsa_kernarg_size 360
		.amdhsa_user_sgpr_count 6
		.amdhsa_user_sgpr_private_segment_buffer 1
		.amdhsa_user_sgpr_dispatch_ptr 0
		.amdhsa_user_sgpr_queue_ptr 0
		.amdhsa_user_sgpr_kernarg_segment_ptr 1
		.amdhsa_user_sgpr_dispatch_id 0
		.amdhsa_user_sgpr_flat_scratch_init 0
		.amdhsa_user_sgpr_private_segment_size 0
		.amdhsa_uses_dynamic_stack 0
		.amdhsa_system_sgpr_private_segment_wavefront_offset 1
		.amdhsa_system_sgpr_workgroup_id_x 1
		.amdhsa_system_sgpr_workgroup_id_y 0
		.amdhsa_system_sgpr_workgroup_id_z 1
		.amdhsa_system_sgpr_workgroup_info 0
		.amdhsa_system_vgpr_workitem_id 0
		.amdhsa_next_free_vgpr 85
		.amdhsa_next_free_sgpr 98
		.amdhsa_reserve_vcc 1
		.amdhsa_reserve_flat_scratch 0
		.amdhsa_float_round_mode_32 0
		.amdhsa_float_round_mode_16_64 0
		.amdhsa_float_denorm_mode_32 3
		.amdhsa_float_denorm_mode_16_64 3
		.amdhsa_dx10_clamp 1
		.amdhsa_ieee_mode 1
		.amdhsa_fp16_overflow 0
		.amdhsa_exception_fp_ieee_invalid_op 0
		.amdhsa_exception_fp_denorm_src 0
		.amdhsa_exception_fp_ieee_div_zero 0
		.amdhsa_exception_fp_ieee_overflow 0
		.amdhsa_exception_fp_ieee_underflow 0
		.amdhsa_exception_fp_ieee_inexact 0
		.amdhsa_exception_int_div_zero 0
	.end_amdhsa_kernel
	.section	.text._ZL38rocblas_trsm_small_left_device_sharedBILi24ELi24ELb0E19rocblas_complex_numIfES1_PKS1_PS1_Ev13rocblas_fill_18rocblas_operation_17rocblas_diagonal_iiT3_T4_lilT5_lili,"axG",@progbits,_ZL38rocblas_trsm_small_left_device_sharedBILi24ELi24ELb0E19rocblas_complex_numIfES1_PKS1_PS1_Ev13rocblas_fill_18rocblas_operation_17rocblas_diagonal_iiT3_T4_lilT5_lili,comdat
.Lfunc_end158:
	.size	_ZL38rocblas_trsm_small_left_device_sharedBILi24ELi24ELb0E19rocblas_complex_numIfES1_PKS1_PS1_Ev13rocblas_fill_18rocblas_operation_17rocblas_diagonal_iiT3_T4_lilT5_lili, .Lfunc_end158-_ZL38rocblas_trsm_small_left_device_sharedBILi24ELi24ELb0E19rocblas_complex_numIfES1_PKS1_PS1_Ev13rocblas_fill_18rocblas_operation_17rocblas_diagonal_iiT3_T4_lilT5_lili
                                        ; -- End function
	.set _ZL38rocblas_trsm_small_left_device_sharedBILi24ELi24ELb0E19rocblas_complex_numIfES1_PKS1_PS1_Ev13rocblas_fill_18rocblas_operation_17rocblas_diagonal_iiT3_T4_lilT5_lili.num_vgpr, 12
	.set _ZL38rocblas_trsm_small_left_device_sharedBILi24ELi24ELb0E19rocblas_complex_numIfES1_PKS1_PS1_Ev13rocblas_fill_18rocblas_operation_17rocblas_diagonal_iiT3_T4_lilT5_lili.num_agpr, 0
	.set _ZL38rocblas_trsm_small_left_device_sharedBILi24ELi24ELb0E19rocblas_complex_numIfES1_PKS1_PS1_Ev13rocblas_fill_18rocblas_operation_17rocblas_diagonal_iiT3_T4_lilT5_lili.numbered_sgpr, 37
	.set _ZL38rocblas_trsm_small_left_device_sharedBILi24ELi24ELb0E19rocblas_complex_numIfES1_PKS1_PS1_Ev13rocblas_fill_18rocblas_operation_17rocblas_diagonal_iiT3_T4_lilT5_lili.num_named_barrier, 0
	.set _ZL38rocblas_trsm_small_left_device_sharedBILi24ELi24ELb0E19rocblas_complex_numIfES1_PKS1_PS1_Ev13rocblas_fill_18rocblas_operation_17rocblas_diagonal_iiT3_T4_lilT5_lili.private_seg_size, 208
	.set _ZL38rocblas_trsm_small_left_device_sharedBILi24ELi24ELb0E19rocblas_complex_numIfES1_PKS1_PS1_Ev13rocblas_fill_18rocblas_operation_17rocblas_diagonal_iiT3_T4_lilT5_lili.uses_vcc, 1
	.set _ZL38rocblas_trsm_small_left_device_sharedBILi24ELi24ELb0E19rocblas_complex_numIfES1_PKS1_PS1_Ev13rocblas_fill_18rocblas_operation_17rocblas_diagonal_iiT3_T4_lilT5_lili.uses_flat_scratch, 0
	.set _ZL38rocblas_trsm_small_left_device_sharedBILi24ELi24ELb0E19rocblas_complex_numIfES1_PKS1_PS1_Ev13rocblas_fill_18rocblas_operation_17rocblas_diagonal_iiT3_T4_lilT5_lili.has_dyn_sized_stack, 0
	.set _ZL38rocblas_trsm_small_left_device_sharedBILi24ELi24ELb0E19rocblas_complex_numIfES1_PKS1_PS1_Ev13rocblas_fill_18rocblas_operation_17rocblas_diagonal_iiT3_T4_lilT5_lili.has_recursion, 0
	.set _ZL38rocblas_trsm_small_left_device_sharedBILi24ELi24ELb0E19rocblas_complex_numIfES1_PKS1_PS1_Ev13rocblas_fill_18rocblas_operation_17rocblas_diagonal_iiT3_T4_lilT5_lili.has_indirect_call, 0
	.section	.AMDGPU.csdata,"",@progbits
; Kernel info:
; codeLenInByte = 2704
; TotalNumSgprs: 41
; NumVgprs: 12
; ScratchSize: 208
; MemoryBound: 0
; FloatMode: 240
; IeeeMode: 1
; LDSByteSize: 9216 bytes/workgroup (compile time only)
; SGPRBlocks: 12
; VGPRBlocks: 21
; NumSGPRsForWavesPerEU: 102
; NumVGPRsForWavesPerEU: 85
; Occupancy: 2
; WaveLimiterHint : 0
; COMPUTE_PGM_RSRC2:SCRATCH_EN: 1
; COMPUTE_PGM_RSRC2:USER_SGPR: 6
; COMPUTE_PGM_RSRC2:TRAP_HANDLER: 0
; COMPUTE_PGM_RSRC2:TGID_X_EN: 1
; COMPUTE_PGM_RSRC2:TGID_Y_EN: 0
; COMPUTE_PGM_RSRC2:TGID_Z_EN: 1
; COMPUTE_PGM_RSRC2:TIDIG_COMP_CNT: 0
	.section	.text._ZL30rocblas_trsm_small_left_deviceILi24ELi24ELb0E19rocblas_complex_numIfES1_PKS1_PS1_Ev13rocblas_fill_18rocblas_operation_17rocblas_diagonal_iiT3_T4_lilT5_lili,"axG",@progbits,_ZL30rocblas_trsm_small_left_deviceILi24ELi24ELb0E19rocblas_complex_numIfES1_PKS1_PS1_Ev13rocblas_fill_18rocblas_operation_17rocblas_diagonal_iiT3_T4_lilT5_lili,comdat
	.globl	_ZL30rocblas_trsm_small_left_deviceILi24ELi24ELb0E19rocblas_complex_numIfES1_PKS1_PS1_Ev13rocblas_fill_18rocblas_operation_17rocblas_diagonal_iiT3_T4_lilT5_lili ; -- Begin function _ZL30rocblas_trsm_small_left_deviceILi24ELi24ELb0E19rocblas_complex_numIfES1_PKS1_PS1_Ev13rocblas_fill_18rocblas_operation_17rocblas_diagonal_iiT3_T4_lilT5_lili
	.p2align	8
	.type	_ZL30rocblas_trsm_small_left_deviceILi24ELi24ELb0E19rocblas_complex_numIfES1_PKS1_PS1_Ev13rocblas_fill_18rocblas_operation_17rocblas_diagonal_iiT3_T4_lilT5_lili,@function
_ZL30rocblas_trsm_small_left_deviceILi24ELi24ELb0E19rocblas_complex_numIfES1_PKS1_PS1_Ev13rocblas_fill_18rocblas_operation_17rocblas_diagonal_iiT3_T4_lilT5_lili: ; @_ZL30rocblas_trsm_small_left_deviceILi24ELi24ELb0E19rocblas_complex_numIfES1_PKS1_PS1_Ev13rocblas_fill_18rocblas_operation_17rocblas_diagonal_iiT3_T4_lilT5_lili
; %bb.0:
	s_add_u32 s0, s0, s8
	s_load_dwordx4 s[12:15], s[4:5], 0x4
	s_load_dwordx2 s[16:17], s[4:5], 0x14
	s_load_dwordx4 s[8:11], s[4:5], 0x38
	s_load_dwordx2 s[18:19], s[4:5], 0x48
	s_load_dword s27, s[4:5], 0x68
	s_addc_u32 s1, s1, 0
	s_waitcnt lgkmcnt(0)
	s_min_i32 s26, s14, 24
	v_cmp_gt_i32_e32 vcc, s26, v0
	s_and_saveexec_b64 s[20:21], vcc
	s_cbranch_execz .LBB159_15
; %bb.1:
	s_load_dword s24, s[4:5], 0x30
	s_load_dwordx4 s[28:31], s[4:5], 0x20
	s_mul_i32 s9, s9, s7
	s_mul_hi_u32 s14, s8, s7
	s_mul_i32 s8, s8, s7
	s_waitcnt lgkmcnt(0)
	s_ashr_i32 s25, s24, 31
	s_cmpk_lg_i32 s12, 0x71
	s_cselect_b64 s[22:23], -1, 0
	s_add_i32 s9, s14, s9
	s_lshl_b64 s[8:9], s[8:9], 3
	s_lshl_b64 s[30:31], s[30:31], 3
	s_add_u32 s8, s8, s30
	s_addc_u32 s9, s9, s31
	s_add_u32 s8, s28, s8
	v_lshlrev_b32_e32 v5, 3, v0
	s_addc_u32 s9, s29, s9
	v_mov_b32_e32 v1, s9
	v_add_co_u32_e32 v2, vcc, s8, v5
	v_addc_co_u32_e32 v3, vcc, 0, v1, vcc
	v_add_co_u32_e32 v1, vcc, 4, v2
	s_lshl_b64 s[8:9], s[24:25], 3
	v_addc_co_u32_e32 v2, vcc, 0, v3, vcc
	v_mov_b32_e32 v6, s9
	v_mov_b32_e32 v7, v5
	s_mov_b32 s9, s26
	s_branch .LBB159_3
.LBB159_2:                              ;   in Loop: Header=BB159_3 Depth=1
	global_load_dword v3, v[1:2], off offset:-4
	s_add_i32 s9, s9, -1
	v_add_co_u32_e32 v1, vcc, s8, v1
	v_addc_co_u32_e32 v2, vcc, v2, v6, vcc
	s_cmp_eq_u32 s9, 0
	s_waitcnt vmcnt(0)
	ds_write_b64 v7, v[3:4]
	v_add_u32_e32 v7, 0xc0, v7
	s_cbranch_scc1 .LBB159_7
.LBB159_3:                              ; =>This Inner Loop Header: Depth=1
	s_mov_b64 s[24:25], -1
	s_and_b64 vcc, exec, s[22:23]
                                        ; implicit-def: $vgpr4
	s_cbranch_vccz .LBB159_5
; %bb.4:                                ;   in Loop: Header=BB159_3 Depth=1
	global_load_dword v4, v[1:2], off
	s_mov_b64 s[24:25], 0
.LBB159_5:                              ;   in Loop: Header=BB159_3 Depth=1
	s_andn2_b64 vcc, exec, s[24:25]
	s_cbranch_vccnz .LBB159_2
; %bb.6:                                ;   in Loop: Header=BB159_3 Depth=1
	global_load_dword v3, v[1:2], off
	s_waitcnt vmcnt(0)
	v_xor_b32_e32 v4, 0x80000000, v3
	s_branch .LBB159_2
.LBB159_7:
	s_cmpk_lg_i32 s13, 0x84
	v_mul_u32_u24_e32 v6, 0xc0, v0
	s_mov_b64 s[8:9], -1
	s_cbranch_scc0 .LBB159_13
; %bb.8:
	v_add_u32_e32 v7, v5, v6
	ds_read_b64 v[1:2], v7
                                        ; implicit-def: $vgpr3
	s_waitcnt lgkmcnt(0)
	v_cmp_ngt_f32_e64 s[8:9], |v1|, |v2|
	s_and_saveexec_b64 s[22:23], s[8:9]
	s_xor_b64 s[8:9], exec, s[22:23]
	s_cbranch_execz .LBB159_10
; %bb.9:
	v_div_scale_f32 v3, s[22:23], v2, v2, v1
	v_div_scale_f32 v4, vcc, v1, v2, v1
	v_rcp_f32_e32 v8, v3
	v_fma_f32 v9, -v3, v8, 1.0
	v_fmac_f32_e32 v8, v9, v8
	v_mul_f32_e32 v9, v4, v8
	v_fma_f32 v10, -v3, v9, v4
	v_fmac_f32_e32 v9, v10, v8
	v_fma_f32 v3, -v3, v9, v4
	v_div_fmas_f32 v3, v3, v8, v9
	v_div_fixup_f32 v3, v3, v2, v1
	v_fmac_f32_e32 v2, v1, v3
	v_div_scale_f32 v1, s[22:23], v2, v2, 1.0
	v_div_scale_f32 v4, vcc, 1.0, v2, 1.0
	v_rcp_f32_e32 v8, v1
	v_fma_f32 v9, -v1, v8, 1.0
	v_fmac_f32_e32 v8, v9, v8
	v_mul_f32_e32 v9, v4, v8
	v_fma_f32 v10, -v1, v9, v4
	v_fmac_f32_e32 v9, v10, v8
	v_fma_f32 v1, -v1, v9, v4
	v_div_fmas_f32 v1, v1, v8, v9
	v_add_f32_e32 v4, 0, v3
	v_fma_f32 v8, v3, 0, -1.0
	v_div_fixup_f32 v1, v1, v2, 1.0
	v_mul_f32_e32 v3, v4, v1
	v_mul_f32_e32 v4, v8, v1
                                        ; implicit-def: $vgpr1_vgpr2
.LBB159_10:
	s_andn2_saveexec_b64 s[8:9], s[8:9]
	s_cbranch_execz .LBB159_12
; %bb.11:
	v_div_scale_f32 v3, s[22:23], v1, v1, v2
	v_div_scale_f32 v4, vcc, v2, v1, v2
	v_rcp_f32_e32 v8, v3
	v_fma_f32 v9, -v3, v8, 1.0
	v_fmac_f32_e32 v8, v9, v8
	v_mul_f32_e32 v9, v4, v8
	v_fma_f32 v10, -v3, v9, v4
	v_fmac_f32_e32 v9, v10, v8
	v_fma_f32 v3, -v3, v9, v4
	v_div_fmas_f32 v3, v3, v8, v9
	v_div_fixup_f32 v4, v3, v1, v2
	v_fmac_f32_e32 v1, v2, v4
	v_div_scale_f32 v2, s[22:23], v1, v1, 1.0
	v_div_scale_f32 v3, vcc, 1.0, v1, 1.0
	v_rcp_f32_e32 v8, v2
	v_fma_f32 v9, -v2, v8, 1.0
	v_fmac_f32_e32 v8, v9, v8
	v_mul_f32_e32 v9, v3, v8
	v_fma_f32 v10, -v2, v9, v3
	v_fmac_f32_e32 v9, v10, v8
	v_fma_f32 v2, -v2, v9, v3
	v_div_fmas_f32 v2, v2, v8, v9
	v_fma_f32 v3, v4, 0, 1.0
	v_div_fixup_f32 v1, v2, v1, 1.0
	v_mul_f32_e32 v3, v3, v1
	v_mul_f32_e64 v4, -v4, v1
.LBB159_12:
	s_or_b64 exec, exec, s[8:9]
	s_mov_b64 s[8:9], 0
	ds_write_b64 v7, v[3:4]
.LBB159_13:
	s_and_b64 vcc, exec, s[8:9]
	s_cbranch_vccz .LBB159_15
; %bb.14:
	v_add_u32_e32 v3, v5, v6
	v_mov_b32_e32 v1, 1.0
	v_mov_b32_e32 v2, 0
	ds_write_b64 v3, v[1:2]
.LBB159_15:
	s_or_b64 exec, exec, s[20:21]
	s_mul_i32 s8, s6, 0xffffffe8
	s_add_i32 s27, s27, -1
	s_add_i32 s8, s15, s8
	s_cmp_ge_u32 s6, s27
	s_cselect_b32 s8, s8, 24
	v_cmp_gt_i32_e32 vcc, s8, v0
	s_waitcnt lgkmcnt(0)
	; wave barrier
	s_and_saveexec_b64 s[8:9], vcc
	s_cbranch_execz .LBB159_58
; %bb.16:
	s_load_dwordx2 s[8:9], s[4:5], 0x58
	s_load_dword s13, s[4:5], 0x50
	s_waitcnt lgkmcnt(0)
	s_mul_i32 s5, s9, s7
	s_mul_hi_u32 s9, s8, s7
	s_mul_i32 s4, s8, s7
	v_mad_u64_u32 v[0:1], s[6:7], s6, 24, v[0:1]
	s_add_i32 s5, s9, s5
	s_lshl_b64 s[4:5], s[4:5], 3
	v_mad_i64_i32 v[0:1], s[6:7], s13, v0, 0
	s_add_u32 s8, s10, s4
	s_addc_u32 s9, s11, s5
	s_lshl_b64 s[6:7], s[18:19], 3
	s_add_u32 s8, s8, s6
	v_lshlrev_b64 v[0:1], 3, v[0:1]
	s_addc_u32 s9, s9, s7
	v_mov_b32_e32 v2, s9
	v_add_co_u32_e32 v6, vcc, s8, v0
	v_addc_co_u32_e32 v7, vcc, v2, v1, vcc
	s_cmpk_eq_i32 s12, 0x6f
	s_mov_b64 s[8:9], -1
	s_cbranch_scc1 .LBB159_38
; %bb.17:
	s_add_u32 s8, s10, s6
	s_addc_u32 s9, s11, s7
	s_add_u32 s8, s8, s4
	s_addc_u32 s9, s9, s5
	v_mov_b32_e32 v2, s9
	v_add_co_u32_e32 v3, vcc, s8, v0
	v_addc_co_u32_e32 v2, vcc, v2, v1, vcc
	v_add_co_u32_e32 v8, vcc, 4, v3
	s_mov_b32 s9, 0
	v_addc_co_u32_e32 v9, vcc, 0, v2, vcc
	s_mov_b32 s12, s9
	s_mov_b32 s14, s9
	s_branch .LBB159_19
.LBB159_18:                             ;   in Loop: Header=BB159_19 Depth=1
	s_cmp_ge_i32 s14, s26
	s_cselect_b64 s[18:19], -1, 0
	s_add_i32 s12, s12, 1
	s_cmp_eq_u32 s12, 3
	s_cselect_b64 s[20:21], -1, 0
	s_or_b64 s[18:19], s[18:19], s[20:21]
	s_andn2_b64 vcc, exec, s[18:19]
	s_cbranch_vccz .LBB159_37
.LBB159_19:                             ; =>This Loop Header: Depth=1
                                        ;     Child Loop BB159_22 Depth 2
                                        ;       Child Loop BB159_23 Depth 3
                                        ;       Child Loop BB159_26 Depth 3
                                        ;         Child Loop BB159_27 Depth 4
                                        ;       Child Loop BB159_31 Depth 3
                                        ;         Child Loop BB159_33 Depth 4
	s_mov_b32 s13, s9
	s_lshl_b64 s[18:19], s[12:13], 2
	s_getpc_b64 s[20:21]
	s_add_u32 s20, s20, __const._ZL30rocblas_trsm_small_left_deviceILi24ELi24ELb0E19rocblas_complex_numIfES1_PKS1_PS1_Ev13rocblas_fill_18rocblas_operation_17rocblas_diagonal_iiT3_T4_lilT5_lili.step_sizes@rel32@lo+4
	s_addc_u32 s21, s21, __const._ZL30rocblas_trsm_small_left_deviceILi24ELi24ELb0E19rocblas_complex_numIfES1_PKS1_PS1_Ev13rocblas_fill_18rocblas_operation_17rocblas_diagonal_iiT3_T4_lilT5_lili.step_sizes@rel32@hi+12
	s_add_u32 s18, s20, s18
	s_addc_u32 s19, s21, s19
	s_load_dword s18, s[18:19], 0x0
	s_waitcnt lgkmcnt(0)
	s_add_i32 s13, s18, -1
	s_add_i32 s8, s13, s14
	s_cmp_ge_i32 s8, s26
	s_cbranch_scc1 .LBB159_18
; %bb.20:                               ;   in Loop: Header=BB159_19 Depth=1
	s_ashr_i32 s15, s14, 31
	s_lshl_b64 s[20:21], s[14:15], 3
	s_ashr_i32 s19, s18, 31
	v_mov_b32_e32 v3, s21
	v_add_co_u32_e32 v2, vcc, s20, v8
	s_lshl_b64 s[20:21], s[18:19], 3
	s_max_i32 s27, s18, 1
	v_addc_co_u32_e32 v3, vcc, v9, v3, vcc
	s_mul_i32 s15, s14, 0xc0
	s_mul_i32 s19, s18, 0xc0
	;; [unrolled: 1-line block ×4, first 2 shown]
	v_mov_b32_e32 v10, s21
	s_branch .LBB159_22
.LBB159_21:                             ;   in Loop: Header=BB159_22 Depth=2
	s_add_i32 s14, s14, s18
	s_add_i32 s8, s13, s14
	;; [unrolled: 1-line block ×4, first 2 shown]
	v_add_co_u32_e32 v2, vcc, s20, v2
	s_cmp_ge_i32 s8, s26
	v_addc_co_u32_e32 v3, vcc, v3, v10, vcc
	s_cbranch_scc1 .LBB159_18
.LBB159_22:                             ;   Parent Loop BB159_19 Depth=1
                                        ; =>  This Loop Header: Depth=2
                                        ;       Child Loop BB159_23 Depth 3
                                        ;       Child Loop BB159_26 Depth 3
                                        ;         Child Loop BB159_27 Depth 4
                                        ;       Child Loop BB159_31 Depth 3
                                        ;         Child Loop BB159_33 Depth 4
	v_mov_b32_e32 v5, v3
	s_mov_b32 s8, 0
	v_mov_b32_e32 v4, v2
	s_mov_b32 s21, s27
.LBB159_23:                             ;   Parent Loop BB159_19 Depth=1
                                        ;     Parent Loop BB159_22 Depth=2
                                        ; =>    This Inner Loop Header: Depth=3
	global_load_dwordx2 v[11:12], v[4:5], off offset:-4
	v_mov_b32_e32 v13, s8
	s_add_i32 s21, s21, -1
	v_add_co_u32_e32 v4, vcc, 8, v4
	s_add_i32 s8, s8, 8
	v_addc_co_u32_e32 v5, vcc, 0, v5, vcc
	s_cmp_eq_u32 s21, 0
	s_waitcnt vmcnt(0)
	v_mul_f32_e32 v14, s17, v12
	v_mul_f32_e32 v12, s16, v12
	v_fma_f32 v14, v11, s16, -v14
	v_fmac_f32_e32 v12, s17, v11
	buffer_store_dword v14, v13, s[0:3], 0 offen
	buffer_store_dword v12, v13, s[0:3], 0 offen offset:4
	s_cbranch_scc0 .LBB159_23
; %bb.24:                               ;   in Loop: Header=BB159_22 Depth=2
	s_cmp_lt_i32 s14, 1
	s_cbranch_scc1 .LBB159_29
; %bb.25:                               ;   in Loop: Header=BB159_22 Depth=2
	s_mov_b32 s8, 0
	s_mov_b32 s21, s15
.LBB159_26:                             ;   Parent Loop BB159_19 Depth=1
                                        ;     Parent Loop BB159_22 Depth=2
                                        ; =>    This Loop Header: Depth=3
                                        ;         Child Loop BB159_27 Depth 4
	s_lshl_b64 s[22:23], s[8:9], 3
	v_mov_b32_e32 v5, s23
	v_add_co_u32_e32 v4, vcc, s22, v6
	v_addc_co_u32_e32 v5, vcc, v7, v5, vcc
	global_load_dwordx2 v[4:5], v[4:5], off
	s_mov_b32 s22, 0
	s_mov_b32 s23, s21
	;; [unrolled: 1-line block ×3, first 2 shown]
.LBB159_27:                             ;   Parent Loop BB159_19 Depth=1
                                        ;     Parent Loop BB159_22 Depth=2
                                        ;       Parent Loop BB159_26 Depth=3
                                        ; =>      This Inner Loop Header: Depth=4
	v_mov_b32_e32 v13, s22
	buffer_load_dword v14, v13, s[0:3], 0 offen
	buffer_load_dword v15, v13, s[0:3], 0 offen offset:4
	v_mov_b32_e32 v11, s23
	ds_read_b64 v[11:12], v11
	s_add_i32 s24, s24, -1
	s_addk_i32 s23, 0xc0
	s_add_i32 s22, s22, 8
	s_cmp_eq_u32 s24, 0
	s_waitcnt vmcnt(2) lgkmcnt(0)
	v_mul_f32_e32 v16, v12, v5
	v_mul_f32_e32 v12, v12, v4
	v_fma_f32 v16, v11, v4, -v16
	v_fmac_f32_e32 v12, v11, v5
	s_waitcnt vmcnt(1)
	v_sub_f32_e32 v11, v14, v16
	s_waitcnt vmcnt(0)
	v_sub_f32_e32 v12, v15, v12
	buffer_store_dword v11, v13, s[0:3], 0 offen
	buffer_store_dword v12, v13, s[0:3], 0 offen offset:4
	s_cbranch_scc0 .LBB159_27
; %bb.28:                               ;   in Loop: Header=BB159_26 Depth=3
	s_add_i32 s8, s8, 1
	s_add_i32 s21, s21, 8
	s_cmp_eq_u32 s8, s14
	s_cbranch_scc0 .LBB159_26
.LBB159_29:                             ;   in Loop: Header=BB159_22 Depth=2
	s_mov_b32 s8, 0
	s_mov_b32 s21, s28
	s_branch .LBB159_31
.LBB159_30:                             ;   in Loop: Header=BB159_31 Depth=3
	s_mul_i32 s23, s22, 0xc8
	v_mov_b32_e32 v11, s23
	ds_read_b64 v[11:12], v11
	s_lshl_b32 s23, s8, 3
	v_mov_b32_e32 v15, s23
	s_ashr_i32 s23, s22, 31
	s_lshl_b64 s[22:23], s[22:23], 3
	s_waitcnt vmcnt(0) lgkmcnt(0)
	v_mul_f32_e32 v13, v12, v5
	v_mul_f32_e32 v14, v11, v5
	v_fma_f32 v13, v11, v4, -v13
	v_fmac_f32_e32 v14, v12, v4
	v_mov_b32_e32 v5, s23
	v_add_co_u32_e32 v4, vcc, s22, v6
	s_add_i32 s8, s8, 1
	s_addk_i32 s21, 0xc0
	v_addc_co_u32_e32 v5, vcc, v7, v5, vcc
	s_cmp_eq_u32 s8, s27
	buffer_store_dword v13, v15, s[0:3], 0 offen
	buffer_store_dword v14, v15, s[0:3], 0 offen offset:4
	global_store_dwordx2 v[4:5], v[13:14], off
	s_cbranch_scc1 .LBB159_21
.LBB159_31:                             ;   Parent Loop BB159_19 Depth=1
                                        ;     Parent Loop BB159_22 Depth=2
                                        ; =>    This Loop Header: Depth=3
                                        ;         Child Loop BB159_33 Depth 4
	s_cmp_lg_u32 s8, 0
	s_cbranch_scc0 .LBB159_35
; %bb.32:                               ;   in Loop: Header=BB159_31 Depth=3
	s_lshl_b32 s22, s8, 3
	v_mov_b32_e32 v11, s22
	buffer_load_dword v4, v11, s[0:3], 0 offen
	buffer_load_dword v5, v11, s[0:3], 0 offen offset:4
	s_add_i32 s22, s8, s14
	s_mov_b32 s23, 0
	s_mov_b32 s24, s21
	;; [unrolled: 1-line block ×3, first 2 shown]
.LBB159_33:                             ;   Parent Loop BB159_19 Depth=1
                                        ;     Parent Loop BB159_22 Depth=2
                                        ;       Parent Loop BB159_31 Depth=3
                                        ; =>      This Inner Loop Header: Depth=4
	v_mov_b32_e32 v12, s23
	buffer_load_dword v14, v12, s[0:3], 0 offen offset:4
	buffer_load_dword v15, v12, s[0:3], 0 offen
	v_mov_b32_e32 v12, s24
	ds_read_b64 v[12:13], v12
	s_add_i32 s25, s25, -1
	s_add_i32 s23, s23, 8
	s_add_i32 s24, s24, 8
	s_cmp_eq_u32 s25, 0
	s_waitcnt vmcnt(1) lgkmcnt(0)
	v_mul_f32_e32 v16, v13, v14
	v_mul_f32_e32 v14, v12, v14
	s_waitcnt vmcnt(0)
	v_fma_f32 v12, v12, v15, -v16
	v_fmac_f32_e32 v14, v13, v15
	v_sub_f32_e32 v4, v4, v12
	v_sub_f32_e32 v5, v5, v14
	buffer_store_dword v4, v11, s[0:3], 0 offen
	buffer_store_dword v5, v11, s[0:3], 0 offen offset:4
	s_cbranch_scc0 .LBB159_33
; %bb.34:                               ;   in Loop: Header=BB159_31 Depth=3
	s_branch .LBB159_30
.LBB159_35:                             ;   in Loop: Header=BB159_31 Depth=3
                                        ; implicit-def: $vgpr4
                                        ; implicit-def: $vgpr5
                                        ; implicit-def: $sgpr22
	s_cbranch_execz .LBB159_30
; %bb.36:                               ;   in Loop: Header=BB159_31 Depth=3
	buffer_load_dword v4, off, s[0:3], 0
	buffer_load_dword v5, off, s[0:3], 0 offset:4
	s_mov_b32 s22, s14
	s_branch .LBB159_30
.LBB159_37:
	s_mov_b64 s[8:9], 0
.LBB159_38:
	s_and_b64 vcc, exec, s[8:9]
	s_cbranch_vccz .LBB159_58
; %bb.39:
	s_add_i32 s14, s26, -1
	s_add_u32 s6, s10, s6
	s_addc_u32 s7, s11, s7
	s_add_u32 s4, s6, s4
	s_addc_u32 s5, s7, s5
	v_mov_b32_e32 v2, s5
	v_add_co_u32_e32 v0, vcc, s4, v0
	v_addc_co_u32_e32 v1, vcc, v2, v1, vcc
	v_add_co_u32_e32 v2, vcc, 4, v0
	s_mul_i32 s15, s26, 0xc0
	s_mov_b32 s5, 0
	v_addc_co_u32_e32 v3, vcc, 0, v1, vcc
	s_addk_i32 s15, 0xff40
	s_mov_b32 s6, s14
	s_mov_b32 s4, s5
	s_branch .LBB159_41
.LBB159_40:                             ;   in Loop: Header=BB159_41 Depth=1
	s_cmp_lt_i32 s6, 0
	s_cselect_b64 s[8:9], -1, 0
	s_add_i32 s4, s4, 1
	s_cmp_eq_u32 s4, 3
	s_cselect_b64 s[10:11], -1, 0
	s_or_b64 s[8:9], s[8:9], s[10:11]
	s_and_b64 vcc, exec, s[8:9]
	s_cbranch_vccnz .LBB159_58
.LBB159_41:                             ; =>This Loop Header: Depth=1
                                        ;     Child Loop BB159_44 Depth 2
                                        ;       Child Loop BB159_45 Depth 3
                                        ;       Child Loop BB159_47 Depth 3
                                        ;         Child Loop BB159_48 Depth 4
                                        ;       Child Loop BB159_52 Depth 3
                                        ;         Child Loop BB159_54 Depth 4
	s_lshl_b64 s[8:9], s[4:5], 2
	s_getpc_b64 s[10:11]
	s_add_u32 s10, s10, __const._ZL30rocblas_trsm_small_left_deviceILi24ELi24ELb0E19rocblas_complex_numIfES1_PKS1_PS1_Ev13rocblas_fill_18rocblas_operation_17rocblas_diagonal_iiT3_T4_lilT5_lili.step_sizes@rel32@lo+4
	s_addc_u32 s11, s11, __const._ZL30rocblas_trsm_small_left_deviceILi24ELi24ELb0E19rocblas_complex_numIfES1_PKS1_PS1_Ev13rocblas_fill_18rocblas_operation_17rocblas_diagonal_iiT3_T4_lilT5_lili.step_sizes@rel32@hi+12
	s_add_u32 s8, s10, s8
	s_addc_u32 s9, s11, s9
	s_load_dword s18, s[8:9], 0x0
	s_waitcnt lgkmcnt(0)
	s_add_i32 s19, s18, -1
	s_cmp_lt_i32 s6, s19
	s_cbranch_scc1 .LBB159_40
; %bb.42:                               ;   in Loop: Header=BB159_41 Depth=1
	s_lshl_b32 s7, s6, 3
	s_add_i32 s21, s15, s7
	s_lshl_b32 s7, s18, 3
	s_max_i32 s20, s18, 1
	s_sub_i32 s22, 0, s7
	s_mul_i32 s23, s6, 0xc8
	s_mul_i32 s24, s18, 0xffffff38
	s_branch .LBB159_44
.LBB159_43:                             ;   in Loop: Header=BB159_44 Depth=2
	s_sub_i32 s6, s6, s18
	s_add_i32 s21, s21, s22
	s_add_i32 s23, s23, s24
	s_cmp_lt_i32 s6, s19
	s_cbranch_scc1 .LBB159_40
.LBB159_44:                             ;   Parent Loop BB159_41 Depth=1
                                        ; =>  This Loop Header: Depth=2
                                        ;       Child Loop BB159_45 Depth 3
                                        ;       Child Loop BB159_47 Depth 3
                                        ;         Child Loop BB159_48 Depth 4
                                        ;       Child Loop BB159_52 Depth 3
                                        ;         Child Loop BB159_54 Depth 4
	s_ashr_i32 s7, s6, 31
	s_lshl_b64 s[8:9], s[6:7], 3
	v_mov_b32_e32 v1, s9
	v_add_co_u32_e32 v0, vcc, s8, v2
	v_addc_co_u32_e32 v1, vcc, v3, v1, vcc
	s_mov_b32 s8, 0
	s_mov_b32 s9, s20
.LBB159_45:                             ;   Parent Loop BB159_41 Depth=1
                                        ;     Parent Loop BB159_44 Depth=2
                                        ; =>    This Inner Loop Header: Depth=3
	global_load_dwordx2 v[4:5], v[0:1], off offset:-4
	v_mov_b32_e32 v8, s8
	s_add_i32 s9, s9, -1
	v_add_co_u32_e32 v0, vcc, -8, v0
	s_add_i32 s8, s8, 8
	v_addc_co_u32_e32 v1, vcc, -1, v1, vcc
	s_cmp_eq_u32 s9, 0
	s_waitcnt vmcnt(0)
	v_mul_f32_e32 v9, s17, v5
	v_mul_f32_e32 v5, s16, v5
	v_fma_f32 v9, v4, s16, -v9
	v_fmac_f32_e32 v5, s17, v4
	buffer_store_dword v9, v8, s[0:3], 0 offen
	buffer_store_dword v5, v8, s[0:3], 0 offen offset:4
	s_cbranch_scc0 .LBB159_45
; %bb.46:                               ;   in Loop: Header=BB159_44 Depth=2
	s_cmp_le_i32 s14, s6
	s_mov_b32 s10, s21
	s_mov_b32 s8, s14
	s_cbranch_scc1 .LBB159_50
.LBB159_47:                             ;   Parent Loop BB159_41 Depth=1
                                        ;     Parent Loop BB159_44 Depth=2
                                        ; =>    This Loop Header: Depth=3
                                        ;         Child Loop BB159_48 Depth 4
	s_ashr_i32 s9, s8, 31
	s_lshl_b64 s[12:13], s[8:9], 3
	v_mov_b32_e32 v1, s13
	v_add_co_u32_e32 v0, vcc, s12, v6
	v_addc_co_u32_e32 v1, vcc, v7, v1, vcc
	global_load_dwordx2 v[0:1], v[0:1], off
	s_mov_b32 s9, 0
	s_mov_b32 s11, s10
	;; [unrolled: 1-line block ×3, first 2 shown]
.LBB159_48:                             ;   Parent Loop BB159_41 Depth=1
                                        ;     Parent Loop BB159_44 Depth=2
                                        ;       Parent Loop BB159_47 Depth=3
                                        ; =>      This Inner Loop Header: Depth=4
	v_mov_b32_e32 v8, s9
	buffer_load_dword v9, v8, s[0:3], 0 offen
	buffer_load_dword v10, v8, s[0:3], 0 offen offset:4
	v_mov_b32_e32 v4, s11
	ds_read_b64 v[4:5], v4
	s_add_i32 s12, s12, -1
	s_add_i32 s11, s11, -8
	s_add_i32 s9, s9, 8
	s_cmp_eq_u32 s12, 0
	s_waitcnt vmcnt(2) lgkmcnt(0)
	v_mul_f32_e32 v11, v5, v1
	v_mul_f32_e32 v5, v5, v0
	v_fma_f32 v11, v4, v0, -v11
	v_fmac_f32_e32 v5, v4, v1
	s_waitcnt vmcnt(1)
	v_sub_f32_e32 v4, v9, v11
	s_waitcnt vmcnt(0)
	v_sub_f32_e32 v5, v10, v5
	buffer_store_dword v4, v8, s[0:3], 0 offen
	buffer_store_dword v5, v8, s[0:3], 0 offen offset:4
	s_cbranch_scc0 .LBB159_48
; %bb.49:                               ;   in Loop: Header=BB159_47 Depth=3
	s_add_i32 s8, s8, -1
	s_addk_i32 s10, 0xff40
	s_cmp_le_i32 s8, s6
	s_cbranch_scc0 .LBB159_47
.LBB159_50:                             ;   in Loop: Header=BB159_44 Depth=2
	s_mov_b32 s25, 0
	s_mov_b32 s26, s23
	s_branch .LBB159_52
.LBB159_51:                             ;   in Loop: Header=BB159_52 Depth=3
	s_mulk_i32 s10, 0xc8
	v_mov_b32_e32 v4, s10
	ds_read_b64 v[4:5], v4
	s_lshl_b64 s[8:9], s[8:9], 3
	s_lshl_b32 s10, s25, 3
	s_add_i32 s25, s25, 1
	s_add_i32 s26, s26, -8
	s_waitcnt vmcnt(0) lgkmcnt(0)
	v_mul_f32_e32 v8, v5, v1
	v_mul_f32_e32 v9, v4, v1
	v_fma_f32 v8, v4, v0, -v8
	v_fmac_f32_e32 v9, v5, v0
	v_mov_b32_e32 v1, s9
	v_add_co_u32_e32 v0, vcc, s8, v6
	v_mov_b32_e32 v10, s10
	v_addc_co_u32_e32 v1, vcc, v7, v1, vcc
	s_cmp_eq_u32 s25, s20
	buffer_store_dword v8, v10, s[0:3], 0 offen
	buffer_store_dword v9, v10, s[0:3], 0 offen offset:4
	global_store_dwordx2 v[0:1], v[8:9], off
	s_cbranch_scc1 .LBB159_43
.LBB159_52:                             ;   Parent Loop BB159_41 Depth=1
                                        ;     Parent Loop BB159_44 Depth=2
                                        ; =>    This Loop Header: Depth=3
                                        ;         Child Loop BB159_54 Depth 4
	s_cmp_lg_u32 s25, 0
	s_cbranch_scc0 .LBB159_56
; %bb.53:                               ;   in Loop: Header=BB159_52 Depth=3
	s_lshl_b32 s8, s25, 3
	v_mov_b32_e32 v4, s8
	buffer_load_dword v0, v4, s[0:3], 0 offen
	buffer_load_dword v1, v4, s[0:3], 0 offen offset:4
	s_mov_b32 s8, 0
	s_mov_b32 s9, s26
	s_mov_b32 s10, s25
.LBB159_54:                             ;   Parent Loop BB159_41 Depth=1
                                        ;     Parent Loop BB159_44 Depth=2
                                        ;       Parent Loop BB159_52 Depth=3
                                        ; =>      This Inner Loop Header: Depth=4
	v_mov_b32_e32 v5, s8
	buffer_load_dword v10, v5, s[0:3], 0 offen offset:4
	buffer_load_dword v11, v5, s[0:3], 0 offen
	v_mov_b32_e32 v5, s9
	ds_read_b64 v[8:9], v5
	s_add_i32 s10, s10, -1
	s_addk_i32 s9, 0xff40
	s_add_i32 s8, s8, 8
	s_cmp_eq_u32 s10, 0
	s_waitcnt vmcnt(1) lgkmcnt(0)
	v_mul_f32_e32 v5, v9, v10
	v_mul_f32_e32 v10, v8, v10
	s_waitcnt vmcnt(0)
	v_fma_f32 v5, v8, v11, -v5
	v_fmac_f32_e32 v10, v9, v11
	v_sub_f32_e32 v0, v0, v5
	v_sub_f32_e32 v1, v1, v10
	buffer_store_dword v0, v4, s[0:3], 0 offen
	buffer_store_dword v1, v4, s[0:3], 0 offen offset:4
	s_cbranch_scc0 .LBB159_54
; %bb.55:                               ;   in Loop: Header=BB159_52 Depth=3
	s_sub_i32 s10, s6, s25
	s_ashr_i32 s11, s10, 31
	s_mov_b64 s[8:9], s[10:11]
	s_branch .LBB159_51
.LBB159_56:                             ;   in Loop: Header=BB159_52 Depth=3
                                        ; implicit-def: $vgpr0
                                        ; implicit-def: $vgpr1
                                        ; implicit-def: $sgpr10
                                        ; implicit-def: $sgpr8_sgpr9
	s_cbranch_execz .LBB159_51
; %bb.57:                               ;   in Loop: Header=BB159_52 Depth=3
	buffer_load_dword v0, off, s[0:3], 0
	buffer_load_dword v1, off, s[0:3], 0 offset:4
	s_mov_b64 s[8:9], s[6:7]
	s_mov_b32 s10, s6
	s_branch .LBB159_51
.LBB159_58:
	s_endpgm
	.section	.rodata,"a",@progbits
	.p2align	6, 0x0
	.amdhsa_kernel _ZL30rocblas_trsm_small_left_deviceILi24ELi24ELb0E19rocblas_complex_numIfES1_PKS1_PS1_Ev13rocblas_fill_18rocblas_operation_17rocblas_diagonal_iiT3_T4_lilT5_lili
		.amdhsa_group_segment_fixed_size 4608
		.amdhsa_private_segment_fixed_size 208
		.amdhsa_kernarg_size 360
		.amdhsa_user_sgpr_count 6
		.amdhsa_user_sgpr_private_segment_buffer 1
		.amdhsa_user_sgpr_dispatch_ptr 0
		.amdhsa_user_sgpr_queue_ptr 0
		.amdhsa_user_sgpr_kernarg_segment_ptr 1
		.amdhsa_user_sgpr_dispatch_id 0
		.amdhsa_user_sgpr_flat_scratch_init 0
		.amdhsa_user_sgpr_private_segment_size 0
		.amdhsa_uses_dynamic_stack 0
		.amdhsa_system_sgpr_private_segment_wavefront_offset 1
		.amdhsa_system_sgpr_workgroup_id_x 1
		.amdhsa_system_sgpr_workgroup_id_y 0
		.amdhsa_system_sgpr_workgroup_id_z 1
		.amdhsa_system_sgpr_workgroup_info 0
		.amdhsa_system_vgpr_workitem_id 0
		.amdhsa_next_free_vgpr 49
		.amdhsa_next_free_sgpr 98
		.amdhsa_reserve_vcc 1
		.amdhsa_reserve_flat_scratch 0
		.amdhsa_float_round_mode_32 0
		.amdhsa_float_round_mode_16_64 0
		.amdhsa_float_denorm_mode_32 3
		.amdhsa_float_denorm_mode_16_64 3
		.amdhsa_dx10_clamp 1
		.amdhsa_ieee_mode 1
		.amdhsa_fp16_overflow 0
		.amdhsa_exception_fp_ieee_invalid_op 0
		.amdhsa_exception_fp_denorm_src 0
		.amdhsa_exception_fp_ieee_div_zero 0
		.amdhsa_exception_fp_ieee_overflow 0
		.amdhsa_exception_fp_ieee_underflow 0
		.amdhsa_exception_fp_ieee_inexact 0
		.amdhsa_exception_int_div_zero 0
	.end_amdhsa_kernel
	.section	.text._ZL30rocblas_trsm_small_left_deviceILi24ELi24ELb0E19rocblas_complex_numIfES1_PKS1_PS1_Ev13rocblas_fill_18rocblas_operation_17rocblas_diagonal_iiT3_T4_lilT5_lili,"axG",@progbits,_ZL30rocblas_trsm_small_left_deviceILi24ELi24ELb0E19rocblas_complex_numIfES1_PKS1_PS1_Ev13rocblas_fill_18rocblas_operation_17rocblas_diagonal_iiT3_T4_lilT5_lili,comdat
.Lfunc_end159:
	.size	_ZL30rocblas_trsm_small_left_deviceILi24ELi24ELb0E19rocblas_complex_numIfES1_PKS1_PS1_Ev13rocblas_fill_18rocblas_operation_17rocblas_diagonal_iiT3_T4_lilT5_lili, .Lfunc_end159-_ZL30rocblas_trsm_small_left_deviceILi24ELi24ELb0E19rocblas_complex_numIfES1_PKS1_PS1_Ev13rocblas_fill_18rocblas_operation_17rocblas_diagonal_iiT3_T4_lilT5_lili
                                        ; -- End function
	.set _ZL30rocblas_trsm_small_left_deviceILi24ELi24ELb0E19rocblas_complex_numIfES1_PKS1_PS1_Ev13rocblas_fill_18rocblas_operation_17rocblas_diagonal_iiT3_T4_lilT5_lili.num_vgpr, 17
	.set _ZL30rocblas_trsm_small_left_deviceILi24ELi24ELb0E19rocblas_complex_numIfES1_PKS1_PS1_Ev13rocblas_fill_18rocblas_operation_17rocblas_diagonal_iiT3_T4_lilT5_lili.num_agpr, 0
	.set _ZL30rocblas_trsm_small_left_deviceILi24ELi24ELb0E19rocblas_complex_numIfES1_PKS1_PS1_Ev13rocblas_fill_18rocblas_operation_17rocblas_diagonal_iiT3_T4_lilT5_lili.numbered_sgpr, 32
	.set _ZL30rocblas_trsm_small_left_deviceILi24ELi24ELb0E19rocblas_complex_numIfES1_PKS1_PS1_Ev13rocblas_fill_18rocblas_operation_17rocblas_diagonal_iiT3_T4_lilT5_lili.num_named_barrier, 0
	.set _ZL30rocblas_trsm_small_left_deviceILi24ELi24ELb0E19rocblas_complex_numIfES1_PKS1_PS1_Ev13rocblas_fill_18rocblas_operation_17rocblas_diagonal_iiT3_T4_lilT5_lili.private_seg_size, 208
	.set _ZL30rocblas_trsm_small_left_deviceILi24ELi24ELb0E19rocblas_complex_numIfES1_PKS1_PS1_Ev13rocblas_fill_18rocblas_operation_17rocblas_diagonal_iiT3_T4_lilT5_lili.uses_vcc, 1
	.set _ZL30rocblas_trsm_small_left_deviceILi24ELi24ELb0E19rocblas_complex_numIfES1_PKS1_PS1_Ev13rocblas_fill_18rocblas_operation_17rocblas_diagonal_iiT3_T4_lilT5_lili.uses_flat_scratch, 0
	.set _ZL30rocblas_trsm_small_left_deviceILi24ELi24ELb0E19rocblas_complex_numIfES1_PKS1_PS1_Ev13rocblas_fill_18rocblas_operation_17rocblas_diagonal_iiT3_T4_lilT5_lili.has_dyn_sized_stack, 0
	.set _ZL30rocblas_trsm_small_left_deviceILi24ELi24ELb0E19rocblas_complex_numIfES1_PKS1_PS1_Ev13rocblas_fill_18rocblas_operation_17rocblas_diagonal_iiT3_T4_lilT5_lili.has_recursion, 0
	.set _ZL30rocblas_trsm_small_left_deviceILi24ELi24ELb0E19rocblas_complex_numIfES1_PKS1_PS1_Ev13rocblas_fill_18rocblas_operation_17rocblas_diagonal_iiT3_T4_lilT5_lili.has_indirect_call, 0
	.section	.AMDGPU.csdata,"",@progbits
; Kernel info:
; codeLenInByte = 2540
; TotalNumSgprs: 36
; NumVgprs: 17
; ScratchSize: 208
; MemoryBound: 0
; FloatMode: 240
; IeeeMode: 1
; LDSByteSize: 4608 bytes/workgroup (compile time only)
; SGPRBlocks: 12
; VGPRBlocks: 12
; NumSGPRsForWavesPerEU: 102
; NumVGPRsForWavesPerEU: 49
; Occupancy: 4
; WaveLimiterHint : 0
; COMPUTE_PGM_RSRC2:SCRATCH_EN: 1
; COMPUTE_PGM_RSRC2:USER_SGPR: 6
; COMPUTE_PGM_RSRC2:TRAP_HANDLER: 0
; COMPUTE_PGM_RSRC2:TGID_X_EN: 1
; COMPUTE_PGM_RSRC2:TGID_Y_EN: 0
; COMPUTE_PGM_RSRC2:TGID_Z_EN: 1
; COMPUTE_PGM_RSRC2:TIDIG_COMP_CNT: 0
	.section	.text._ZL38rocblas_trsm_small_left_device_sharedBILi24ELi24ELb1E19rocblas_complex_numIfES1_PKS1_PS1_Ev13rocblas_fill_18rocblas_operation_17rocblas_diagonal_iiT3_T4_lilT5_lili,"axG",@progbits,_ZL38rocblas_trsm_small_left_device_sharedBILi24ELi24ELb1E19rocblas_complex_numIfES1_PKS1_PS1_Ev13rocblas_fill_18rocblas_operation_17rocblas_diagonal_iiT3_T4_lilT5_lili,comdat
	.globl	_ZL38rocblas_trsm_small_left_device_sharedBILi24ELi24ELb1E19rocblas_complex_numIfES1_PKS1_PS1_Ev13rocblas_fill_18rocblas_operation_17rocblas_diagonal_iiT3_T4_lilT5_lili ; -- Begin function _ZL38rocblas_trsm_small_left_device_sharedBILi24ELi24ELb1E19rocblas_complex_numIfES1_PKS1_PS1_Ev13rocblas_fill_18rocblas_operation_17rocblas_diagonal_iiT3_T4_lilT5_lili
	.p2align	8
	.type	_ZL38rocblas_trsm_small_left_device_sharedBILi24ELi24ELb1E19rocblas_complex_numIfES1_PKS1_PS1_Ev13rocblas_fill_18rocblas_operation_17rocblas_diagonal_iiT3_T4_lilT5_lili,@function
_ZL38rocblas_trsm_small_left_device_sharedBILi24ELi24ELb1E19rocblas_complex_numIfES1_PKS1_PS1_Ev13rocblas_fill_18rocblas_operation_17rocblas_diagonal_iiT3_T4_lilT5_lili: ; @_ZL38rocblas_trsm_small_left_device_sharedBILi24ELi24ELb1E19rocblas_complex_numIfES1_PKS1_PS1_Ev13rocblas_fill_18rocblas_operation_17rocblas_diagonal_iiT3_T4_lilT5_lili
; %bb.0:
	s_add_u32 s0, s0, s8
	s_load_dwordx4 s[12:15], s[4:5], 0x4
	s_load_dwordx2 s[18:19], s[4:5], 0x14
	s_load_dwordx4 s[8:11], s[4:5], 0x38
	s_load_dwordx2 s[16:17], s[4:5], 0x48
	s_load_dword s27, s[4:5], 0x68
	s_addc_u32 s1, s1, 0
	s_waitcnt lgkmcnt(0)
	s_min_i32 s26, s14, 24
	v_cmp_gt_i32_e32 vcc, s26, v0
	s_and_saveexec_b64 s[20:21], vcc
	s_cbranch_execz .LBB160_15
; %bb.1:
	s_load_dword s24, s[4:5], 0x30
	s_load_dwordx4 s[28:31], s[4:5], 0x20
	s_mul_i32 s9, s9, s7
	s_mul_hi_u32 s33, s8, s7
	s_mul_i32 s8, s8, s7
	s_waitcnt lgkmcnt(0)
	s_ashr_i32 s25, s24, 31
	s_cmpk_lg_i32 s12, 0x71
	s_cselect_b64 s[22:23], -1, 0
	s_add_i32 s9, s33, s9
	s_lshl_b64 s[8:9], s[8:9], 3
	s_lshl_b64 s[30:31], s[30:31], 3
	s_add_u32 s8, s8, s30
	s_addc_u32 s9, s9, s31
	s_add_u32 s8, s28, s8
	v_lshlrev_b32_e32 v5, 3, v0
	s_addc_u32 s9, s29, s9
	v_mov_b32_e32 v1, s9
	v_add_co_u32_e32 v2, vcc, s8, v5
	v_addc_co_u32_e32 v3, vcc, 0, v1, vcc
	v_add_co_u32_e32 v1, vcc, 4, v2
	s_lshl_b64 s[8:9], s[24:25], 3
	v_addc_co_u32_e32 v2, vcc, 0, v3, vcc
	v_mov_b32_e32 v6, s9
	v_mov_b32_e32 v7, v5
	s_mov_b32 s9, s26
	s_branch .LBB160_3
.LBB160_2:                              ;   in Loop: Header=BB160_3 Depth=1
	global_load_dword v3, v[1:2], off offset:-4
	s_add_i32 s9, s9, -1
	v_add_co_u32_e32 v1, vcc, s8, v1
	v_addc_co_u32_e32 v2, vcc, v2, v6, vcc
	s_cmp_eq_u32 s9, 0
	s_waitcnt vmcnt(0)
	ds_write_b64 v7, v[3:4]
	v_add_u32_e32 v7, 0xc0, v7
	s_cbranch_scc1 .LBB160_7
.LBB160_3:                              ; =>This Inner Loop Header: Depth=1
	s_mov_b64 s[24:25], -1
	s_and_b64 vcc, exec, s[22:23]
                                        ; implicit-def: $vgpr4
	s_cbranch_vccz .LBB160_5
; %bb.4:                                ;   in Loop: Header=BB160_3 Depth=1
	global_load_dword v4, v[1:2], off
	s_mov_b64 s[24:25], 0
.LBB160_5:                              ;   in Loop: Header=BB160_3 Depth=1
	s_andn2_b64 vcc, exec, s[24:25]
	s_cbranch_vccnz .LBB160_2
; %bb.6:                                ;   in Loop: Header=BB160_3 Depth=1
	global_load_dword v3, v[1:2], off
	s_waitcnt vmcnt(0)
	v_xor_b32_e32 v4, 0x80000000, v3
	s_branch .LBB160_2
.LBB160_7:
	v_mul_u32_u24_e32 v1, 0xc0, v0
	s_cmpk_lg_i32 s13, 0x84
	s_mov_b64 s[8:9], -1
	v_add_u32_e32 v5, v5, v1
	s_cbranch_scc0 .LBB160_13
; %bb.8:
	ds_read_b64 v[1:2], v5
                                        ; implicit-def: $vgpr3
	s_waitcnt lgkmcnt(0)
	v_cmp_ngt_f32_e64 s[8:9], |v1|, |v2|
	s_and_saveexec_b64 s[22:23], s[8:9]
	s_xor_b64 s[8:9], exec, s[22:23]
	s_cbranch_execz .LBB160_10
; %bb.9:
	v_div_scale_f32 v3, s[22:23], v2, v2, v1
	v_div_scale_f32 v4, vcc, v1, v2, v1
	v_rcp_f32_e32 v6, v3
	v_fma_f32 v7, -v3, v6, 1.0
	v_fmac_f32_e32 v6, v7, v6
	v_mul_f32_e32 v7, v4, v6
	v_fma_f32 v8, -v3, v7, v4
	v_fmac_f32_e32 v7, v8, v6
	v_fma_f32 v3, -v3, v7, v4
	v_div_fmas_f32 v3, v3, v6, v7
	v_div_fixup_f32 v3, v3, v2, v1
	v_fmac_f32_e32 v2, v1, v3
	v_div_scale_f32 v1, s[22:23], v2, v2, 1.0
	v_div_scale_f32 v4, vcc, 1.0, v2, 1.0
	v_rcp_f32_e32 v6, v1
	v_fma_f32 v7, -v1, v6, 1.0
	v_fmac_f32_e32 v6, v7, v6
	v_mul_f32_e32 v7, v4, v6
	v_fma_f32 v8, -v1, v7, v4
	v_fmac_f32_e32 v7, v8, v6
	v_fma_f32 v1, -v1, v7, v4
	v_div_fmas_f32 v1, v1, v6, v7
	v_add_f32_e32 v4, 0, v3
	v_fma_f32 v6, v3, 0, -1.0
	v_div_fixup_f32 v1, v1, v2, 1.0
	v_mul_f32_e32 v3, v4, v1
	v_mul_f32_e32 v4, v6, v1
                                        ; implicit-def: $vgpr1_vgpr2
.LBB160_10:
	s_andn2_saveexec_b64 s[8:9], s[8:9]
	s_cbranch_execz .LBB160_12
; %bb.11:
	v_div_scale_f32 v3, s[22:23], v1, v1, v2
	v_div_scale_f32 v4, vcc, v2, v1, v2
	v_rcp_f32_e32 v6, v3
	v_fma_f32 v7, -v3, v6, 1.0
	v_fmac_f32_e32 v6, v7, v6
	v_mul_f32_e32 v7, v4, v6
	v_fma_f32 v8, -v3, v7, v4
	v_fmac_f32_e32 v7, v8, v6
	v_fma_f32 v3, -v3, v7, v4
	v_div_fmas_f32 v3, v3, v6, v7
	v_div_fixup_f32 v4, v3, v1, v2
	v_fmac_f32_e32 v1, v2, v4
	v_div_scale_f32 v2, s[22:23], v1, v1, 1.0
	v_div_scale_f32 v3, vcc, 1.0, v1, 1.0
	v_rcp_f32_e32 v6, v2
	v_fma_f32 v7, -v2, v6, 1.0
	v_fmac_f32_e32 v6, v7, v6
	v_mul_f32_e32 v7, v3, v6
	v_fma_f32 v8, -v2, v7, v3
	v_fmac_f32_e32 v7, v8, v6
	v_fma_f32 v2, -v2, v7, v3
	v_div_fmas_f32 v2, v2, v6, v7
	v_fma_f32 v3, v4, 0, 1.0
	v_div_fixup_f32 v1, v2, v1, 1.0
	v_mul_f32_e32 v3, v3, v1
	v_mul_f32_e64 v4, -v4, v1
.LBB160_12:
	s_or_b64 exec, exec, s[8:9]
	s_mov_b64 s[8:9], 0
	ds_write_b64 v5, v[3:4]
.LBB160_13:
	s_and_b64 vcc, exec, s[8:9]
	s_cbranch_vccz .LBB160_15
; %bb.14:
	v_mov_b32_e32 v1, 1.0
	v_mov_b32_e32 v2, 0
	ds_write_b64 v5, v[1:2]
.LBB160_15:
	s_or_b64 exec, exec, s[20:21]
	s_load_dword s22, s[4:5], 0x50
	s_load_dwordx2 s[8:9], s[4:5], 0x58
	s_add_i32 s27, s27, -1
	s_waitcnt lgkmcnt(0)
	s_ashr_i32 s13, s22, 31
	s_mul_i32 s4, s9, s7
	s_mul_hi_u32 s5, s8, s7
	s_add_i32 s9, s5, s4
	s_mul_i32 s4, s6, 0xffffffe8
	s_add_i32 s4, s15, s4
	s_cmp_ge_u32 s6, s27
	s_mul_i32 s6, s6, 24
	s_mul_i32 s8, s8, s7
	s_cselect_b32 s4, s4, 24
	s_ashr_i32 s7, s6, 31
	s_cmp_gt_i32 s14, 0
	v_cmp_gt_i32_e64 s[4:5], s4, v0
	s_cselect_b64 s[14:15], -1, 0
	s_and_b64 s[24:25], s[4:5], s[14:15]
	s_and_saveexec_b64 s[20:21], s[24:25]
	s_cbranch_execz .LBB160_18
; %bb.16:
	v_lshlrev_b32_e32 v3, 3, v0
	s_lshl_b64 s[28:29], s[6:7], 3
	s_lshl_b64 s[24:25], s[8:9], 3
	v_mov_b32_e32 v1, s29
	v_add_co_u32_e32 v4, vcc, s28, v3
	s_lshl_b64 s[28:29], s[16:17], 3
	s_add_u32 s7, s10, s28
	s_addc_u32 s23, s11, s29
	s_add_u32 s24, s7, s24
	v_addc_co_u32_e32 v5, vcc, 0, v1, vcc
	s_addc_u32 s25, s23, s25
	v_mov_b32_e32 v1, s24
	v_mov_b32_e32 v2, s25
	v_mad_u64_u32 v[1:2], s[24:25], v4, s22, v[1:2]
	v_mul_lo_u32 v4, v4, s13
	v_mul_lo_u32 v5, v5, s22
	v_add_co_u32_e32 v1, vcc, 4, v1
	v_or_b32_e32 v3, 0x1200, v3
	v_add3_u32 v2, v5, v2, v4
	v_addc_co_u32_e32 v2, vcc, 0, v2, vcc
	s_mov_b32 s7, s26
.LBB160_17:                             ; =>This Inner Loop Header: Depth=1
	global_load_dwordx2 v[4:5], v[1:2], off offset:-4
	s_add_i32 s7, s7, -1
	v_add_co_u32_e32 v1, vcc, 8, v1
	v_addc_co_u32_e32 v2, vcc, 0, v2, vcc
	s_cmp_lg_u32 s7, 0
	s_waitcnt vmcnt(0)
	v_mul_f32_e32 v7, s19, v5
	v_mul_f32_e32 v6, s18, v5
	v_fma_f32 v5, s18, v4, -v7
	v_fmac_f32_e32 v6, s19, v4
	ds_write_b64 v3, v[5:6]
	v_add_u32_e32 v3, 0xc0, v3
	s_cbranch_scc1 .LBB160_17
.LBB160_18:
	s_or_b64 exec, exec, s[20:21]
	v_mov_b32_e32 v1, 0x1200
	s_cmpk_eq_i32 s12, 0x6f
	v_lshl_or_b32 v3, v0, 3, v1
	s_mov_b64 s[12:13], -1
	s_waitcnt lgkmcnt(0)
	; wave barrier
	s_cbranch_scc1 .LBB160_39
; %bb.19:
	s_add_i32 s7, s26, -1
	s_lshl_b32 s20, s26, 3
	s_mov_b32 s13, 0
	s_add_i32 s20, s20, -8
	s_mov_b32 s12, s13
	s_mov_b32 s21, s7
	s_branch .LBB160_21
.LBB160_20:                             ;   in Loop: Header=BB160_21 Depth=1
	s_cmp_lt_i32 s21, 0
	s_cselect_b64 s[18:19], -1, 0
	s_add_i32 s12, s12, 1
	s_cmp_eq_u32 s12, 3
	s_cselect_b64 s[24:25], -1, 0
	s_or_b64 s[18:19], s[18:19], s[24:25]
	s_andn2_b64 vcc, exec, s[18:19]
	s_cbranch_vccz .LBB160_38
.LBB160_21:                             ; =>This Loop Header: Depth=1
                                        ;     Child Loop BB160_24 Depth 2
                                        ;       Child Loop BB160_25 Depth 3
                                        ;       Child Loop BB160_27 Depth 3
                                        ;         Child Loop BB160_28 Depth 4
                                        ;       Child Loop BB160_32 Depth 3
                                        ;         Child Loop BB160_34 Depth 4
	s_lshl_b64 s[18:19], s[12:13], 2
	s_getpc_b64 s[24:25]
	s_add_u32 s24, s24, __const._ZL38rocblas_trsm_small_left_device_sharedBILi24ELi24ELb1E19rocblas_complex_numIfES1_PKS1_PS1_Ev13rocblas_fill_18rocblas_operation_17rocblas_diagonal_iiT3_T4_lilT5_lili.step_sizes@rel32@lo+4
	s_addc_u32 s25, s25, __const._ZL38rocblas_trsm_small_left_device_sharedBILi24ELi24ELb1E19rocblas_complex_numIfES1_PKS1_PS1_Ev13rocblas_fill_18rocblas_operation_17rocblas_diagonal_iiT3_T4_lilT5_lili.step_sizes@rel32@hi+12
	s_add_u32 s18, s24, s18
	s_addc_u32 s19, s25, s19
	s_load_dword s23, s[18:19], 0x0
	s_waitcnt lgkmcnt(0)
	s_add_i32 s24, s23, -1
	s_cmp_lt_i32 s21, s24
	s_cbranch_scc1 .LBB160_20
; %bb.22:                               ;   in Loop: Header=BB160_21 Depth=1
	s_mul_i32 s18, s21, 0xc0
	s_max_i32 s25, s23, 1
	v_add_u32_e32 v4, s18, v3
	s_mul_i32 s27, s23, 0xffffff40
	s_add_i32 s28, s20, s18
	s_mul_i32 s29, s21, 0xc8
	s_mul_i32 s30, s23, 0xffffff38
	s_branch .LBB160_24
.LBB160_23:                             ;   in Loop: Header=BB160_24 Depth=2
	s_sub_i32 s21, s21, s23
	s_add_i32 s28, s28, s27
	s_add_i32 s29, s29, s30
	s_cmp_lt_i32 s21, s24
	v_add_u32_e32 v4, s27, v4
	s_cbranch_scc1 .LBB160_20
.LBB160_24:                             ;   Parent Loop BB160_21 Depth=1
                                        ; =>  This Loop Header: Depth=2
                                        ;       Child Loop BB160_25 Depth 3
                                        ;       Child Loop BB160_27 Depth 3
                                        ;         Child Loop BB160_28 Depth 4
                                        ;       Child Loop BB160_32 Depth 3
                                        ;         Child Loop BB160_34 Depth 4
	s_mov_b32 s18, 0
	v_mov_b32_e32 v1, v4
	s_mov_b32 s19, s25
.LBB160_25:                             ;   Parent Loop BB160_21 Depth=1
                                        ;     Parent Loop BB160_24 Depth=2
                                        ; =>    This Inner Loop Header: Depth=3
	ds_read_b64 v[5:6], v1
	v_mov_b32_e32 v2, s18
	s_add_i32 s19, s19, -1
	s_add_i32 s18, s18, 8
	v_add_u32_e32 v1, 0xffffff40, v1
	s_cmp_eq_u32 s19, 0
	s_waitcnt lgkmcnt(0)
	buffer_store_dword v6, v2, s[0:3], 0 offen offset:4
	buffer_store_dword v5, v2, s[0:3], 0 offen
	s_cbranch_scc0 .LBB160_25
; %bb.26:                               ;   in Loop: Header=BB160_24 Depth=2
	s_cmp_le_i32 s7, s21
	s_mov_b32 s18, s28
	s_mov_b32 s19, s7
	s_cbranch_scc1 .LBB160_30
.LBB160_27:                             ;   Parent Loop BB160_21 Depth=1
                                        ;     Parent Loop BB160_24 Depth=2
                                        ; =>    This Loop Header: Depth=3
                                        ;         Child Loop BB160_28 Depth 4
	s_mul_i32 s31, s19, 0xc0
	v_add_u32_e32 v1, s31, v3
	ds_read_b64 v[1:2], v1
	s_mov_b32 s31, 0
	s_mov_b32 s33, s18
	;; [unrolled: 1-line block ×3, first 2 shown]
.LBB160_28:                             ;   Parent Loop BB160_21 Depth=1
                                        ;     Parent Loop BB160_24 Depth=2
                                        ;       Parent Loop BB160_27 Depth=3
                                        ; =>      This Inner Loop Header: Depth=4
	v_mov_b32_e32 v7, s31
	buffer_load_dword v8, v7, s[0:3], 0 offen
	buffer_load_dword v9, v7, s[0:3], 0 offen offset:4
	v_mov_b32_e32 v5, s33
	ds_read_b64 v[5:6], v5
	s_add_i32 s34, s34, -1
	s_addk_i32 s33, 0xff40
	s_add_i32 s31, s31, 8
	s_cmp_eq_u32 s34, 0
	s_waitcnt lgkmcnt(0)
	v_mul_f32_e32 v10, v6, v2
	v_mul_f32_e32 v6, v6, v1
	v_fma_f32 v10, v5, v1, -v10
	v_fmac_f32_e32 v6, v5, v2
	s_waitcnt vmcnt(1)
	v_sub_f32_e32 v5, v8, v10
	s_waitcnt vmcnt(0)
	v_sub_f32_e32 v6, v9, v6
	buffer_store_dword v5, v7, s[0:3], 0 offen
	buffer_store_dword v6, v7, s[0:3], 0 offen offset:4
	s_cbranch_scc0 .LBB160_28
; %bb.29:                               ;   in Loop: Header=BB160_27 Depth=3
	s_add_i32 s19, s19, -1
	s_add_i32 s18, s18, -8
	s_cmp_le_i32 s19, s21
	s_cbranch_scc0 .LBB160_27
.LBB160_30:                             ;   in Loop: Header=BB160_24 Depth=2
	s_mul_i32 s31, s21, 0xc0
	s_mov_b32 s33, 0
	s_mov_b32 s34, s29
	s_branch .LBB160_32
.LBB160_31:                             ;   in Loop: Header=BB160_32 Depth=3
	s_mul_i32 s18, s36, 0xc8
	v_mov_b32_e32 v5, s18
	ds_read_b64 v[5:6], v5
	s_lshl_b32 s18, s33, 3
	s_add_i32 s33, s33, 1
	s_addk_i32 s34, 0xff40
	v_mov_b32_e32 v9, s18
	s_waitcnt vmcnt(0) lgkmcnt(0)
	v_mul_f32_e32 v7, v6, v2
	v_mul_f32_e32 v8, v5, v2
	v_fma_f32 v7, v5, v1, -v7
	v_fmac_f32_e32 v8, v6, v1
	v_add_u32_e32 v1, s35, v3
	s_cmp_eq_u32 s33, s25
	buffer_store_dword v7, v9, s[0:3], 0 offen
	buffer_store_dword v8, v9, s[0:3], 0 offen offset:4
	ds_write_b64 v1, v[7:8]
	s_cbranch_scc1 .LBB160_23
.LBB160_32:                             ;   Parent Loop BB160_21 Depth=1
                                        ;     Parent Loop BB160_24 Depth=2
                                        ; =>    This Loop Header: Depth=3
                                        ;         Child Loop BB160_34 Depth 4
	s_cmp_lg_u32 s33, 0
	s_cbranch_scc0 .LBB160_36
; %bb.33:                               ;   in Loop: Header=BB160_32 Depth=3
	s_lshl_b32 s18, s33, 3
	v_mov_b32_e32 v5, s18
	buffer_load_dword v1, v5, s[0:3], 0 offen
	buffer_load_dword v2, v5, s[0:3], 0 offen offset:4
	s_sub_i32 s36, s21, s33
	s_mul_i32 s35, s36, 0xc0
	s_mov_b32 s18, 0
	s_mov_b32 s19, s34
	;; [unrolled: 1-line block ×3, first 2 shown]
.LBB160_34:                             ;   Parent Loop BB160_21 Depth=1
                                        ;     Parent Loop BB160_24 Depth=2
                                        ;       Parent Loop BB160_32 Depth=3
                                        ; =>      This Inner Loop Header: Depth=4
	v_mov_b32_e32 v6, s18
	buffer_load_dword v8, v6, s[0:3], 0 offen offset:4
	buffer_load_dword v9, v6, s[0:3], 0 offen
	v_mov_b32_e32 v6, s19
	ds_read_b64 v[6:7], v6
	s_add_i32 s37, s37, -1
	s_add_i32 s19, s19, -8
	s_add_i32 s18, s18, 8
	s_cmp_eq_u32 s37, 0
	s_waitcnt vmcnt(1) lgkmcnt(0)
	v_mul_f32_e32 v10, v7, v8
	v_mul_f32_e32 v8, v6, v8
	s_waitcnt vmcnt(0)
	v_fma_f32 v6, v6, v9, -v10
	v_fmac_f32_e32 v8, v7, v9
	v_sub_f32_e32 v1, v1, v6
	v_sub_f32_e32 v2, v2, v8
	buffer_store_dword v1, v5, s[0:3], 0 offen
	buffer_store_dword v2, v5, s[0:3], 0 offen offset:4
	s_cbranch_scc0 .LBB160_34
; %bb.35:                               ;   in Loop: Header=BB160_32 Depth=3
	s_branch .LBB160_31
.LBB160_36:                             ;   in Loop: Header=BB160_32 Depth=3
                                        ; implicit-def: $vgpr1
                                        ; implicit-def: $vgpr2
                                        ; implicit-def: $sgpr36
                                        ; implicit-def: $sgpr35
	s_cbranch_execz .LBB160_31
; %bb.37:                               ;   in Loop: Header=BB160_32 Depth=3
	buffer_load_dword v1, off, s[0:3], 0
	buffer_load_dword v2, off, s[0:3], 0 offset:4
	s_mov_b32 s35, s31
	s_mov_b32 s36, s21
	s_branch .LBB160_31
.LBB160_38:
	s_mov_b64 s[12:13], 0
.LBB160_39:
	s_and_b64 vcc, exec, s[12:13]
	s_cbranch_vccz .LBB160_60
; %bb.40:
	v_mov_b32_e32 v1, 0x1200
	s_mov_b32 s13, 0
	v_lshl_or_b32 v4, v0, 3, v1
	s_mov_b32 s12, s13
	s_mov_b32 s7, s13
	s_branch .LBB160_42
.LBB160_41:                             ;   in Loop: Header=BB160_42 Depth=1
	s_cmp_ge_i32 s7, s26
	s_cselect_b64 s[18:19], -1, 0
	s_add_i32 s12, s12, 1
	s_cmp_eq_u32 s12, 3
	s_cselect_b64 s[20:21], -1, 0
	s_or_b64 s[18:19], s[18:19], s[20:21]
	s_and_b64 vcc, exec, s[18:19]
	s_cbranch_vccnz .LBB160_60
.LBB160_42:                             ; =>This Loop Header: Depth=1
                                        ;     Child Loop BB160_45 Depth 2
                                        ;       Child Loop BB160_46 Depth 3
                                        ;       Child Loop BB160_49 Depth 3
                                        ;         Child Loop BB160_50 Depth 4
                                        ;       Child Loop BB160_54 Depth 3
                                        ;         Child Loop BB160_56 Depth 4
	s_lshl_b64 s[18:19], s[12:13], 2
	s_getpc_b64 s[20:21]
	s_add_u32 s20, s20, __const._ZL38rocblas_trsm_small_left_device_sharedBILi24ELi24ELb1E19rocblas_complex_numIfES1_PKS1_PS1_Ev13rocblas_fill_18rocblas_operation_17rocblas_diagonal_iiT3_T4_lilT5_lili.step_sizes@rel32@lo+4
	s_addc_u32 s21, s21, __const._ZL38rocblas_trsm_small_left_device_sharedBILi24ELi24ELb1E19rocblas_complex_numIfES1_PKS1_PS1_Ev13rocblas_fill_18rocblas_operation_17rocblas_diagonal_iiT3_T4_lilT5_lili.step_sizes@rel32@hi+12
	s_add_u32 s18, s20, s18
	s_addc_u32 s19, s21, s19
	s_load_dword s20, s[18:19], 0x0
	s_waitcnt lgkmcnt(0)
	s_add_i32 s21, s20, -1
	s_add_i32 s18, s21, s7
	s_cmp_ge_i32 s18, s26
	s_cbranch_scc1 .LBB160_41
; %bb.43:                               ;   in Loop: Header=BB160_42 Depth=1
	s_mul_i32 s18, s7, 0xc0
	s_max_i32 s23, s20, 1
	v_add_u32_e32 v5, s18, v4
	s_mul_i32 s24, s20, 0xc0
	s_lshl_b32 s25, s7, 3
	s_lshl_b32 s27, s20, 3
	s_mul_i32 s28, s7, 0xc8
	s_mul_i32 s29, s20, 0xc8
	s_branch .LBB160_45
.LBB160_44:                             ;   in Loop: Header=BB160_45 Depth=2
	s_add_i32 s7, s7, s20
	s_add_i32 s18, s21, s7
	s_add_i32 s25, s25, s27
	s_add_i32 s28, s28, s29
	s_cmp_ge_i32 s18, s26
	v_add_u32_e32 v5, s24, v5
	s_cbranch_scc1 .LBB160_41
.LBB160_45:                             ;   Parent Loop BB160_42 Depth=1
                                        ; =>  This Loop Header: Depth=2
                                        ;       Child Loop BB160_46 Depth 3
                                        ;       Child Loop BB160_49 Depth 3
                                        ;         Child Loop BB160_50 Depth 4
                                        ;       Child Loop BB160_54 Depth 3
                                        ;         Child Loop BB160_56 Depth 4
	s_mov_b32 s18, 0
	v_mov_b32_e32 v1, v5
	s_mov_b32 s19, s23
.LBB160_46:                             ;   Parent Loop BB160_42 Depth=1
                                        ;     Parent Loop BB160_45 Depth=2
                                        ; =>    This Inner Loop Header: Depth=3
	ds_read_b64 v[6:7], v1
	v_mov_b32_e32 v2, s18
	s_add_i32 s19, s19, -1
	s_add_i32 s18, s18, 8
	v_add_u32_e32 v1, 0xc0, v1
	s_cmp_eq_u32 s19, 0
	s_waitcnt lgkmcnt(0)
	buffer_store_dword v7, v2, s[0:3], 0 offen offset:4
	buffer_store_dword v6, v2, s[0:3], 0 offen
	s_cbranch_scc0 .LBB160_46
; %bb.47:                               ;   in Loop: Header=BB160_45 Depth=2
	s_cmp_lt_i32 s7, 1
	s_cbranch_scc1 .LBB160_52
; %bb.48:                               ;   in Loop: Header=BB160_45 Depth=2
	s_mov_b32 s18, 0
	s_mov_b32 s19, s25
.LBB160_49:                             ;   Parent Loop BB160_42 Depth=1
                                        ;     Parent Loop BB160_45 Depth=2
                                        ; =>    This Loop Header: Depth=3
                                        ;         Child Loop BB160_50 Depth 4
	s_mul_i32 s30, s18, 0xc0
	v_add_u32_e32 v1, s30, v3
	ds_read_b64 v[1:2], v1
	s_mov_b32 s30, 0
	s_mov_b32 s31, s19
	;; [unrolled: 1-line block ×3, first 2 shown]
.LBB160_50:                             ;   Parent Loop BB160_42 Depth=1
                                        ;     Parent Loop BB160_45 Depth=2
                                        ;       Parent Loop BB160_49 Depth=3
                                        ; =>      This Inner Loop Header: Depth=4
	v_mov_b32_e32 v8, s30
	buffer_load_dword v9, v8, s[0:3], 0 offen
	buffer_load_dword v10, v8, s[0:3], 0 offen offset:4
	v_mov_b32_e32 v6, s31
	ds_read_b64 v[6:7], v6
	s_add_i32 s33, s33, -1
	s_add_i32 s31, s31, 8
	s_add_i32 s30, s30, 8
	s_cmp_eq_u32 s33, 0
	s_waitcnt lgkmcnt(0)
	v_mul_f32_e32 v11, v7, v2
	v_mul_f32_e32 v7, v7, v1
	v_fma_f32 v11, v6, v1, -v11
	v_fmac_f32_e32 v7, v6, v2
	s_waitcnt vmcnt(1)
	v_sub_f32_e32 v6, v9, v11
	s_waitcnt vmcnt(0)
	v_sub_f32_e32 v7, v10, v7
	buffer_store_dword v6, v8, s[0:3], 0 offen
	buffer_store_dword v7, v8, s[0:3], 0 offen offset:4
	s_cbranch_scc0 .LBB160_50
; %bb.51:                               ;   in Loop: Header=BB160_49 Depth=3
	s_add_i32 s18, s18, 1
	s_addk_i32 s19, 0xc0
	s_cmp_eq_u32 s18, s7
	s_cbranch_scc0 .LBB160_49
.LBB160_52:                             ;   in Loop: Header=BB160_45 Depth=2
	s_mov_b32 s30, 0
	s_mov_b32 s31, s28
	s_branch .LBB160_54
.LBB160_53:                             ;   in Loop: Header=BB160_54 Depth=3
	s_add_i32 s18, s30, s7
	s_mul_i32 s19, s18, 0xc8
	v_mov_b32_e32 v6, s19
	ds_read_b64 v[6:7], v6
	s_lshl_b32 s19, s30, 3
	s_mulk_i32 s18, 0xc0
	s_add_i32 s30, s30, 1
	s_add_i32 s31, s31, 8
	s_waitcnt vmcnt(0) lgkmcnt(0)
	v_mul_f32_e32 v8, v7, v2
	v_mul_f32_e32 v9, v6, v2
	v_mov_b32_e32 v10, s19
	v_fma_f32 v8, v6, v1, -v8
	v_fmac_f32_e32 v9, v7, v1
	v_add_u32_e32 v1, s18, v3
	s_cmp_eq_u32 s30, s23
	buffer_store_dword v8, v10, s[0:3], 0 offen
	buffer_store_dword v9, v10, s[0:3], 0 offen offset:4
	ds_write_b64 v1, v[8:9]
	s_cbranch_scc1 .LBB160_44
.LBB160_54:                             ;   Parent Loop BB160_42 Depth=1
                                        ;     Parent Loop BB160_45 Depth=2
                                        ; =>    This Loop Header: Depth=3
                                        ;         Child Loop BB160_56 Depth 4
	s_cmp_lg_u32 s30, 0
	s_cbranch_scc0 .LBB160_58
; %bb.55:                               ;   in Loop: Header=BB160_54 Depth=3
	s_lshl_b32 s18, s30, 3
	v_mov_b32_e32 v6, s18
	buffer_load_dword v1, v6, s[0:3], 0 offen
	buffer_load_dword v2, v6, s[0:3], 0 offen offset:4
	s_mov_b32 s18, 0
	s_mov_b32 s19, s31
	;; [unrolled: 1-line block ×3, first 2 shown]
.LBB160_56:                             ;   Parent Loop BB160_42 Depth=1
                                        ;     Parent Loop BB160_45 Depth=2
                                        ;       Parent Loop BB160_54 Depth=3
                                        ; =>      This Inner Loop Header: Depth=4
	v_mov_b32_e32 v7, s18
	buffer_load_dword v9, v7, s[0:3], 0 offen offset:4
	buffer_load_dword v10, v7, s[0:3], 0 offen
	v_mov_b32_e32 v7, s19
	ds_read_b64 v[7:8], v7
	s_add_i32 s33, s33, -1
	s_addk_i32 s19, 0xc0
	s_add_i32 s18, s18, 8
	s_cmp_eq_u32 s33, 0
	s_waitcnt vmcnt(1) lgkmcnt(0)
	v_mul_f32_e32 v11, v8, v9
	v_mul_f32_e32 v9, v7, v9
	s_waitcnt vmcnt(0)
	v_fma_f32 v7, v7, v10, -v11
	v_fmac_f32_e32 v9, v8, v10
	v_sub_f32_e32 v1, v1, v7
	v_sub_f32_e32 v2, v2, v9
	buffer_store_dword v1, v6, s[0:3], 0 offen
	buffer_store_dword v2, v6, s[0:3], 0 offen offset:4
	s_cbranch_scc0 .LBB160_56
; %bb.57:                               ;   in Loop: Header=BB160_54 Depth=3
	s_branch .LBB160_53
.LBB160_58:                             ;   in Loop: Header=BB160_54 Depth=3
                                        ; implicit-def: $vgpr1
                                        ; implicit-def: $vgpr2
	s_cbranch_execz .LBB160_53
; %bb.59:                               ;   in Loop: Header=BB160_54 Depth=3
	buffer_load_dword v1, off, s[0:3], 0
	buffer_load_dword v2, off, s[0:3], 0 offset:4
	s_branch .LBB160_53
.LBB160_60:
	s_waitcnt lgkmcnt(0)
	; wave barrier
	s_and_saveexec_b64 s[12:13], s[4:5]
	s_cbranch_execz .LBB160_64
; %bb.61:
	s_andn2_b64 vcc, exec, s[14:15]
	s_cbranch_vccnz .LBB160_64
; %bb.62:
	s_lshl_b64 s[4:5], s[8:9], 3
	s_add_u32 s7, s10, s4
	s_addc_u32 s8, s11, s5
	s_lshl_b64 s[4:5], s[16:17], 3
	s_add_u32 s9, s7, s4
	s_addc_u32 s8, s8, s5
	s_mul_hi_i32 s5, s22, s6
	s_mul_i32 s4, s22, s6
	v_mad_i64_i32 v[1:2], s[6:7], s22, v0, 0
	s_lshl_b64 s[4:5], s[4:5], 3
	s_add_u32 s4, s9, s4
	v_lshlrev_b64 v[1:2], 3, v[1:2]
	s_addc_u32 s5, s8, s5
	v_mov_b32_e32 v3, s5
	v_add_co_u32_e32 v1, vcc, s4, v1
	v_addc_co_u32_e32 v2, vcc, v3, v2, vcc
	v_mov_b32_e32 v3, 0x1200
	v_lshl_or_b32 v0, v0, 3, v3
.LBB160_63:                             ; =>This Inner Loop Header: Depth=1
	ds_read_b64 v[3:4], v0
	s_add_i32 s26, s26, -1
	v_add_u32_e32 v0, 0xc0, v0
	s_cmp_lg_u32 s26, 0
	s_waitcnt lgkmcnt(0)
	global_store_dwordx2 v[1:2], v[3:4], off
	v_add_co_u32_e32 v1, vcc, 8, v1
	v_addc_co_u32_e32 v2, vcc, 0, v2, vcc
	s_cbranch_scc1 .LBB160_63
.LBB160_64:
	s_endpgm
	.section	.rodata,"a",@progbits
	.p2align	6, 0x0
	.amdhsa_kernel _ZL38rocblas_trsm_small_left_device_sharedBILi24ELi24ELb1E19rocblas_complex_numIfES1_PKS1_PS1_Ev13rocblas_fill_18rocblas_operation_17rocblas_diagonal_iiT3_T4_lilT5_lili
		.amdhsa_group_segment_fixed_size 9216
		.amdhsa_private_segment_fixed_size 208
		.amdhsa_kernarg_size 360
		.amdhsa_user_sgpr_count 6
		.amdhsa_user_sgpr_private_segment_buffer 1
		.amdhsa_user_sgpr_dispatch_ptr 0
		.amdhsa_user_sgpr_queue_ptr 0
		.amdhsa_user_sgpr_kernarg_segment_ptr 1
		.amdhsa_user_sgpr_dispatch_id 0
		.amdhsa_user_sgpr_flat_scratch_init 0
		.amdhsa_user_sgpr_private_segment_size 0
		.amdhsa_uses_dynamic_stack 0
		.amdhsa_system_sgpr_private_segment_wavefront_offset 1
		.amdhsa_system_sgpr_workgroup_id_x 1
		.amdhsa_system_sgpr_workgroup_id_y 0
		.amdhsa_system_sgpr_workgroup_id_z 1
		.amdhsa_system_sgpr_workgroup_info 0
		.amdhsa_system_vgpr_workitem_id 0
		.amdhsa_next_free_vgpr 85
		.amdhsa_next_free_sgpr 98
		.amdhsa_reserve_vcc 1
		.amdhsa_reserve_flat_scratch 0
		.amdhsa_float_round_mode_32 0
		.amdhsa_float_round_mode_16_64 0
		.amdhsa_float_denorm_mode_32 3
		.amdhsa_float_denorm_mode_16_64 3
		.amdhsa_dx10_clamp 1
		.amdhsa_ieee_mode 1
		.amdhsa_fp16_overflow 0
		.amdhsa_exception_fp_ieee_invalid_op 0
		.amdhsa_exception_fp_denorm_src 0
		.amdhsa_exception_fp_ieee_div_zero 0
		.amdhsa_exception_fp_ieee_overflow 0
		.amdhsa_exception_fp_ieee_underflow 0
		.amdhsa_exception_fp_ieee_inexact 0
		.amdhsa_exception_int_div_zero 0
	.end_amdhsa_kernel
	.section	.text._ZL38rocblas_trsm_small_left_device_sharedBILi24ELi24ELb1E19rocblas_complex_numIfES1_PKS1_PS1_Ev13rocblas_fill_18rocblas_operation_17rocblas_diagonal_iiT3_T4_lilT5_lili,"axG",@progbits,_ZL38rocblas_trsm_small_left_device_sharedBILi24ELi24ELb1E19rocblas_complex_numIfES1_PKS1_PS1_Ev13rocblas_fill_18rocblas_operation_17rocblas_diagonal_iiT3_T4_lilT5_lili,comdat
.Lfunc_end160:
	.size	_ZL38rocblas_trsm_small_left_device_sharedBILi24ELi24ELb1E19rocblas_complex_numIfES1_PKS1_PS1_Ev13rocblas_fill_18rocblas_operation_17rocblas_diagonal_iiT3_T4_lilT5_lili, .Lfunc_end160-_ZL38rocblas_trsm_small_left_device_sharedBILi24ELi24ELb1E19rocblas_complex_numIfES1_PKS1_PS1_Ev13rocblas_fill_18rocblas_operation_17rocblas_diagonal_iiT3_T4_lilT5_lili
                                        ; -- End function
	.set _ZL38rocblas_trsm_small_left_device_sharedBILi24ELi24ELb1E19rocblas_complex_numIfES1_PKS1_PS1_Ev13rocblas_fill_18rocblas_operation_17rocblas_diagonal_iiT3_T4_lilT5_lili.num_vgpr, 12
	.set _ZL38rocblas_trsm_small_left_device_sharedBILi24ELi24ELb1E19rocblas_complex_numIfES1_PKS1_PS1_Ev13rocblas_fill_18rocblas_operation_17rocblas_diagonal_iiT3_T4_lilT5_lili.num_agpr, 0
	.set _ZL38rocblas_trsm_small_left_device_sharedBILi24ELi24ELb1E19rocblas_complex_numIfES1_PKS1_PS1_Ev13rocblas_fill_18rocblas_operation_17rocblas_diagonal_iiT3_T4_lilT5_lili.numbered_sgpr, 38
	.set _ZL38rocblas_trsm_small_left_device_sharedBILi24ELi24ELb1E19rocblas_complex_numIfES1_PKS1_PS1_Ev13rocblas_fill_18rocblas_operation_17rocblas_diagonal_iiT3_T4_lilT5_lili.num_named_barrier, 0
	.set _ZL38rocblas_trsm_small_left_device_sharedBILi24ELi24ELb1E19rocblas_complex_numIfES1_PKS1_PS1_Ev13rocblas_fill_18rocblas_operation_17rocblas_diagonal_iiT3_T4_lilT5_lili.private_seg_size, 208
	.set _ZL38rocblas_trsm_small_left_device_sharedBILi24ELi24ELb1E19rocblas_complex_numIfES1_PKS1_PS1_Ev13rocblas_fill_18rocblas_operation_17rocblas_diagonal_iiT3_T4_lilT5_lili.uses_vcc, 1
	.set _ZL38rocblas_trsm_small_left_device_sharedBILi24ELi24ELb1E19rocblas_complex_numIfES1_PKS1_PS1_Ev13rocblas_fill_18rocblas_operation_17rocblas_diagonal_iiT3_T4_lilT5_lili.uses_flat_scratch, 0
	.set _ZL38rocblas_trsm_small_left_device_sharedBILi24ELi24ELb1E19rocblas_complex_numIfES1_PKS1_PS1_Ev13rocblas_fill_18rocblas_operation_17rocblas_diagonal_iiT3_T4_lilT5_lili.has_dyn_sized_stack, 0
	.set _ZL38rocblas_trsm_small_left_device_sharedBILi24ELi24ELb1E19rocblas_complex_numIfES1_PKS1_PS1_Ev13rocblas_fill_18rocblas_operation_17rocblas_diagonal_iiT3_T4_lilT5_lili.has_recursion, 0
	.set _ZL38rocblas_trsm_small_left_device_sharedBILi24ELi24ELb1E19rocblas_complex_numIfES1_PKS1_PS1_Ev13rocblas_fill_18rocblas_operation_17rocblas_diagonal_iiT3_T4_lilT5_lili.has_indirect_call, 0
	.section	.AMDGPU.csdata,"",@progbits
; Kernel info:
; codeLenInByte = 2688
; TotalNumSgprs: 42
; NumVgprs: 12
; ScratchSize: 208
; MemoryBound: 0
; FloatMode: 240
; IeeeMode: 1
; LDSByteSize: 9216 bytes/workgroup (compile time only)
; SGPRBlocks: 12
; VGPRBlocks: 21
; NumSGPRsForWavesPerEU: 102
; NumVGPRsForWavesPerEU: 85
; Occupancy: 2
; WaveLimiterHint : 0
; COMPUTE_PGM_RSRC2:SCRATCH_EN: 1
; COMPUTE_PGM_RSRC2:USER_SGPR: 6
; COMPUTE_PGM_RSRC2:TRAP_HANDLER: 0
; COMPUTE_PGM_RSRC2:TGID_X_EN: 1
; COMPUTE_PGM_RSRC2:TGID_Y_EN: 0
; COMPUTE_PGM_RSRC2:TGID_Z_EN: 1
; COMPUTE_PGM_RSRC2:TIDIG_COMP_CNT: 0
	.section	.text._ZL30rocblas_trsm_small_left_deviceILi24ELi24ELb1E19rocblas_complex_numIfES1_PKS1_PS1_Ev13rocblas_fill_18rocblas_operation_17rocblas_diagonal_iiT3_T4_lilT5_lili,"axG",@progbits,_ZL30rocblas_trsm_small_left_deviceILi24ELi24ELb1E19rocblas_complex_numIfES1_PKS1_PS1_Ev13rocblas_fill_18rocblas_operation_17rocblas_diagonal_iiT3_T4_lilT5_lili,comdat
	.globl	_ZL30rocblas_trsm_small_left_deviceILi24ELi24ELb1E19rocblas_complex_numIfES1_PKS1_PS1_Ev13rocblas_fill_18rocblas_operation_17rocblas_diagonal_iiT3_T4_lilT5_lili ; -- Begin function _ZL30rocblas_trsm_small_left_deviceILi24ELi24ELb1E19rocblas_complex_numIfES1_PKS1_PS1_Ev13rocblas_fill_18rocblas_operation_17rocblas_diagonal_iiT3_T4_lilT5_lili
	.p2align	8
	.type	_ZL30rocblas_trsm_small_left_deviceILi24ELi24ELb1E19rocblas_complex_numIfES1_PKS1_PS1_Ev13rocblas_fill_18rocblas_operation_17rocblas_diagonal_iiT3_T4_lilT5_lili,@function
_ZL30rocblas_trsm_small_left_deviceILi24ELi24ELb1E19rocblas_complex_numIfES1_PKS1_PS1_Ev13rocblas_fill_18rocblas_operation_17rocblas_diagonal_iiT3_T4_lilT5_lili: ; @_ZL30rocblas_trsm_small_left_deviceILi24ELi24ELb1E19rocblas_complex_numIfES1_PKS1_PS1_Ev13rocblas_fill_18rocblas_operation_17rocblas_diagonal_iiT3_T4_lilT5_lili
; %bb.0:
	s_add_u32 s0, s0, s8
	s_load_dwordx4 s[12:15], s[4:5], 0x4
	s_load_dwordx2 s[16:17], s[4:5], 0x14
	s_load_dwordx4 s[8:11], s[4:5], 0x38
	s_load_dwordx2 s[18:19], s[4:5], 0x48
	s_load_dword s27, s[4:5], 0x68
	s_addc_u32 s1, s1, 0
	s_waitcnt lgkmcnt(0)
	s_min_i32 s26, s14, 24
	v_cmp_gt_i32_e32 vcc, s26, v0
	s_and_saveexec_b64 s[20:21], vcc
	s_cbranch_execz .LBB161_15
; %bb.1:
	s_load_dword s24, s[4:5], 0x30
	s_load_dwordx4 s[28:31], s[4:5], 0x20
	s_mul_i32 s9, s9, s7
	s_mul_hi_u32 s14, s8, s7
	s_mul_i32 s8, s8, s7
	s_waitcnt lgkmcnt(0)
	s_ashr_i32 s25, s24, 31
	s_cmpk_lg_i32 s12, 0x71
	s_cselect_b64 s[22:23], -1, 0
	s_add_i32 s9, s14, s9
	s_lshl_b64 s[8:9], s[8:9], 3
	s_lshl_b64 s[30:31], s[30:31], 3
	s_add_u32 s8, s8, s30
	s_addc_u32 s9, s9, s31
	s_add_u32 s8, s28, s8
	v_lshlrev_b32_e32 v5, 3, v0
	s_addc_u32 s9, s29, s9
	v_mov_b32_e32 v1, s9
	v_add_co_u32_e32 v2, vcc, s8, v5
	v_addc_co_u32_e32 v3, vcc, 0, v1, vcc
	v_add_co_u32_e32 v1, vcc, 4, v2
	s_lshl_b64 s[8:9], s[24:25], 3
	v_addc_co_u32_e32 v2, vcc, 0, v3, vcc
	v_mov_b32_e32 v6, s9
	v_mov_b32_e32 v7, v5
	s_mov_b32 s9, s26
	s_branch .LBB161_3
.LBB161_2:                              ;   in Loop: Header=BB161_3 Depth=1
	global_load_dword v3, v[1:2], off offset:-4
	s_add_i32 s9, s9, -1
	v_add_co_u32_e32 v1, vcc, s8, v1
	v_addc_co_u32_e32 v2, vcc, v2, v6, vcc
	s_cmp_eq_u32 s9, 0
	s_waitcnt vmcnt(0)
	ds_write_b64 v7, v[3:4]
	v_add_u32_e32 v7, 0xc0, v7
	s_cbranch_scc1 .LBB161_7
.LBB161_3:                              ; =>This Inner Loop Header: Depth=1
	s_mov_b64 s[24:25], -1
	s_and_b64 vcc, exec, s[22:23]
                                        ; implicit-def: $vgpr4
	s_cbranch_vccz .LBB161_5
; %bb.4:                                ;   in Loop: Header=BB161_3 Depth=1
	global_load_dword v4, v[1:2], off
	s_mov_b64 s[24:25], 0
.LBB161_5:                              ;   in Loop: Header=BB161_3 Depth=1
	s_andn2_b64 vcc, exec, s[24:25]
	s_cbranch_vccnz .LBB161_2
; %bb.6:                                ;   in Loop: Header=BB161_3 Depth=1
	global_load_dword v3, v[1:2], off
	s_waitcnt vmcnt(0)
	v_xor_b32_e32 v4, 0x80000000, v3
	s_branch .LBB161_2
.LBB161_7:
	s_cmpk_lg_i32 s13, 0x84
	v_mul_u32_u24_e32 v6, 0xc0, v0
	s_mov_b64 s[8:9], -1
	s_cbranch_scc0 .LBB161_13
; %bb.8:
	v_add_u32_e32 v7, v5, v6
	ds_read_b64 v[1:2], v7
                                        ; implicit-def: $vgpr3
	s_waitcnt lgkmcnt(0)
	v_cmp_ngt_f32_e64 s[8:9], |v1|, |v2|
	s_and_saveexec_b64 s[22:23], s[8:9]
	s_xor_b64 s[8:9], exec, s[22:23]
	s_cbranch_execz .LBB161_10
; %bb.9:
	v_div_scale_f32 v3, s[22:23], v2, v2, v1
	v_div_scale_f32 v4, vcc, v1, v2, v1
	v_rcp_f32_e32 v8, v3
	v_fma_f32 v9, -v3, v8, 1.0
	v_fmac_f32_e32 v8, v9, v8
	v_mul_f32_e32 v9, v4, v8
	v_fma_f32 v10, -v3, v9, v4
	v_fmac_f32_e32 v9, v10, v8
	v_fma_f32 v3, -v3, v9, v4
	v_div_fmas_f32 v3, v3, v8, v9
	v_div_fixup_f32 v3, v3, v2, v1
	v_fmac_f32_e32 v2, v1, v3
	v_div_scale_f32 v1, s[22:23], v2, v2, 1.0
	v_div_scale_f32 v4, vcc, 1.0, v2, 1.0
	v_rcp_f32_e32 v8, v1
	v_fma_f32 v9, -v1, v8, 1.0
	v_fmac_f32_e32 v8, v9, v8
	v_mul_f32_e32 v9, v4, v8
	v_fma_f32 v10, -v1, v9, v4
	v_fmac_f32_e32 v9, v10, v8
	v_fma_f32 v1, -v1, v9, v4
	v_div_fmas_f32 v1, v1, v8, v9
	v_add_f32_e32 v4, 0, v3
	v_fma_f32 v8, v3, 0, -1.0
	v_div_fixup_f32 v1, v1, v2, 1.0
	v_mul_f32_e32 v3, v4, v1
	v_mul_f32_e32 v4, v8, v1
                                        ; implicit-def: $vgpr1_vgpr2
.LBB161_10:
	s_andn2_saveexec_b64 s[8:9], s[8:9]
	s_cbranch_execz .LBB161_12
; %bb.11:
	v_div_scale_f32 v3, s[22:23], v1, v1, v2
	v_div_scale_f32 v4, vcc, v2, v1, v2
	v_rcp_f32_e32 v8, v3
	v_fma_f32 v9, -v3, v8, 1.0
	v_fmac_f32_e32 v8, v9, v8
	v_mul_f32_e32 v9, v4, v8
	v_fma_f32 v10, -v3, v9, v4
	v_fmac_f32_e32 v9, v10, v8
	v_fma_f32 v3, -v3, v9, v4
	v_div_fmas_f32 v3, v3, v8, v9
	v_div_fixup_f32 v4, v3, v1, v2
	v_fmac_f32_e32 v1, v2, v4
	v_div_scale_f32 v2, s[22:23], v1, v1, 1.0
	v_div_scale_f32 v3, vcc, 1.0, v1, 1.0
	v_rcp_f32_e32 v8, v2
	v_fma_f32 v9, -v2, v8, 1.0
	v_fmac_f32_e32 v8, v9, v8
	v_mul_f32_e32 v9, v3, v8
	v_fma_f32 v10, -v2, v9, v3
	v_fmac_f32_e32 v9, v10, v8
	v_fma_f32 v2, -v2, v9, v3
	v_div_fmas_f32 v2, v2, v8, v9
	v_fma_f32 v3, v4, 0, 1.0
	v_div_fixup_f32 v1, v2, v1, 1.0
	v_mul_f32_e32 v3, v3, v1
	v_mul_f32_e64 v4, -v4, v1
.LBB161_12:
	s_or_b64 exec, exec, s[8:9]
	s_mov_b64 s[8:9], 0
	ds_write_b64 v7, v[3:4]
.LBB161_13:
	s_and_b64 vcc, exec, s[8:9]
	s_cbranch_vccz .LBB161_15
; %bb.14:
	v_add_u32_e32 v3, v5, v6
	v_mov_b32_e32 v1, 1.0
	v_mov_b32_e32 v2, 0
	ds_write_b64 v3, v[1:2]
.LBB161_15:
	s_or_b64 exec, exec, s[20:21]
	s_mul_i32 s8, s6, 0xffffffe8
	s_add_i32 s27, s27, -1
	s_add_i32 s8, s15, s8
	s_cmp_ge_u32 s6, s27
	s_cselect_b32 s8, s8, 24
	v_cmp_gt_i32_e32 vcc, s8, v0
	s_waitcnt lgkmcnt(0)
	; wave barrier
	s_and_saveexec_b64 s[8:9], vcc
	s_cbranch_execz .LBB161_58
; %bb.16:
	s_load_dwordx2 s[8:9], s[4:5], 0x58
	s_load_dword s13, s[4:5], 0x50
	s_waitcnt lgkmcnt(0)
	s_mul_i32 s5, s9, s7
	s_mul_hi_u32 s9, s8, s7
	s_mul_i32 s4, s8, s7
	v_mad_u64_u32 v[0:1], s[6:7], s6, 24, v[0:1]
	s_add_i32 s5, s9, s5
	s_lshl_b64 s[4:5], s[4:5], 3
	v_mad_i64_i32 v[0:1], s[6:7], s13, v0, 0
	s_add_u32 s8, s10, s4
	s_addc_u32 s9, s11, s5
	s_lshl_b64 s[6:7], s[18:19], 3
	s_add_u32 s8, s8, s6
	v_lshlrev_b64 v[0:1], 3, v[0:1]
	s_addc_u32 s9, s9, s7
	v_mov_b32_e32 v2, s9
	v_add_co_u32_e32 v4, vcc, s8, v0
	v_addc_co_u32_e32 v5, vcc, v2, v1, vcc
	s_cmpk_eq_i32 s12, 0x6f
	s_mov_b64 s[8:9], -1
	s_cbranch_scc1 .LBB161_37
; %bb.17:
	s_add_i32 s22, s26, -1
	s_add_u32 s8, s10, s6
	s_addc_u32 s9, s11, s7
	s_add_u32 s8, s8, s4
	s_addc_u32 s9, s9, s5
	v_mov_b32_e32 v2, s9
	v_add_co_u32_e32 v3, vcc, s8, v0
	v_addc_co_u32_e32 v2, vcc, v2, v1, vcc
	v_add_co_u32_e32 v6, vcc, 4, v3
	s_lshl_b32 s23, s26, 3
	s_mov_b32 s9, 0
	v_addc_co_u32_e32 v7, vcc, 0, v2, vcc
	s_add_i32 s23, s23, -8
	s_mov_b32 s8, s9
	s_mov_b32 s12, s22
	s_branch .LBB161_19
.LBB161_18:                             ;   in Loop: Header=BB161_19 Depth=1
	s_cmp_lt_i32 s12, 0
	s_cselect_b64 s[14:15], -1, 0
	s_add_i32 s8, s8, 1
	s_cmp_eq_u32 s8, 3
	s_cselect_b64 s[18:19], -1, 0
	s_or_b64 s[14:15], s[14:15], s[18:19]
	s_andn2_b64 vcc, exec, s[14:15]
	s_cbranch_vccz .LBB161_36
.LBB161_19:                             ; =>This Loop Header: Depth=1
                                        ;     Child Loop BB161_22 Depth 2
                                        ;       Child Loop BB161_23 Depth 3
                                        ;       Child Loop BB161_25 Depth 3
                                        ;         Child Loop BB161_26 Depth 4
                                        ;       Child Loop BB161_30 Depth 3
                                        ;         Child Loop BB161_32 Depth 4
	s_lshl_b64 s[14:15], s[8:9], 2
	s_getpc_b64 s[18:19]
	s_add_u32 s18, s18, __const._ZL30rocblas_trsm_small_left_deviceILi24ELi24ELb1E19rocblas_complex_numIfES1_PKS1_PS1_Ev13rocblas_fill_18rocblas_operation_17rocblas_diagonal_iiT3_T4_lilT5_lili.step_sizes@rel32@lo+4
	s_addc_u32 s19, s19, __const._ZL30rocblas_trsm_small_left_deviceILi24ELi24ELb1E19rocblas_complex_numIfES1_PKS1_PS1_Ev13rocblas_fill_18rocblas_operation_17rocblas_diagonal_iiT3_T4_lilT5_lili.step_sizes@rel32@hi+12
	s_add_u32 s14, s18, s14
	s_addc_u32 s15, s19, s15
	s_load_dword s24, s[14:15], 0x0
	s_waitcnt lgkmcnt(0)
	s_add_i32 s25, s24, -1
	s_cmp_lt_i32 s12, s25
	s_cbranch_scc1 .LBB161_18
; %bb.20:                               ;   in Loop: Header=BB161_19 Depth=1
	s_mul_i32 s13, s12, 0xc0
	s_max_i32 s27, s24, 1
	s_add_i32 s28, s23, s13
	s_mul_i32 s29, s24, 0xffffff40
	s_mul_i32 s30, s12, 0xc8
	;; [unrolled: 1-line block ×3, first 2 shown]
	s_branch .LBB161_22
.LBB161_21:                             ;   in Loop: Header=BB161_22 Depth=2
	s_sub_i32 s12, s12, s24
	s_add_i32 s28, s28, s29
	s_add_i32 s30, s30, s31
	s_cmp_lt_i32 s12, s25
	s_cbranch_scc1 .LBB161_18
.LBB161_22:                             ;   Parent Loop BB161_19 Depth=1
                                        ; =>  This Loop Header: Depth=2
                                        ;       Child Loop BB161_23 Depth 3
                                        ;       Child Loop BB161_25 Depth 3
                                        ;         Child Loop BB161_26 Depth 4
                                        ;       Child Loop BB161_30 Depth 3
                                        ;         Child Loop BB161_32 Depth 4
	s_ashr_i32 s13, s12, 31
	s_lshl_b64 s[14:15], s[12:13], 3
	v_mov_b32_e32 v3, s15
	v_add_co_u32_e32 v2, vcc, s14, v6
	v_addc_co_u32_e32 v3, vcc, v7, v3, vcc
	s_mov_b32 s14, 0
	s_mov_b32 s15, s27
.LBB161_23:                             ;   Parent Loop BB161_19 Depth=1
                                        ;     Parent Loop BB161_22 Depth=2
                                        ; =>    This Inner Loop Header: Depth=3
	global_load_dwordx2 v[8:9], v[2:3], off offset:-4
	v_mov_b32_e32 v10, s14
	s_add_i32 s15, s15, -1
	v_add_co_u32_e32 v2, vcc, -8, v2
	s_add_i32 s14, s14, 8
	v_addc_co_u32_e32 v3, vcc, -1, v3, vcc
	s_cmp_eq_u32 s15, 0
	s_waitcnt vmcnt(0)
	v_mul_f32_e32 v11, s17, v9
	v_mul_f32_e32 v9, s16, v9
	v_fma_f32 v11, v8, s16, -v11
	v_fmac_f32_e32 v9, s17, v8
	buffer_store_dword v11, v10, s[0:3], 0 offen
	buffer_store_dword v9, v10, s[0:3], 0 offen offset:4
	s_cbranch_scc0 .LBB161_23
; %bb.24:                               ;   in Loop: Header=BB161_22 Depth=2
	s_cmp_le_i32 s22, s12
	s_mov_b32 s18, s28
	s_mov_b32 s14, s22
	s_cbranch_scc1 .LBB161_28
.LBB161_25:                             ;   Parent Loop BB161_19 Depth=1
                                        ;     Parent Loop BB161_22 Depth=2
                                        ; =>    This Loop Header: Depth=3
                                        ;         Child Loop BB161_26 Depth 4
	s_ashr_i32 s15, s14, 31
	s_lshl_b64 s[20:21], s[14:15], 3
	v_mov_b32_e32 v3, s21
	v_add_co_u32_e32 v2, vcc, s20, v4
	v_addc_co_u32_e32 v3, vcc, v5, v3, vcc
	global_load_dwordx2 v[2:3], v[2:3], off
	s_mov_b32 s15, 0
	s_mov_b32 s19, s18
	;; [unrolled: 1-line block ×3, first 2 shown]
.LBB161_26:                             ;   Parent Loop BB161_19 Depth=1
                                        ;     Parent Loop BB161_22 Depth=2
                                        ;       Parent Loop BB161_25 Depth=3
                                        ; =>      This Inner Loop Header: Depth=4
	v_mov_b32_e32 v10, s15
	buffer_load_dword v11, v10, s[0:3], 0 offen
	buffer_load_dword v12, v10, s[0:3], 0 offen offset:4
	v_mov_b32_e32 v8, s19
	ds_read_b64 v[8:9], v8
	s_add_i32 s20, s20, -1
	s_addk_i32 s19, 0xff40
	s_add_i32 s15, s15, 8
	s_cmp_eq_u32 s20, 0
	s_waitcnt vmcnt(2) lgkmcnt(0)
	v_mul_f32_e32 v13, v9, v3
	v_mul_f32_e32 v9, v9, v2
	v_fma_f32 v13, v8, v2, -v13
	v_fmac_f32_e32 v9, v8, v3
	s_waitcnt vmcnt(1)
	v_sub_f32_e32 v8, v11, v13
	s_waitcnt vmcnt(0)
	v_sub_f32_e32 v9, v12, v9
	buffer_store_dword v8, v10, s[0:3], 0 offen
	buffer_store_dword v9, v10, s[0:3], 0 offen offset:4
	s_cbranch_scc0 .LBB161_26
; %bb.27:                               ;   in Loop: Header=BB161_25 Depth=3
	s_add_i32 s14, s14, -1
	s_add_i32 s18, s18, -8
	s_cmp_le_i32 s14, s12
	s_cbranch_scc0 .LBB161_25
.LBB161_28:                             ;   in Loop: Header=BB161_22 Depth=2
	s_mov_b32 s33, 0
	s_mov_b32 s34, s30
	s_branch .LBB161_30
.LBB161_29:                             ;   in Loop: Header=BB161_30 Depth=3
	s_mulk_i32 s18, 0xc8
	v_mov_b32_e32 v8, s18
	ds_read_b64 v[8:9], v8
	s_lshl_b64 s[14:15], s[14:15], 3
	s_lshl_b32 s18, s33, 3
	s_add_i32 s33, s33, 1
	s_addk_i32 s34, 0xff40
	s_waitcnt vmcnt(0) lgkmcnt(0)
	v_mul_f32_e32 v10, v9, v3
	v_mul_f32_e32 v11, v8, v3
	v_fma_f32 v10, v8, v2, -v10
	v_fmac_f32_e32 v11, v9, v2
	v_mov_b32_e32 v3, s15
	v_add_co_u32_e32 v2, vcc, s14, v4
	v_mov_b32_e32 v12, s18
	v_addc_co_u32_e32 v3, vcc, v5, v3, vcc
	s_cmp_eq_u32 s33, s27
	buffer_store_dword v10, v12, s[0:3], 0 offen
	buffer_store_dword v11, v12, s[0:3], 0 offen offset:4
	global_store_dwordx2 v[2:3], v[10:11], off
	s_cbranch_scc1 .LBB161_21
.LBB161_30:                             ;   Parent Loop BB161_19 Depth=1
                                        ;     Parent Loop BB161_22 Depth=2
                                        ; =>    This Loop Header: Depth=3
                                        ;         Child Loop BB161_32 Depth 4
	s_cmp_lg_u32 s33, 0
	s_cbranch_scc0 .LBB161_34
; %bb.31:                               ;   in Loop: Header=BB161_30 Depth=3
	s_lshl_b32 s14, s33, 3
	v_mov_b32_e32 v8, s14
	buffer_load_dword v2, v8, s[0:3], 0 offen
	buffer_load_dword v3, v8, s[0:3], 0 offen offset:4
	s_mov_b32 s14, 0
	s_mov_b32 s15, s34
	;; [unrolled: 1-line block ×3, first 2 shown]
.LBB161_32:                             ;   Parent Loop BB161_19 Depth=1
                                        ;     Parent Loop BB161_22 Depth=2
                                        ;       Parent Loop BB161_30 Depth=3
                                        ; =>      This Inner Loop Header: Depth=4
	v_mov_b32_e32 v9, s14
	buffer_load_dword v11, v9, s[0:3], 0 offen offset:4
	buffer_load_dword v12, v9, s[0:3], 0 offen
	v_mov_b32_e32 v9, s15
	ds_read_b64 v[9:10], v9
	s_add_i32 s18, s18, -1
	s_add_i32 s15, s15, -8
	s_add_i32 s14, s14, 8
	s_cmp_eq_u32 s18, 0
	s_waitcnt vmcnt(1) lgkmcnt(0)
	v_mul_f32_e32 v13, v10, v11
	v_mul_f32_e32 v11, v9, v11
	s_waitcnt vmcnt(0)
	v_fma_f32 v9, v9, v12, -v13
	v_fmac_f32_e32 v11, v10, v12
	v_sub_f32_e32 v2, v2, v9
	v_sub_f32_e32 v3, v3, v11
	buffer_store_dword v2, v8, s[0:3], 0 offen
	buffer_store_dword v3, v8, s[0:3], 0 offen offset:4
	s_cbranch_scc0 .LBB161_32
; %bb.33:                               ;   in Loop: Header=BB161_30 Depth=3
	s_sub_i32 s18, s12, s33
	s_ashr_i32 s19, s18, 31
	s_mov_b64 s[14:15], s[18:19]
	s_branch .LBB161_29
.LBB161_34:                             ;   in Loop: Header=BB161_30 Depth=3
                                        ; implicit-def: $vgpr2
                                        ; implicit-def: $vgpr3
                                        ; implicit-def: $sgpr18
                                        ; implicit-def: $sgpr14_sgpr15
	s_cbranch_execz .LBB161_29
; %bb.35:                               ;   in Loop: Header=BB161_30 Depth=3
	buffer_load_dword v2, off, s[0:3], 0
	buffer_load_dword v3, off, s[0:3], 0 offset:4
	s_mov_b64 s[14:15], s[12:13]
	s_mov_b32 s18, s12
	s_branch .LBB161_29
.LBB161_36:
	s_mov_b64 s[8:9], 0
.LBB161_37:
	s_and_b64 vcc, exec, s[8:9]
	s_cbranch_vccz .LBB161_58
; %bb.38:
	s_add_u32 s6, s10, s6
	s_addc_u32 s7, s11, s7
	s_add_u32 s4, s6, s4
	s_addc_u32 s5, s7, s5
	v_mov_b32_e32 v2, s5
	v_add_co_u32_e32 v0, vcc, s4, v0
	v_addc_co_u32_e32 v1, vcc, v2, v1, vcc
	v_add_co_u32_e32 v6, vcc, 4, v0
	s_mov_b32 s5, 0
	v_addc_co_u32_e32 v7, vcc, 0, v1, vcc
	s_mov_b32 s6, s5
	s_mov_b32 s8, s5
	s_branch .LBB161_40
.LBB161_39:                             ;   in Loop: Header=BB161_40 Depth=1
	s_cmp_ge_i32 s6, s26
	s_cselect_b64 s[10:11], -1, 0
	s_add_i32 s8, s8, 1
	s_cmp_eq_u32 s8, 3
	s_cselect_b64 s[12:13], -1, 0
	s_or_b64 s[10:11], s[10:11], s[12:13]
	s_and_b64 vcc, exec, s[10:11]
	s_cbranch_vccnz .LBB161_58
.LBB161_40:                             ; =>This Loop Header: Depth=1
                                        ;     Child Loop BB161_43 Depth 2
                                        ;       Child Loop BB161_44 Depth 3
                                        ;       Child Loop BB161_47 Depth 3
                                        ;         Child Loop BB161_48 Depth 4
                                        ;       Child Loop BB161_52 Depth 3
                                        ;         Child Loop BB161_54 Depth 4
	s_mov_b32 s9, s5
	s_lshl_b64 s[10:11], s[8:9], 2
	s_getpc_b64 s[12:13]
	s_add_u32 s12, s12, __const._ZL30rocblas_trsm_small_left_deviceILi24ELi24ELb1E19rocblas_complex_numIfES1_PKS1_PS1_Ev13rocblas_fill_18rocblas_operation_17rocblas_diagonal_iiT3_T4_lilT5_lili.step_sizes@rel32@lo+4
	s_addc_u32 s13, s13, __const._ZL30rocblas_trsm_small_left_deviceILi24ELi24ELb1E19rocblas_complex_numIfES1_PKS1_PS1_Ev13rocblas_fill_18rocblas_operation_17rocblas_diagonal_iiT3_T4_lilT5_lili.step_sizes@rel32@hi+12
	s_add_u32 s10, s12, s10
	s_addc_u32 s11, s13, s11
	s_load_dword s10, s[10:11], 0x0
	s_waitcnt lgkmcnt(0)
	s_add_i32 s9, s10, -1
	s_add_i32 s4, s9, s6
	s_cmp_ge_i32 s4, s26
	s_cbranch_scc1 .LBB161_39
; %bb.41:                               ;   in Loop: Header=BB161_40 Depth=1
	s_ashr_i32 s7, s6, 31
	s_lshl_b64 s[12:13], s[6:7], 3
	s_ashr_i32 s11, s10, 31
	v_mov_b32_e32 v1, s13
	v_add_co_u32_e32 v0, vcc, s12, v6
	s_lshl_b64 s[12:13], s[10:11], 3
	s_max_i32 s18, s10, 1
	v_addc_co_u32_e32 v1, vcc, v7, v1, vcc
	s_lshl_b32 s7, s6, 3
	s_lshl_b32 s11, s10, 3
	s_mul_i32 s19, s6, 0xc8
	s_mul_i32 s20, s10, 0xc8
	v_mov_b32_e32 v8, s13
	s_branch .LBB161_43
.LBB161_42:                             ;   in Loop: Header=BB161_43 Depth=2
	s_add_i32 s6, s6, s10
	s_add_i32 s4, s9, s6
	;; [unrolled: 1-line block ×4, first 2 shown]
	v_add_co_u32_e32 v0, vcc, s12, v0
	s_cmp_ge_i32 s4, s26
	v_addc_co_u32_e32 v1, vcc, v1, v8, vcc
	s_cbranch_scc1 .LBB161_39
.LBB161_43:                             ;   Parent Loop BB161_40 Depth=1
                                        ; =>  This Loop Header: Depth=2
                                        ;       Child Loop BB161_44 Depth 3
                                        ;       Child Loop BB161_47 Depth 3
                                        ;         Child Loop BB161_48 Depth 4
                                        ;       Child Loop BB161_52 Depth 3
                                        ;         Child Loop BB161_54 Depth 4
	v_mov_b32_e32 v3, v1
	s_mov_b32 s4, 0
	v_mov_b32_e32 v2, v0
	s_mov_b32 s13, s18
.LBB161_44:                             ;   Parent Loop BB161_40 Depth=1
                                        ;     Parent Loop BB161_43 Depth=2
                                        ; =>    This Inner Loop Header: Depth=3
	global_load_dwordx2 v[9:10], v[2:3], off offset:-4
	v_mov_b32_e32 v11, s4
	s_add_i32 s13, s13, -1
	v_add_co_u32_e32 v2, vcc, 8, v2
	s_add_i32 s4, s4, 8
	v_addc_co_u32_e32 v3, vcc, 0, v3, vcc
	s_cmp_eq_u32 s13, 0
	s_waitcnt vmcnt(0)
	v_mul_f32_e32 v12, s17, v10
	v_mul_f32_e32 v10, s16, v10
	v_fma_f32 v12, v9, s16, -v12
	v_fmac_f32_e32 v10, s17, v9
	buffer_store_dword v12, v11, s[0:3], 0 offen
	buffer_store_dword v10, v11, s[0:3], 0 offen offset:4
	s_cbranch_scc0 .LBB161_44
; %bb.45:                               ;   in Loop: Header=BB161_43 Depth=2
	s_cmp_lt_i32 s6, 1
	s_cbranch_scc1 .LBB161_50
; %bb.46:                               ;   in Loop: Header=BB161_43 Depth=2
	s_mov_b32 s4, 0
	s_mov_b32 s13, s7
.LBB161_47:                             ;   Parent Loop BB161_40 Depth=1
                                        ;     Parent Loop BB161_43 Depth=2
                                        ; =>    This Loop Header: Depth=3
                                        ;         Child Loop BB161_48 Depth 4
	s_lshl_b64 s[14:15], s[4:5], 3
	v_mov_b32_e32 v3, s15
	v_add_co_u32_e32 v2, vcc, s14, v4
	v_addc_co_u32_e32 v3, vcc, v5, v3, vcc
	global_load_dwordx2 v[2:3], v[2:3], off
	s_mov_b32 s14, 0
	s_mov_b32 s15, s13
	;; [unrolled: 1-line block ×3, first 2 shown]
.LBB161_48:                             ;   Parent Loop BB161_40 Depth=1
                                        ;     Parent Loop BB161_43 Depth=2
                                        ;       Parent Loop BB161_47 Depth=3
                                        ; =>      This Inner Loop Header: Depth=4
	v_mov_b32_e32 v11, s14
	buffer_load_dword v12, v11, s[0:3], 0 offen
	buffer_load_dword v13, v11, s[0:3], 0 offen offset:4
	v_mov_b32_e32 v9, s15
	ds_read_b64 v[9:10], v9
	s_add_i32 s21, s21, -1
	s_add_i32 s15, s15, 8
	s_add_i32 s14, s14, 8
	s_cmp_eq_u32 s21, 0
	s_waitcnt vmcnt(2) lgkmcnt(0)
	v_mul_f32_e32 v14, v10, v3
	v_mul_f32_e32 v10, v10, v2
	v_fma_f32 v14, v9, v2, -v14
	v_fmac_f32_e32 v10, v9, v3
	s_waitcnt vmcnt(1)
	v_sub_f32_e32 v9, v12, v14
	s_waitcnt vmcnt(0)
	v_sub_f32_e32 v10, v13, v10
	buffer_store_dword v9, v11, s[0:3], 0 offen
	buffer_store_dword v10, v11, s[0:3], 0 offen offset:4
	s_cbranch_scc0 .LBB161_48
; %bb.49:                               ;   in Loop: Header=BB161_47 Depth=3
	s_add_i32 s4, s4, 1
	s_addk_i32 s13, 0xc0
	s_cmp_eq_u32 s4, s6
	s_cbranch_scc0 .LBB161_47
.LBB161_50:                             ;   in Loop: Header=BB161_43 Depth=2
	s_mov_b32 s4, 0
	s_mov_b32 s13, s19
	s_branch .LBB161_52
.LBB161_51:                             ;   in Loop: Header=BB161_52 Depth=3
	s_add_i32 s14, s4, s6
	s_mul_i32 s15, s14, 0xc8
	v_mov_b32_e32 v9, s15
	ds_read_b64 v[9:10], v9
	s_lshl_b32 s15, s4, 3
	v_mov_b32_e32 v13, s15
	s_ashr_i32 s15, s14, 31
	s_lshl_b64 s[14:15], s[14:15], 3
	s_waitcnt vmcnt(0) lgkmcnt(0)
	v_mul_f32_e32 v11, v10, v3
	v_mul_f32_e32 v12, v9, v3
	v_fma_f32 v11, v9, v2, -v11
	v_fmac_f32_e32 v12, v10, v2
	v_mov_b32_e32 v3, s15
	v_add_co_u32_e32 v2, vcc, s14, v4
	s_add_i32 s4, s4, 1
	s_add_i32 s13, s13, 8
	v_addc_co_u32_e32 v3, vcc, v5, v3, vcc
	s_cmp_eq_u32 s4, s18
	buffer_store_dword v11, v13, s[0:3], 0 offen
	buffer_store_dword v12, v13, s[0:3], 0 offen offset:4
	global_store_dwordx2 v[2:3], v[11:12], off
	s_cbranch_scc1 .LBB161_42
.LBB161_52:                             ;   Parent Loop BB161_40 Depth=1
                                        ;     Parent Loop BB161_43 Depth=2
                                        ; =>    This Loop Header: Depth=3
                                        ;         Child Loop BB161_54 Depth 4
	s_cmp_lg_u32 s4, 0
	s_cbranch_scc0 .LBB161_56
; %bb.53:                               ;   in Loop: Header=BB161_52 Depth=3
	s_lshl_b32 s14, s4, 3
	v_mov_b32_e32 v9, s14
	buffer_load_dword v2, v9, s[0:3], 0 offen
	buffer_load_dword v3, v9, s[0:3], 0 offen offset:4
	s_mov_b32 s14, 0
	s_mov_b32 s15, s13
	;; [unrolled: 1-line block ×3, first 2 shown]
.LBB161_54:                             ;   Parent Loop BB161_40 Depth=1
                                        ;     Parent Loop BB161_43 Depth=2
                                        ;       Parent Loop BB161_52 Depth=3
                                        ; =>      This Inner Loop Header: Depth=4
	v_mov_b32_e32 v10, s14
	buffer_load_dword v12, v10, s[0:3], 0 offen offset:4
	buffer_load_dword v13, v10, s[0:3], 0 offen
	v_mov_b32_e32 v10, s15
	ds_read_b64 v[10:11], v10
	s_add_i32 s21, s21, -1
	s_addk_i32 s15, 0xc0
	s_add_i32 s14, s14, 8
	s_cmp_eq_u32 s21, 0
	s_waitcnt vmcnt(1) lgkmcnt(0)
	v_mul_f32_e32 v14, v11, v12
	v_mul_f32_e32 v12, v10, v12
	s_waitcnt vmcnt(0)
	v_fma_f32 v10, v10, v13, -v14
	v_fmac_f32_e32 v12, v11, v13
	v_sub_f32_e32 v2, v2, v10
	v_sub_f32_e32 v3, v3, v12
	buffer_store_dword v2, v9, s[0:3], 0 offen
	buffer_store_dword v3, v9, s[0:3], 0 offen offset:4
	s_cbranch_scc0 .LBB161_54
; %bb.55:                               ;   in Loop: Header=BB161_52 Depth=3
	s_branch .LBB161_51
.LBB161_56:                             ;   in Loop: Header=BB161_52 Depth=3
                                        ; implicit-def: $vgpr2
                                        ; implicit-def: $vgpr3
	s_cbranch_execz .LBB161_51
; %bb.57:                               ;   in Loop: Header=BB161_52 Depth=3
	buffer_load_dword v2, off, s[0:3], 0
	buffer_load_dword v3, off, s[0:3], 0 offset:4
	s_branch .LBB161_51
.LBB161_58:
	s_endpgm
	.section	.rodata,"a",@progbits
	.p2align	6, 0x0
	.amdhsa_kernel _ZL30rocblas_trsm_small_left_deviceILi24ELi24ELb1E19rocblas_complex_numIfES1_PKS1_PS1_Ev13rocblas_fill_18rocblas_operation_17rocblas_diagonal_iiT3_T4_lilT5_lili
		.amdhsa_group_segment_fixed_size 4608
		.amdhsa_private_segment_fixed_size 208
		.amdhsa_kernarg_size 360
		.amdhsa_user_sgpr_count 6
		.amdhsa_user_sgpr_private_segment_buffer 1
		.amdhsa_user_sgpr_dispatch_ptr 0
		.amdhsa_user_sgpr_queue_ptr 0
		.amdhsa_user_sgpr_kernarg_segment_ptr 1
		.amdhsa_user_sgpr_dispatch_id 0
		.amdhsa_user_sgpr_flat_scratch_init 0
		.amdhsa_user_sgpr_private_segment_size 0
		.amdhsa_uses_dynamic_stack 0
		.amdhsa_system_sgpr_private_segment_wavefront_offset 1
		.amdhsa_system_sgpr_workgroup_id_x 1
		.amdhsa_system_sgpr_workgroup_id_y 0
		.amdhsa_system_sgpr_workgroup_id_z 1
		.amdhsa_system_sgpr_workgroup_info 0
		.amdhsa_system_vgpr_workitem_id 0
		.amdhsa_next_free_vgpr 49
		.amdhsa_next_free_sgpr 98
		.amdhsa_reserve_vcc 1
		.amdhsa_reserve_flat_scratch 0
		.amdhsa_float_round_mode_32 0
		.amdhsa_float_round_mode_16_64 0
		.amdhsa_float_denorm_mode_32 3
		.amdhsa_float_denorm_mode_16_64 3
		.amdhsa_dx10_clamp 1
		.amdhsa_ieee_mode 1
		.amdhsa_fp16_overflow 0
		.amdhsa_exception_fp_ieee_invalid_op 0
		.amdhsa_exception_fp_denorm_src 0
		.amdhsa_exception_fp_ieee_div_zero 0
		.amdhsa_exception_fp_ieee_overflow 0
		.amdhsa_exception_fp_ieee_underflow 0
		.amdhsa_exception_fp_ieee_inexact 0
		.amdhsa_exception_int_div_zero 0
	.end_amdhsa_kernel
	.section	.text._ZL30rocblas_trsm_small_left_deviceILi24ELi24ELb1E19rocblas_complex_numIfES1_PKS1_PS1_Ev13rocblas_fill_18rocblas_operation_17rocblas_diagonal_iiT3_T4_lilT5_lili,"axG",@progbits,_ZL30rocblas_trsm_small_left_deviceILi24ELi24ELb1E19rocblas_complex_numIfES1_PKS1_PS1_Ev13rocblas_fill_18rocblas_operation_17rocblas_diagonal_iiT3_T4_lilT5_lili,comdat
.Lfunc_end161:
	.size	_ZL30rocblas_trsm_small_left_deviceILi24ELi24ELb1E19rocblas_complex_numIfES1_PKS1_PS1_Ev13rocblas_fill_18rocblas_operation_17rocblas_diagonal_iiT3_T4_lilT5_lili, .Lfunc_end161-_ZL30rocblas_trsm_small_left_deviceILi24ELi24ELb1E19rocblas_complex_numIfES1_PKS1_PS1_Ev13rocblas_fill_18rocblas_operation_17rocblas_diagonal_iiT3_T4_lilT5_lili
                                        ; -- End function
	.set _ZL30rocblas_trsm_small_left_deviceILi24ELi24ELb1E19rocblas_complex_numIfES1_PKS1_PS1_Ev13rocblas_fill_18rocblas_operation_17rocblas_diagonal_iiT3_T4_lilT5_lili.num_vgpr, 15
	.set _ZL30rocblas_trsm_small_left_deviceILi24ELi24ELb1E19rocblas_complex_numIfES1_PKS1_PS1_Ev13rocblas_fill_18rocblas_operation_17rocblas_diagonal_iiT3_T4_lilT5_lili.num_agpr, 0
	.set _ZL30rocblas_trsm_small_left_deviceILi24ELi24ELb1E19rocblas_complex_numIfES1_PKS1_PS1_Ev13rocblas_fill_18rocblas_operation_17rocblas_diagonal_iiT3_T4_lilT5_lili.numbered_sgpr, 35
	.set _ZL30rocblas_trsm_small_left_deviceILi24ELi24ELb1E19rocblas_complex_numIfES1_PKS1_PS1_Ev13rocblas_fill_18rocblas_operation_17rocblas_diagonal_iiT3_T4_lilT5_lili.num_named_barrier, 0
	.set _ZL30rocblas_trsm_small_left_deviceILi24ELi24ELb1E19rocblas_complex_numIfES1_PKS1_PS1_Ev13rocblas_fill_18rocblas_operation_17rocblas_diagonal_iiT3_T4_lilT5_lili.private_seg_size, 208
	.set _ZL30rocblas_trsm_small_left_deviceILi24ELi24ELb1E19rocblas_complex_numIfES1_PKS1_PS1_Ev13rocblas_fill_18rocblas_operation_17rocblas_diagonal_iiT3_T4_lilT5_lili.uses_vcc, 1
	.set _ZL30rocblas_trsm_small_left_deviceILi24ELi24ELb1E19rocblas_complex_numIfES1_PKS1_PS1_Ev13rocblas_fill_18rocblas_operation_17rocblas_diagonal_iiT3_T4_lilT5_lili.uses_flat_scratch, 0
	.set _ZL30rocblas_trsm_small_left_deviceILi24ELi24ELb1E19rocblas_complex_numIfES1_PKS1_PS1_Ev13rocblas_fill_18rocblas_operation_17rocblas_diagonal_iiT3_T4_lilT5_lili.has_dyn_sized_stack, 0
	.set _ZL30rocblas_trsm_small_left_deviceILi24ELi24ELb1E19rocblas_complex_numIfES1_PKS1_PS1_Ev13rocblas_fill_18rocblas_operation_17rocblas_diagonal_iiT3_T4_lilT5_lili.has_recursion, 0
	.set _ZL30rocblas_trsm_small_left_deviceILi24ELi24ELb1E19rocblas_complex_numIfES1_PKS1_PS1_Ev13rocblas_fill_18rocblas_operation_17rocblas_diagonal_iiT3_T4_lilT5_lili.has_indirect_call, 0
	.section	.AMDGPU.csdata,"",@progbits
; Kernel info:
; codeLenInByte = 2528
; TotalNumSgprs: 39
; NumVgprs: 15
; ScratchSize: 208
; MemoryBound: 0
; FloatMode: 240
; IeeeMode: 1
; LDSByteSize: 4608 bytes/workgroup (compile time only)
; SGPRBlocks: 12
; VGPRBlocks: 12
; NumSGPRsForWavesPerEU: 102
; NumVGPRsForWavesPerEU: 49
; Occupancy: 4
; WaveLimiterHint : 0
; COMPUTE_PGM_RSRC2:SCRATCH_EN: 1
; COMPUTE_PGM_RSRC2:USER_SGPR: 6
; COMPUTE_PGM_RSRC2:TRAP_HANDLER: 0
; COMPUTE_PGM_RSRC2:TGID_X_EN: 1
; COMPUTE_PGM_RSRC2:TGID_Y_EN: 0
; COMPUTE_PGM_RSRC2:TGID_Z_EN: 1
; COMPUTE_PGM_RSRC2:TIDIG_COMP_CNT: 0
	.section	.text._ZL31rocblas_trsm_small_right_deviceI19rocblas_complex_numIfES1_PKS1_PS1_Li24EEv13rocblas_fill_18rocblas_operation_17rocblas_diagonal_iiT0_T1_lilT2_lili,"axG",@progbits,_ZL31rocblas_trsm_small_right_deviceI19rocblas_complex_numIfES1_PKS1_PS1_Li24EEv13rocblas_fill_18rocblas_operation_17rocblas_diagonal_iiT0_T1_lilT2_lili,comdat
	.globl	_ZL31rocblas_trsm_small_right_deviceI19rocblas_complex_numIfES1_PKS1_PS1_Li24EEv13rocblas_fill_18rocblas_operation_17rocblas_diagonal_iiT0_T1_lilT2_lili ; -- Begin function _ZL31rocblas_trsm_small_right_deviceI19rocblas_complex_numIfES1_PKS1_PS1_Li24EEv13rocblas_fill_18rocblas_operation_17rocblas_diagonal_iiT0_T1_lilT2_lili
	.p2align	8
	.type	_ZL31rocblas_trsm_small_right_deviceI19rocblas_complex_numIfES1_PKS1_PS1_Li24EEv13rocblas_fill_18rocblas_operation_17rocblas_diagonal_iiT0_T1_lilT2_lili,@function
_ZL31rocblas_trsm_small_right_deviceI19rocblas_complex_numIfES1_PKS1_PS1_Li24EEv13rocblas_fill_18rocblas_operation_17rocblas_diagonal_iiT0_T1_lilT2_lili: ; @_ZL31rocblas_trsm_small_right_deviceI19rocblas_complex_numIfES1_PKS1_PS1_Li24EEv13rocblas_fill_18rocblas_operation_17rocblas_diagonal_iiT0_T1_lilT2_lili
; %bb.0:
	s_load_dwordx8 s[8:15], s[4:5], 0x0
	s_load_dwordx4 s[0:3], s[4:5], 0x38
	s_load_dwordx2 s[16:17], s[4:5], 0x48
	s_waitcnt lgkmcnt(0)
	s_min_i32 s24, s12, 24
	v_cmp_gt_i32_e32 vcc, s24, v0
	s_and_saveexec_b64 s[18:19], vcc
	s_cbranch_execz .LBB162_9
; %bb.1:
	s_load_dword s22, s[4:5], 0x30
	s_load_dwordx4 s[28:31], s[4:5], 0x20
	s_mul_i32 s1, s1, s7
	s_mul_hi_u32 s15, s0, s7
	s_mul_i32 s0, s0, s7
	s_waitcnt lgkmcnt(0)
	s_ashr_i32 s23, s22, 31
	s_cmpk_lg_i32 s9, 0x71
	s_cselect_b64 s[20:21], -1, 0
	s_add_i32 s1, s15, s1
	s_lshl_b64 s[0:1], s[0:1], 3
	s_lshl_b64 s[26:27], s[30:31], 3
	s_add_u32 s0, s0, s26
	s_addc_u32 s1, s1, s27
	s_add_u32 s0, s28, s0
	v_lshlrev_b32_e32 v5, 3, v0
	s_addc_u32 s1, s29, s1
	v_mov_b32_e32 v1, s1
	v_add_co_u32_e32 v2, vcc, s0, v5
	v_addc_co_u32_e32 v3, vcc, 0, v1, vcc
	v_add_co_u32_e32 v1, vcc, 4, v2
	s_lshl_b64 s[0:1], s[22:23], 3
	v_addc_co_u32_e32 v2, vcc, 0, v3, vcc
	v_mov_b32_e32 v6, s1
	v_mov_b32_e32 v7, v5
	s_mov_b32 s1, s24
	s_branch .LBB162_3
.LBB162_2:                              ;   in Loop: Header=BB162_3 Depth=1
	global_load_dword v3, v[1:2], off offset:-4
	s_add_i32 s1, s1, -1
	v_add_co_u32_e32 v1, vcc, s0, v1
	v_addc_co_u32_e32 v2, vcc, v2, v6, vcc
	s_cmp_eq_u32 s1, 0
	s_waitcnt vmcnt(0)
	ds_write_b64 v7, v[3:4]
	v_add_u32_e32 v7, 0xc0, v7
	s_cbranch_scc1 .LBB162_7
.LBB162_3:                              ; =>This Inner Loop Header: Depth=1
	s_mov_b64 s[22:23], -1
	s_and_b64 vcc, exec, s[20:21]
                                        ; implicit-def: $vgpr4
	s_cbranch_vccz .LBB162_5
; %bb.4:                                ;   in Loop: Header=BB162_3 Depth=1
	global_load_dword v4, v[1:2], off
	s_mov_b64 s[22:23], 0
.LBB162_5:                              ;   in Loop: Header=BB162_3 Depth=1
	s_andn2_b64 vcc, exec, s[22:23]
	s_cbranch_vccnz .LBB162_2
; %bb.6:                                ;   in Loop: Header=BB162_3 Depth=1
	global_load_dword v3, v[1:2], off
	s_waitcnt vmcnt(0)
	v_xor_b32_e32 v4, 0x80000000, v3
	s_branch .LBB162_2
.LBB162_7:
	s_cmpk_eq_i32 s10, 0x84
	s_cbranch_scc0 .LBB162_9
; %bb.8:
	s_movk_i32 s0, 0xc0
	v_mad_u32_u24 v3, v0, s0, v5
	v_mov_b32_e32 v1, 1.0
	v_mov_b32_e32 v2, 0
	ds_write_b64 v3, v[1:2]
.LBB162_9:
	s_or_b64 exec, exec, s[18:19]
	s_load_dword s0, s[4:5], 0x68
	s_load_dwordx2 s[18:19], s[4:5], 0x58
	s_load_dword s10, s[4:5], 0x50
	s_mul_hi_i32 s20, s6, 0xc0
	s_mul_i32 s21, s6, 0xc0
	s_waitcnt lgkmcnt(0)
	s_add_i32 s0, s0, -1
	s_mul_i32 s1, s19, s7
	s_mul_hi_u32 s5, s18, s7
	s_add_i32 s5, s5, s1
	s_mul_i32 s1, s6, 0xffffffe8
	s_add_i32 s1, s11, s1
	s_cmp_ge_u32 s6, s0
	s_cselect_b32 s0, s1, 24
	s_mul_i32 s4, s18, s7
	v_cmp_gt_i32_e64 s[0:1], s0, v0
	s_and_saveexec_b64 s[6:7], s[0:1]
	s_cbranch_execz .LBB162_13
; %bb.10:
	s_cmp_lt_i32 s12, 1
	s_cbranch_scc1 .LBB162_13
; %bb.11:
	s_ashr_i32 s11, s10, 31
	s_lshl_b64 s[18:19], s[4:5], 3
	s_add_u32 s15, s18, s21
	s_addc_u32 s22, s19, s20
	s_lshl_b64 s[18:19], s[16:17], 3
	s_add_u32 s15, s15, s18
	s_addc_u32 s18, s22, s19
	s_add_u32 s15, s2, s15
	v_lshlrev_b32_e32 v3, 3, v0
	s_addc_u32 s18, s3, s18
	v_mov_b32_e32 v1, s18
	v_add_co_u32_e32 v2, vcc, s15, v3
	v_addc_co_u32_e32 v4, vcc, 0, v1, vcc
	v_add_co_u32_e32 v1, vcc, 4, v2
	s_lshl_b64 s[18:19], s[10:11], 3
	v_addc_co_u32_e32 v2, vcc, 0, v4, vcc
	v_or_b32_e32 v3, 0x1200, v3
	v_mov_b32_e32 v4, s19
	s_mov_b32 s11, s12
.LBB162_12:                             ; =>This Inner Loop Header: Depth=1
	global_load_dwordx2 v[5:6], v[1:2], off offset:-4
	s_add_i32 s11, s11, -1
	v_add_co_u32_e32 v1, vcc, s18, v1
	v_addc_co_u32_e32 v2, vcc, v2, v4, vcc
	s_cmp_lg_u32 s11, 0
	s_waitcnt vmcnt(0)
	v_mul_f32_e32 v8, s14, v6
	v_mul_f32_e32 v7, s13, v6
	v_fma_f32 v6, s13, v5, -v8
	v_fmac_f32_e32 v7, s14, v5
	ds_write_b64 v3, v[6:7]
	v_add_u32_e32 v3, 0xc0, v3
	s_cbranch_scc1 .LBB162_12
.LBB162_13:
	s_or_b64 exec, exec, s[6:7]
	s_cmpk_eq_i32 s9, 0x6f
	s_cselect_b64 s[6:7], -1, 0
	s_cmpk_lg_i32 s8, 0x79
	s_cselect_b64 s[14:15], -1, 0
	s_cmpk_eq_i32 s8, 0x79
	s_cselect_b64 s[18:19], -1, 0
	s_and_b64 s[18:19], s[18:19], s[6:7]
	s_andn2_b64 vcc, exec, s[18:19]
	s_mov_b64 s[18:19], -1
	s_waitcnt lgkmcnt(0)
	; wave barrier
	s_cbranch_vccz .LBB162_114
; %bb.14:
	s_cmpk_lg_i32 s8, 0x7a
	s_cselect_b64 s[18:19], -1, 0
	s_xor_b64 s[6:7], s[6:7], -1
	s_add_i32 s11, s24, -1
	s_or_b64 s[18:19], s[18:19], s[6:7]
	v_mov_b32_e32 v1, 0x1200
	s_cmp_gt_i32 s12, 3
	s_mov_b64 s[8:9], -1
	v_lshl_or_b32 v15, v0, 3, v1
	s_cselect_b64 s[6:7], -1, 0
	s_and_b64 vcc, exec, s[18:19]
	s_cbranch_vccz .LBB162_81
; %bb.15:
	s_andn2_b64 vcc, exec, s[14:15]
	s_cbranch_vccnz .LBB162_48
; %bb.16:
	s_andn2_b64 vcc, exec, s[6:7]
	s_mov_b32 s15, 0
	s_cbranch_vccnz .LBB162_38
; %bb.17:
	v_mov_b32_e32 v1, 0x1200
	v_lshl_or_b32 v16, v0, 3, v1
	s_mov_b32 s13, 0
	s_mov_b32 s14, 0
.LBB162_18:                             ; =>This Loop Header: Depth=1
                                        ;     Child Loop BB162_19 Depth 2
	s_or_b32 s9, s14, 3
	s_mul_i32 s8, s14, 0xc0
	v_add_u32_e32 v18, s8, v15
	s_mulk_i32 s9, 0xc0
	ds_read2_b64 v[1:4], v18 offset1:24
	v_add_u32_e32 v17, s9, v15
	ds_read_b64 v[11:12], v18 offset:384
	ds_read_b64 v[9:10], v17
	s_cmp_eq_u32 s14, 0
	v_mov_b32_e32 v5, v16
	s_mov_b32 s9, s13
	s_mov_b32 s15, s14
	s_cbranch_scc1 .LBB162_20
.LBB162_19:                             ;   Parent Loop BB162_18 Depth=1
                                        ; =>  This Inner Loop Header: Depth=2
	v_mov_b32_e32 v8, s9
	ds_read_b64 v[6:7], v5
	ds_read_b128 v[19:22], v8
	ds_read_b128 v[23:26], v8 offset:16
	s_add_i32 s15, s15, -1
	s_addk_i32 s9, 0xc0
	v_add_u32_e32 v5, 0xc0, v5
	s_waitcnt lgkmcnt(1)
	v_mul_f32_e32 v8, v20, v7
	v_mul_f32_e32 v13, v19, v7
	;; [unrolled: 1-line block ×4, first 2 shown]
	s_waitcnt lgkmcnt(0)
	v_mul_f32_e32 v27, v24, v7
	v_mul_f32_e32 v24, v24, v6
	;; [unrolled: 1-line block ×4, first 2 shown]
	v_fma_f32 v8, v19, v6, -v8
	v_fmac_f32_e32 v13, v20, v6
	v_fma_f32 v14, v21, v6, -v14
	v_fmac_f32_e32 v22, v21, v7
	;; [unrolled: 2-line block ×4, first 2 shown]
	s_cmp_eq_u32 s15, 0
	v_sub_f32_e32 v1, v1, v8
	v_sub_f32_e32 v2, v2, v13
	;; [unrolled: 1-line block ×8, first 2 shown]
	s_cbranch_scc0 .LBB162_19
.LBB162_20:                             ;   in Loop: Header=BB162_18 Depth=1
	s_lshl_b32 s15, s14, 3
	s_add_i32 s18, s15, s8
	v_mov_b32_e32 v5, s18
	ds_read_b64 v[5:6], v5
	s_mov_b64 s[8:9], -1
                                        ; implicit-def: $vgpr14
	s_waitcnt lgkmcnt(0)
	v_cmp_ngt_f32_e64 s[22:23], |v5|, |v6|
	s_and_b64 vcc, exec, s[22:23]
	s_cbranch_vccz .LBB162_22
; %bb.21:                               ;   in Loop: Header=BB162_18 Depth=1
	v_div_scale_f32 v7, s[8:9], v6, v6, v5
	v_div_scale_f32 v8, vcc, v5, v6, v5
	v_rcp_f32_e32 v13, v7
	v_fma_f32 v14, -v7, v13, 1.0
	v_fmac_f32_e32 v13, v14, v13
	v_mul_f32_e32 v14, v8, v13
	v_fma_f32 v19, -v7, v14, v8
	v_fmac_f32_e32 v14, v19, v13
	v_fma_f32 v7, -v7, v14, v8
	v_div_fmas_f32 v7, v7, v13, v14
	v_div_fixup_f32 v7, v7, v6, v5
	v_fma_f32 v8, v5, v7, v6
	v_div_scale_f32 v13, s[8:9], v8, v8, 1.0
	v_div_scale_f32 v14, vcc, 1.0, v8, 1.0
	s_mov_b64 s[8:9], 0
	v_rcp_f32_e32 v19, v13
	v_fma_f32 v20, -v13, v19, 1.0
	v_fmac_f32_e32 v19, v20, v19
	v_mul_f32_e32 v20, v14, v19
	v_fma_f32 v21, -v13, v20, v14
	v_fmac_f32_e32 v20, v21, v19
	v_fma_f32 v13, -v13, v20, v14
	v_div_fmas_f32 v13, v13, v19, v20
	v_fma_f32 v14, v1, v7, v2
	v_fma_f32 v7, v2, v7, -v1
	v_div_fixup_f32 v8, v13, v8, 1.0
	v_mul_f32_e32 v13, v14, v8
	v_mul_f32_e32 v14, v7, v8
.LBB162_22:                             ;   in Loop: Header=BB162_18 Depth=1
	s_andn2_b64 vcc, exec, s[8:9]
	s_cbranch_vccnz .LBB162_24
; %bb.23:                               ;   in Loop: Header=BB162_18 Depth=1
	v_div_scale_f32 v7, s[8:9], v5, v5, v6
	v_div_scale_f32 v8, vcc, v6, v5, v6
	v_rcp_f32_e32 v13, v7
	v_fma_f32 v14, -v7, v13, 1.0
	v_fmac_f32_e32 v13, v14, v13
	v_mul_f32_e32 v14, v8, v13
	v_fma_f32 v19, -v7, v14, v8
	v_fmac_f32_e32 v14, v19, v13
	v_fma_f32 v7, -v7, v14, v8
	v_div_fmas_f32 v7, v7, v13, v14
	v_div_fixup_f32 v7, v7, v5, v6
	v_fmac_f32_e32 v5, v6, v7
	v_div_scale_f32 v6, s[8:9], v5, v5, 1.0
	v_div_scale_f32 v8, vcc, 1.0, v5, 1.0
	v_rcp_f32_e32 v13, v6
	v_fma_f32 v14, -v6, v13, 1.0
	v_fmac_f32_e32 v13, v14, v13
	v_mul_f32_e32 v14, v8, v13
	v_fma_f32 v19, -v6, v14, v8
	v_fmac_f32_e32 v14, v19, v13
	v_fma_f32 v6, -v6, v14, v8
	v_div_fmas_f32 v6, v6, v13, v14
	v_fma_f32 v8, v2, v7, v1
	v_fma_f32 v1, -v1, v7, v2
	v_div_fixup_f32 v2, v6, v5, 1.0
	v_mul_f32_e32 v13, v8, v2
	v_mul_f32_e32 v14, v1, v2
.LBB162_24:                             ;   in Loop: Header=BB162_18 Depth=1
	v_mov_b32_e32 v1, s18
	ds_read2_b64 v[5:8], v1 offset0:1 offset1:25
	s_mov_b64 s[8:9], -1
	ds_write_b64 v18, v[13:14]
	s_waitcnt lgkmcnt(1)
	v_mul_f32_e32 v1, v14, v6
	v_mul_f32_e32 v2, v13, v6
	v_fma_f32 v1, v13, v5, -v1
	v_fmac_f32_e32 v2, v14, v5
	v_cmp_ngt_f32_e64 s[22:23], |v7|, |v8|
	v_sub_f32_e32 v1, v3, v1
	v_sub_f32_e32 v2, v4, v2
	s_and_b64 vcc, exec, s[22:23]
                                        ; implicit-def: $vgpr6
	s_cbranch_vccz .LBB162_26
; %bb.25:                               ;   in Loop: Header=BB162_18 Depth=1
	v_div_scale_f32 v3, s[8:9], v8, v8, v7
	v_div_scale_f32 v4, vcc, v7, v8, v7
	v_rcp_f32_e32 v5, v3
	v_fma_f32 v6, -v3, v5, 1.0
	v_fmac_f32_e32 v5, v6, v5
	v_mul_f32_e32 v6, v4, v5
	v_fma_f32 v19, -v3, v6, v4
	v_fmac_f32_e32 v6, v19, v5
	v_fma_f32 v3, -v3, v6, v4
	v_div_fmas_f32 v3, v3, v5, v6
	v_div_fixup_f32 v3, v3, v8, v7
	v_fma_f32 v4, v7, v3, v8
	v_div_scale_f32 v5, s[8:9], v4, v4, 1.0
	v_div_scale_f32 v6, vcc, 1.0, v4, 1.0
	s_mov_b64 s[8:9], 0
	v_rcp_f32_e32 v19, v5
	v_fma_f32 v20, -v5, v19, 1.0
	v_fmac_f32_e32 v19, v20, v19
	v_mul_f32_e32 v20, v6, v19
	v_fma_f32 v21, -v5, v20, v6
	v_fmac_f32_e32 v20, v21, v19
	v_fma_f32 v5, -v5, v20, v6
	v_div_fmas_f32 v5, v5, v19, v20
	v_fma_f32 v6, v3, v1, v2
	v_fma_f32 v3, v3, v2, -v1
	v_div_fixup_f32 v4, v5, v4, 1.0
	v_mul_f32_e32 v5, v6, v4
	v_mul_f32_e32 v6, v3, v4
.LBB162_26:                             ;   in Loop: Header=BB162_18 Depth=1
	s_andn2_b64 vcc, exec, s[8:9]
	s_cbranch_vccnz .LBB162_28
; %bb.27:                               ;   in Loop: Header=BB162_18 Depth=1
	v_div_scale_f32 v3, s[8:9], v7, v7, v8
	v_div_scale_f32 v4, vcc, v8, v7, v8
	v_rcp_f32_e32 v5, v3
	v_fma_f32 v6, -v3, v5, 1.0
	v_fmac_f32_e32 v5, v6, v5
	v_mul_f32_e32 v6, v4, v5
	v_fma_f32 v19, -v3, v6, v4
	v_fmac_f32_e32 v6, v19, v5
	v_fma_f32 v3, -v3, v6, v4
	v_div_fmas_f32 v3, v3, v5, v6
	v_div_fixup_f32 v3, v3, v7, v8
	v_fmac_f32_e32 v7, v8, v3
	v_div_scale_f32 v4, s[8:9], v7, v7, 1.0
	v_div_scale_f32 v5, vcc, 1.0, v7, 1.0
	v_rcp_f32_e32 v6, v4
	v_fma_f32 v8, -v4, v6, 1.0
	v_fmac_f32_e32 v6, v8, v6
	v_mul_f32_e32 v8, v5, v6
	v_fma_f32 v19, -v4, v8, v5
	v_fmac_f32_e32 v8, v19, v6
	v_fma_f32 v4, -v4, v8, v5
	v_div_fmas_f32 v4, v4, v6, v8
	v_fma_f32 v5, v3, v2, v1
	v_fma_f32 v1, -v3, v1, v2
	v_div_fixup_f32 v2, v4, v7, 1.0
	v_mul_f32_e32 v5, v5, v2
	v_mul_f32_e32 v6, v1, v2
.LBB162_28:                             ;   in Loop: Header=BB162_18 Depth=1
	v_mov_b32_e32 v1, s18
	ds_read2_b64 v[1:4], v1 offset0:2 offset1:50
	s_add_i32 s19, s18, 0xc8
	s_or_b32 s8, s15, 8
	s_sub_i32 s22, s19, s8
	s_add_i32 s22, s22, s15
	s_waitcnt lgkmcnt(0)
	v_mul_f32_e32 v7, v14, v2
	v_fma_f32 v19, v13, v1, -v7
	v_mov_b32_e32 v7, s22
	ds_read_b64 v[7:8], v7 offset:16
	v_mul_f32_e32 v2, v13, v2
	v_fmac_f32_e32 v2, v14, v1
	v_sub_f32_e32 v1, v11, v19
	v_sub_f32_e32 v2, v12, v2
	s_waitcnt lgkmcnt(0)
	v_mul_f32_e32 v11, v6, v8
	v_mul_f32_e32 v8, v5, v8
	v_fma_f32 v11, v5, v7, -v11
	v_fmac_f32_e32 v8, v6, v7
	v_cmp_ngt_f32_e64 s[26:27], |v3|, |v4|
	v_sub_f32_e32 v1, v1, v11
	v_sub_f32_e32 v2, v2, v8
	s_mov_b64 s[8:9], -1
	s_and_b64 vcc, exec, s[26:27]
	ds_write_b64 v18, v[5:6] offset:192
                                        ; implicit-def: $vgpr8
	s_cbranch_vccz .LBB162_30
; %bb.29:                               ;   in Loop: Header=BB162_18 Depth=1
	v_div_scale_f32 v7, s[8:9], v4, v4, v3
	v_div_scale_f32 v8, vcc, v3, v4, v3
	v_rcp_f32_e32 v11, v7
	v_fma_f32 v12, -v7, v11, 1.0
	v_fmac_f32_e32 v11, v12, v11
	v_mul_f32_e32 v12, v8, v11
	v_fma_f32 v19, -v7, v12, v8
	v_fmac_f32_e32 v12, v19, v11
	v_fma_f32 v7, -v7, v12, v8
	v_div_fmas_f32 v7, v7, v11, v12
	v_div_fixup_f32 v7, v7, v4, v3
	v_fma_f32 v8, v3, v7, v4
	v_div_scale_f32 v11, s[8:9], v8, v8, 1.0
	v_div_scale_f32 v12, vcc, 1.0, v8, 1.0
	s_mov_b64 s[8:9], 0
	v_rcp_f32_e32 v19, v11
	v_fma_f32 v20, -v11, v19, 1.0
	v_fmac_f32_e32 v19, v20, v19
	v_mul_f32_e32 v20, v12, v19
	v_fma_f32 v21, -v11, v20, v12
	v_fmac_f32_e32 v20, v21, v19
	v_fma_f32 v11, -v11, v20, v12
	v_div_fmas_f32 v11, v11, v19, v20
	v_fma_f32 v12, v7, v1, v2
	v_fma_f32 v19, v7, v2, -v1
	v_div_fixup_f32 v8, v11, v8, 1.0
	v_mul_f32_e32 v7, v12, v8
	v_mul_f32_e32 v8, v19, v8
.LBB162_30:                             ;   in Loop: Header=BB162_18 Depth=1
	s_andn2_b64 vcc, exec, s[8:9]
	s_cbranch_vccnz .LBB162_32
; %bb.31:                               ;   in Loop: Header=BB162_18 Depth=1
	v_div_scale_f32 v7, s[8:9], v3, v3, v4
	v_div_scale_f32 v8, vcc, v4, v3, v4
	v_rcp_f32_e32 v11, v7
	v_fma_f32 v12, -v7, v11, 1.0
	v_fmac_f32_e32 v11, v12, v11
	v_mul_f32_e32 v12, v8, v11
	v_fma_f32 v19, -v7, v12, v8
	v_fmac_f32_e32 v12, v19, v11
	v_fma_f32 v7, -v7, v12, v8
	v_div_fmas_f32 v7, v7, v11, v12
	v_div_fixup_f32 v7, v7, v3, v4
	v_fmac_f32_e32 v3, v4, v7
	v_div_scale_f32 v4, s[8:9], v3, v3, 1.0
	v_div_scale_f32 v8, vcc, 1.0, v3, 1.0
	v_rcp_f32_e32 v11, v4
	v_fma_f32 v12, -v4, v11, 1.0
	v_fmac_f32_e32 v11, v12, v11
	v_mul_f32_e32 v12, v8, v11
	v_fma_f32 v19, -v4, v12, v8
	v_fmac_f32_e32 v12, v19, v11
	v_fma_f32 v4, -v4, v12, v8
	v_div_fmas_f32 v4, v4, v11, v12
	v_fma_f32 v8, v7, v2, v1
	v_fma_f32 v1, -v7, v1, v2
	v_div_fixup_f32 v2, v4, v3, 1.0
	v_mul_f32_e32 v7, v8, v2
	v_mul_f32_e32 v8, v1, v2
.LBB162_32:                             ;   in Loop: Header=BB162_18 Depth=1
	v_mov_b32_e32 v1, s18
	ds_read2_b64 v[1:4], v1 offset0:3 offset1:75
	s_or_b32 s8, s15, 16
	s_sub_i32 s8, s19, s8
	s_add_i32 s8, s8, s15
	ds_write_b64 v18, v[7:8] offset:384
	s_waitcnt lgkmcnt(1)
	v_mul_f32_e32 v11, v14, v2
	v_mul_f32_e32 v12, v13, v2
	v_fma_f32 v2, v13, v1, -v11
	v_fmac_f32_e32 v12, v14, v1
	v_mov_b32_e32 v1, s22
	v_sub_f32_e32 v11, v9, v2
	ds_read_b64 v[1:2], v1 offset:24
	v_mov_b32_e32 v9, s8
	v_sub_f32_e32 v12, v10, v12
	ds_read_b64 v[9:10], v9 offset:224
	v_cmp_ngt_f32_e64 s[18:19], |v3|, |v4|
	s_waitcnt lgkmcnt(1)
	v_mul_f32_e32 v13, v6, v2
	v_mul_f32_e32 v2, v5, v2
	v_fma_f32 v13, v5, v1, -v13
	v_fmac_f32_e32 v2, v6, v1
	s_waitcnt lgkmcnt(0)
	v_mul_f32_e32 v5, v8, v10
	v_mul_f32_e32 v6, v7, v10
	v_sub_f32_e32 v1, v11, v13
	v_sub_f32_e32 v2, v12, v2
	v_fma_f32 v5, v7, v9, -v5
	v_fmac_f32_e32 v6, v8, v9
	v_sub_f32_e32 v5, v1, v5
	v_sub_f32_e32 v6, v2, v6
	s_mov_b64 s[8:9], -1
	s_and_b64 vcc, exec, s[18:19]
                                        ; implicit-def: $vgpr2
	s_cbranch_vccz .LBB162_34
; %bb.33:                               ;   in Loop: Header=BB162_18 Depth=1
	v_div_scale_f32 v1, s[8:9], v4, v4, v3
	v_div_scale_f32 v2, vcc, v3, v4, v3
	v_rcp_f32_e32 v7, v1
	v_fma_f32 v8, -v1, v7, 1.0
	v_fmac_f32_e32 v7, v8, v7
	v_mul_f32_e32 v8, v2, v7
	v_fma_f32 v9, -v1, v8, v2
	v_fmac_f32_e32 v8, v9, v7
	v_fma_f32 v1, -v1, v8, v2
	v_div_fmas_f32 v1, v1, v7, v8
	v_div_fixup_f32 v1, v1, v4, v3
	v_fma_f32 v2, v3, v1, v4
	v_div_scale_f32 v7, s[8:9], v2, v2, 1.0
	v_div_scale_f32 v8, vcc, 1.0, v2, 1.0
	s_mov_b64 s[8:9], 0
	v_rcp_f32_e32 v9, v7
	v_fma_f32 v10, -v7, v9, 1.0
	v_fmac_f32_e32 v9, v10, v9
	v_mul_f32_e32 v10, v8, v9
	v_fma_f32 v11, -v7, v10, v8
	v_fmac_f32_e32 v10, v11, v9
	v_fma_f32 v7, -v7, v10, v8
	v_div_fmas_f32 v7, v7, v9, v10
	v_fma_f32 v8, v1, v5, v6
	v_fma_f32 v9, v1, v6, -v5
	v_div_fixup_f32 v2, v7, v2, 1.0
	v_mul_f32_e32 v1, v8, v2
	v_mul_f32_e32 v2, v9, v2
.LBB162_34:                             ;   in Loop: Header=BB162_18 Depth=1
	s_andn2_b64 vcc, exec, s[8:9]
	s_cbranch_vccnz .LBB162_36
; %bb.35:                               ;   in Loop: Header=BB162_18 Depth=1
	v_div_scale_f32 v1, s[8:9], v3, v3, v4
	v_div_scale_f32 v2, vcc, v4, v3, v4
	v_rcp_f32_e32 v7, v1
	v_fma_f32 v8, -v1, v7, 1.0
	v_fmac_f32_e32 v7, v8, v7
	v_mul_f32_e32 v8, v2, v7
	v_fma_f32 v9, -v1, v8, v2
	v_fmac_f32_e32 v8, v9, v7
	v_fma_f32 v1, -v1, v8, v2
	v_div_fmas_f32 v1, v1, v7, v8
	v_div_fixup_f32 v1, v1, v3, v4
	v_fmac_f32_e32 v3, v4, v1
	v_div_scale_f32 v2, s[8:9], v3, v3, 1.0
	v_div_scale_f32 v4, vcc, 1.0, v3, 1.0
	v_rcp_f32_e32 v7, v2
	v_fma_f32 v8, -v2, v7, 1.0
	v_fmac_f32_e32 v7, v8, v7
	v_mul_f32_e32 v8, v4, v7
	v_fma_f32 v9, -v2, v8, v4
	v_fmac_f32_e32 v8, v9, v7
	v_fma_f32 v2, -v2, v8, v4
	v_div_fmas_f32 v2, v2, v7, v8
	v_fma_f32 v4, v1, v6, v5
	v_fma_f32 v5, -v1, v5, v6
	v_div_fixup_f32 v2, v2, v3, 1.0
	v_mul_f32_e32 v1, v4, v2
	v_mul_f32_e32 v2, v5, v2
.LBB162_36:                             ;   in Loop: Header=BB162_18 Depth=1
	s_add_i32 s15, s14, 4
	s_add_i32 s8, s14, 7
	;; [unrolled: 1-line block ×3, first 2 shown]
	s_cmp_ge_i32 s8, s24
	ds_write_b64 v17, v[1:2]
	s_cbranch_scc1 .LBB162_38
; %bb.37:                               ;   in Loop: Header=BB162_18 Depth=1
	s_mov_b32 s14, s15
	s_branch .LBB162_18
.LBB162_38:
	s_cmp_ge_i32 s15, s24
	s_cbranch_scc1 .LBB162_47
; %bb.39:
	v_mov_b32_e32 v1, 0x1200
	s_lshl_b32 s13, s15, 3
	v_lshl_or_b32 v7, v0, 3, v1
	s_branch .LBB162_41
.LBB162_40:                             ;   in Loop: Header=BB162_41 Depth=1
	s_add_i32 s15, s15, 1
	s_add_i32 s13, s13, 8
	s_cmp_ge_i32 s15, s24
	ds_write_b64 v8, v[5:6]
	s_cbranch_scc1 .LBB162_47
.LBB162_41:                             ; =>This Loop Header: Depth=1
                                        ;     Child Loop BB162_42 Depth 2
	s_mul_i32 s8, s15, 0xc0
	v_add_u32_e32 v8, s8, v15
	ds_read_b64 v[1:2], v8
	s_cmp_eq_u32 s15, 0
	v_mov_b32_e32 v3, v7
	s_mov_b32 s9, s13
	s_mov_b32 s14, s15
	s_cbranch_scc1 .LBB162_43
.LBB162_42:                             ;   Parent Loop BB162_41 Depth=1
                                        ; =>  This Inner Loop Header: Depth=2
	v_mov_b32_e32 v6, s9
	ds_read_b64 v[4:5], v3
	ds_read_b64 v[9:10], v6
	s_add_i32 s14, s14, -1
	s_addk_i32 s9, 0xc0
	v_add_u32_e32 v3, 0xc0, v3
	s_cmp_eq_u32 s14, 0
	s_waitcnt lgkmcnt(0)
	v_mul_f32_e32 v6, v10, v5
	v_mul_f32_e32 v5, v9, v5
	v_fma_f32 v6, v9, v4, -v6
	v_fmac_f32_e32 v5, v10, v4
	v_sub_f32_e32 v1, v1, v6
	v_sub_f32_e32 v2, v2, v5
	s_cbranch_scc0 .LBB162_42
.LBB162_43:                             ;   in Loop: Header=BB162_41 Depth=1
	s_lshl_b32 s9, s15, 3
	s_add_i32 s8, s9, s8
	v_mov_b32_e32 v3, s8
	ds_read_b64 v[3:4], v3
	s_mov_b64 s[8:9], -1
                                        ; implicit-def: $vgpr5
	s_waitcnt lgkmcnt(0)
	v_cmp_ngt_f32_e64 s[18:19], |v3|, |v4|
	s_and_b64 vcc, exec, s[18:19]
	s_cbranch_vccz .LBB162_45
; %bb.44:                               ;   in Loop: Header=BB162_41 Depth=1
	v_div_scale_f32 v5, s[8:9], v4, v4, v3
	v_div_scale_f32 v6, vcc, v3, v4, v3
	v_rcp_f32_e32 v9, v5
	v_fma_f32 v10, -v5, v9, 1.0
	v_fmac_f32_e32 v9, v10, v9
	v_mul_f32_e32 v10, v6, v9
	v_fma_f32 v11, -v5, v10, v6
	v_fmac_f32_e32 v10, v11, v9
	v_fma_f32 v5, -v5, v10, v6
	v_div_fmas_f32 v5, v5, v9, v10
	v_div_fixup_f32 v5, v5, v4, v3
	v_fma_f32 v6, v3, v5, v4
	v_div_scale_f32 v9, s[8:9], v6, v6, 1.0
	v_div_scale_f32 v10, vcc, 1.0, v6, 1.0
	s_mov_b64 s[8:9], 0
	v_rcp_f32_e32 v11, v9
	v_fma_f32 v12, -v9, v11, 1.0
	v_fmac_f32_e32 v11, v12, v11
	v_mul_f32_e32 v12, v10, v11
	v_fma_f32 v13, -v9, v12, v10
	v_fmac_f32_e32 v12, v13, v11
	v_fma_f32 v9, -v9, v12, v10
	v_div_fmas_f32 v9, v9, v11, v12
	v_fma_f32 v10, v1, v5, v2
	v_fma_f32 v11, v2, v5, -v1
	v_div_fixup_f32 v6, v9, v6, 1.0
	v_mul_f32_e32 v5, v10, v6
	v_mul_f32_e32 v6, v11, v6
.LBB162_45:                             ;   in Loop: Header=BB162_41 Depth=1
	s_andn2_b64 vcc, exec, s[8:9]
	s_cbranch_vccnz .LBB162_40
; %bb.46:                               ;   in Loop: Header=BB162_41 Depth=1
	v_div_scale_f32 v5, s[8:9], v3, v3, v4
	v_div_scale_f32 v6, vcc, v4, v3, v4
	v_rcp_f32_e32 v9, v5
	v_fma_f32 v10, -v5, v9, 1.0
	v_fmac_f32_e32 v9, v10, v9
	v_mul_f32_e32 v10, v6, v9
	v_fma_f32 v11, -v5, v10, v6
	v_fmac_f32_e32 v10, v11, v9
	v_fma_f32 v5, -v5, v10, v6
	v_div_fmas_f32 v5, v5, v9, v10
	v_div_fixup_f32 v5, v5, v3, v4
	v_fmac_f32_e32 v3, v4, v5
	v_div_scale_f32 v4, s[8:9], v3, v3, 1.0
	v_div_scale_f32 v6, vcc, 1.0, v3, 1.0
	v_rcp_f32_e32 v9, v4
	v_fma_f32 v10, -v4, v9, 1.0
	v_fmac_f32_e32 v9, v10, v9
	v_mul_f32_e32 v10, v6, v9
	v_fma_f32 v11, -v4, v10, v6
	v_fmac_f32_e32 v10, v11, v9
	v_fma_f32 v4, -v4, v10, v6
	v_div_fmas_f32 v4, v4, v9, v10
	v_fma_f32 v6, v2, v5, v1
	v_fma_f32 v1, -v1, v5, v2
	v_div_fixup_f32 v2, v4, v3, 1.0
	v_mul_f32_e32 v5, v6, v2
	v_mul_f32_e32 v6, v1, v2
	s_branch .LBB162_40
.LBB162_47:
	s_mov_b64 s[8:9], 0
.LBB162_48:
	s_and_b64 vcc, exec, s[8:9]
	s_cbranch_vccz .LBB162_80
; %bb.49:
	s_andn2_b64 vcc, exec, s[6:7]
	s_mov_b32 s15, s11
	s_cbranch_vccnz .LBB162_71
; %bb.50:
	s_mul_i32 s8, s24, 0xc8
	s_add_i32 s13, s8, 0xffffff20
	s_mul_i32 s8, s24, 0xc0
	v_lshl_add_u32 v1, v0, 3, s8
	v_add_u32_e32 v13, 0x1140, v1
	s_mov_b32 s14, s11
.LBB162_51:                             ; =>This Loop Header: Depth=1
                                        ;     Child Loop BB162_52 Depth 2
	s_mul_i32 s8, s14, 0xc0
	v_add_u32_e32 v18, s8, v15
	s_add_i32 s9, s8, 0xfffffdc0
	v_add_u32_e32 v17, 0xffffff40, v18
	v_add_u32_e32 v16, 0xfffffe80, v18
	;; [unrolled: 1-line block ×3, first 2 shown]
	ds_read_b64 v[9:10], v18
	ds_read_b64 v[7:8], v17
	ds_read_b64 v[3:4], v16
	ds_read_b64 v[1:2], v14
	s_cmp_le_i32 s11, s14
	v_mov_b32_e32 v5, v13
	s_mov_b32 s9, s13
	s_mov_b32 s15, s11
	s_cbranch_scc1 .LBB162_53
.LBB162_52:                             ;   Parent Loop BB162_51 Depth=1
                                        ; =>  This Inner Loop Header: Depth=2
	v_mov_b32_e32 v6, s9
	ds_read_b64 v[11:12], v5
	ds_read2_b64 v[19:22], v6 offset0:2 offset1:3
	ds_read2_b64 v[23:26], v6 offset1:1
	s_add_i32 s15, s15, -1
	s_addk_i32 s9, 0xff40
	v_add_u32_e32 v5, 0xffffff40, v5
	s_waitcnt lgkmcnt(1)
	v_mul_f32_e32 v6, v22, v12
	v_mul_f32_e32 v27, v21, v12
	;; [unrolled: 1-line block ×4, first 2 shown]
	s_waitcnt lgkmcnt(0)
	v_mul_f32_e32 v29, v26, v12
	v_mul_f32_e32 v26, v26, v11
	;; [unrolled: 1-line block ×4, first 2 shown]
	v_fma_f32 v6, v21, v11, -v6
	v_fmac_f32_e32 v27, v22, v11
	v_fma_f32 v21, v19, v11, -v28
	v_fmac_f32_e32 v20, v19, v12
	;; [unrolled: 2-line block ×4, first 2 shown]
	s_cmp_le_i32 s15, s14
	v_sub_f32_e32 v9, v9, v6
	v_sub_f32_e32 v10, v10, v27
	;; [unrolled: 1-line block ×8, first 2 shown]
	s_cbranch_scc0 .LBB162_52
.LBB162_53:                             ;   in Loop: Header=BB162_51 Depth=1
	s_lshl_b32 s18, s14, 3
	s_add_i32 s18, s18, s8
	v_mov_b32_e32 v5, s18
	ds_read_b64 v[11:12], v5
	s_add_i32 s15, s14, -3
	s_mov_b64 s[8:9], -1
                                        ; implicit-def: $vgpr6
	s_waitcnt lgkmcnt(0)
	v_cmp_ngt_f32_e64 s[22:23], |v11|, |v12|
	s_and_b64 vcc, exec, s[22:23]
	s_cbranch_vccz .LBB162_55
; %bb.54:                               ;   in Loop: Header=BB162_51 Depth=1
	v_div_scale_f32 v5, s[8:9], v12, v12, v11
	v_div_scale_f32 v6, vcc, v11, v12, v11
	v_rcp_f32_e32 v19, v5
	v_fma_f32 v20, -v5, v19, 1.0
	v_fmac_f32_e32 v19, v20, v19
	v_mul_f32_e32 v20, v6, v19
	v_fma_f32 v21, -v5, v20, v6
	v_fmac_f32_e32 v20, v21, v19
	v_fma_f32 v5, -v5, v20, v6
	v_div_fmas_f32 v5, v5, v19, v20
	v_div_fixup_f32 v5, v5, v12, v11
	v_fma_f32 v6, v11, v5, v12
	v_div_scale_f32 v19, s[8:9], v6, v6, 1.0
	v_div_scale_f32 v20, vcc, 1.0, v6, 1.0
	s_mov_b64 s[8:9], 0
	v_rcp_f32_e32 v21, v19
	v_fma_f32 v22, -v19, v21, 1.0
	v_fmac_f32_e32 v21, v22, v21
	v_mul_f32_e32 v22, v20, v21
	v_fma_f32 v23, -v19, v22, v20
	v_fmac_f32_e32 v22, v23, v21
	v_fma_f32 v19, -v19, v22, v20
	v_div_fmas_f32 v19, v19, v21, v22
	v_fma_f32 v20, v9, v5, v10
	v_fma_f32 v21, v10, v5, -v9
	v_div_fixup_f32 v6, v19, v6, 1.0
	v_mul_f32_e32 v5, v20, v6
	v_mul_f32_e32 v6, v21, v6
.LBB162_55:                             ;   in Loop: Header=BB162_51 Depth=1
	s_andn2_b64 vcc, exec, s[8:9]
	s_cbranch_vccnz .LBB162_57
; %bb.56:                               ;   in Loop: Header=BB162_51 Depth=1
	v_div_scale_f32 v5, s[8:9], v11, v11, v12
	v_div_scale_f32 v6, vcc, v12, v11, v12
	v_rcp_f32_e32 v19, v5
	v_fma_f32 v20, -v5, v19, 1.0
	v_fmac_f32_e32 v19, v20, v19
	v_mul_f32_e32 v20, v6, v19
	v_fma_f32 v21, -v5, v20, v6
	v_fmac_f32_e32 v20, v21, v19
	v_fma_f32 v5, -v5, v20, v6
	v_div_fmas_f32 v5, v5, v19, v20
	v_div_fixup_f32 v5, v5, v11, v12
	v_fmac_f32_e32 v11, v12, v5
	v_div_scale_f32 v6, s[8:9], v11, v11, 1.0
	v_div_scale_f32 v12, vcc, 1.0, v11, 1.0
	v_rcp_f32_e32 v19, v6
	v_fma_f32 v20, -v6, v19, 1.0
	v_fmac_f32_e32 v19, v20, v19
	v_mul_f32_e32 v20, v12, v19
	v_fma_f32 v21, -v6, v20, v12
	v_fmac_f32_e32 v20, v21, v19
	v_fma_f32 v6, -v6, v20, v12
	v_div_fmas_f32 v6, v6, v19, v20
	v_fma_f32 v12, v10, v5, v9
	v_fma_f32 v9, -v9, v5, v10
	v_div_fixup_f32 v6, v6, v11, 1.0
	v_mul_f32_e32 v5, v12, v6
	v_mul_f32_e32 v6, v9, v6
.LBB162_57:                             ;   in Loop: Header=BB162_51 Depth=1
	s_add_i32 s8, s18, -8
	v_mov_b32_e32 v9, s8
	s_add_i32 s19, s18, 0xffffff38
	ds_read_b64 v[11:12], v9
	v_mov_b32_e32 v9, s19
	ds_read_b64 v[9:10], v9
	ds_write_b64 v18, v[5:6]
	s_mov_b64 s[8:9], -1
	s_waitcnt lgkmcnt(2)
	v_mul_f32_e32 v18, v6, v12
	v_mul_f32_e32 v12, v5, v12
	v_fma_f32 v18, v5, v11, -v18
	v_fmac_f32_e32 v12, v6, v11
	s_waitcnt lgkmcnt(1)
	v_cmp_ngt_f32_e64 s[22:23], |v9|, |v10|
	v_sub_f32_e32 v11, v7, v18
	v_sub_f32_e32 v12, v8, v12
	s_and_b64 vcc, exec, s[22:23]
                                        ; implicit-def: $vgpr8
	s_cbranch_vccz .LBB162_59
; %bb.58:                               ;   in Loop: Header=BB162_51 Depth=1
	v_div_scale_f32 v7, s[8:9], v10, v10, v9
	v_div_scale_f32 v8, vcc, v9, v10, v9
	v_rcp_f32_e32 v18, v7
	v_fma_f32 v19, -v7, v18, 1.0
	v_fmac_f32_e32 v18, v19, v18
	v_mul_f32_e32 v19, v8, v18
	v_fma_f32 v20, -v7, v19, v8
	v_fmac_f32_e32 v19, v20, v18
	v_fma_f32 v7, -v7, v19, v8
	v_div_fmas_f32 v7, v7, v18, v19
	v_div_fixup_f32 v7, v7, v10, v9
	v_fma_f32 v8, v9, v7, v10
	v_div_scale_f32 v18, s[8:9], v8, v8, 1.0
	v_div_scale_f32 v19, vcc, 1.0, v8, 1.0
	s_mov_b64 s[8:9], 0
	v_rcp_f32_e32 v20, v18
	v_fma_f32 v21, -v18, v20, 1.0
	v_fmac_f32_e32 v20, v21, v20
	v_mul_f32_e32 v21, v19, v20
	v_fma_f32 v22, -v18, v21, v19
	v_fmac_f32_e32 v21, v22, v20
	v_fma_f32 v18, -v18, v21, v19
	v_div_fmas_f32 v18, v18, v20, v21
	v_fma_f32 v19, v7, v11, v12
	v_fma_f32 v20, v7, v12, -v11
	v_div_fixup_f32 v8, v18, v8, 1.0
	v_mul_f32_e32 v7, v19, v8
	v_mul_f32_e32 v8, v20, v8
.LBB162_59:                             ;   in Loop: Header=BB162_51 Depth=1
	s_andn2_b64 vcc, exec, s[8:9]
	s_cbranch_vccnz .LBB162_61
; %bb.60:                               ;   in Loop: Header=BB162_51 Depth=1
	v_div_scale_f32 v7, s[8:9], v9, v9, v10
	v_div_scale_f32 v8, vcc, v10, v9, v10
	v_rcp_f32_e32 v18, v7
	v_fma_f32 v19, -v7, v18, 1.0
	v_fmac_f32_e32 v18, v19, v18
	v_mul_f32_e32 v19, v8, v18
	v_fma_f32 v20, -v7, v19, v8
	v_fmac_f32_e32 v19, v20, v18
	v_fma_f32 v7, -v7, v19, v8
	v_div_fmas_f32 v7, v7, v18, v19
	v_div_fixup_f32 v7, v7, v9, v10
	v_fmac_f32_e32 v9, v10, v7
	v_div_scale_f32 v8, s[8:9], v9, v9, 1.0
	v_div_scale_f32 v10, vcc, 1.0, v9, 1.0
	v_rcp_f32_e32 v18, v8
	v_fma_f32 v19, -v8, v18, 1.0
	v_fmac_f32_e32 v18, v19, v18
	v_mul_f32_e32 v19, v10, v18
	v_fma_f32 v20, -v8, v19, v10
	v_fmac_f32_e32 v19, v20, v18
	v_fma_f32 v8, -v8, v19, v10
	v_div_fmas_f32 v8, v8, v18, v19
	v_fma_f32 v10, v7, v12, v11
	v_fma_f32 v11, -v7, v11, v12
	v_div_fixup_f32 v8, v8, v9, 1.0
	v_mul_f32_e32 v7, v10, v8
	v_mul_f32_e32 v8, v11, v8
.LBB162_61:                             ;   in Loop: Header=BB162_51 Depth=1
	s_add_i32 s8, s14, -1
	s_add_i32 s22, s18, -16
	;; [unrolled: 1-line block ×3, first 2 shown]
	v_mov_b32_e32 v9, s22
	s_lshl_b32 s8, s8, 3
	ds_read_b64 v[11:12], v9
	s_sub_i32 s23, s19, s8
	s_lshl_b32 s22, s9, 3
	s_add_i32 s8, s23, s22
	s_add_i32 s19, s18, 0xfffffe70
	ds_write_b64 v17, v[7:8]
	v_mov_b32_e32 v9, s8
	v_mov_b32_e32 v10, s19
	ds_read_b64 v[17:18], v9
	ds_read_b64 v[9:10], v10
	s_waitcnt lgkmcnt(3)
	v_mul_f32_e32 v19, v6, v12
	v_mul_f32_e32 v12, v5, v12
	v_fmac_f32_e32 v12, v6, v11
	v_fma_f32 v19, v5, v11, -v19
	v_sub_f32_e32 v4, v4, v12
	s_waitcnt lgkmcnt(1)
	v_mul_f32_e32 v11, v8, v18
	v_mul_f32_e32 v12, v7, v18
	v_sub_f32_e32 v3, v3, v19
	v_fma_f32 v11, v7, v17, -v11
	v_fmac_f32_e32 v12, v8, v17
	s_waitcnt lgkmcnt(0)
	v_cmp_ngt_f32_e64 s[26:27], |v9|, |v10|
	v_sub_f32_e32 v3, v3, v11
	v_sub_f32_e32 v4, v4, v12
	s_mov_b64 s[8:9], -1
	s_and_b64 vcc, exec, s[26:27]
                                        ; implicit-def: $vgpr12
	s_cbranch_vccz .LBB162_63
; %bb.62:                               ;   in Loop: Header=BB162_51 Depth=1
	v_div_scale_f32 v11, s[8:9], v10, v10, v9
	v_div_scale_f32 v12, vcc, v9, v10, v9
	v_rcp_f32_e32 v17, v11
	v_fma_f32 v18, -v11, v17, 1.0
	v_fmac_f32_e32 v17, v18, v17
	v_mul_f32_e32 v18, v12, v17
	v_fma_f32 v19, -v11, v18, v12
	v_fmac_f32_e32 v18, v19, v17
	v_fma_f32 v11, -v11, v18, v12
	v_div_fmas_f32 v11, v11, v17, v18
	v_div_fixup_f32 v11, v11, v10, v9
	v_fma_f32 v12, v9, v11, v10
	v_div_scale_f32 v17, s[8:9], v12, v12, 1.0
	v_div_scale_f32 v18, vcc, 1.0, v12, 1.0
	s_mov_b64 s[8:9], 0
	v_rcp_f32_e32 v19, v17
	v_fma_f32 v20, -v17, v19, 1.0
	v_fmac_f32_e32 v19, v20, v19
	v_mul_f32_e32 v20, v18, v19
	v_fma_f32 v21, -v17, v20, v18
	v_fmac_f32_e32 v20, v21, v19
	v_fma_f32 v17, -v17, v20, v18
	v_div_fmas_f32 v17, v17, v19, v20
	v_fma_f32 v18, v11, v3, v4
	v_fma_f32 v19, v11, v4, -v3
	v_div_fixup_f32 v12, v17, v12, 1.0
	v_mul_f32_e32 v11, v18, v12
	v_mul_f32_e32 v12, v19, v12
.LBB162_63:                             ;   in Loop: Header=BB162_51 Depth=1
	s_andn2_b64 vcc, exec, s[8:9]
	s_cbranch_vccnz .LBB162_65
; %bb.64:                               ;   in Loop: Header=BB162_51 Depth=1
	v_div_scale_f32 v11, s[8:9], v9, v9, v10
	v_div_scale_f32 v12, vcc, v10, v9, v10
	v_rcp_f32_e32 v17, v11
	v_fma_f32 v18, -v11, v17, 1.0
	v_fmac_f32_e32 v17, v18, v17
	v_mul_f32_e32 v18, v12, v17
	v_fma_f32 v19, -v11, v18, v12
	v_fmac_f32_e32 v18, v19, v17
	v_fma_f32 v11, -v11, v18, v12
	v_div_fmas_f32 v11, v11, v17, v18
	v_div_fixup_f32 v11, v11, v9, v10
	v_fmac_f32_e32 v9, v10, v11
	v_div_scale_f32 v10, s[8:9], v9, v9, 1.0
	v_div_scale_f32 v12, vcc, 1.0, v9, 1.0
	v_rcp_f32_e32 v17, v10
	v_fma_f32 v18, -v10, v17, 1.0
	v_fmac_f32_e32 v17, v18, v17
	v_mul_f32_e32 v18, v12, v17
	v_fma_f32 v19, -v10, v18, v12
	v_fmac_f32_e32 v18, v19, v17
	v_fma_f32 v10, -v10, v18, v12
	v_div_fmas_f32 v10, v10, v17, v18
	v_fma_f32 v12, v11, v4, v3
	v_fma_f32 v3, -v11, v3, v4
	v_div_fixup_f32 v4, v10, v9, 1.0
	v_mul_f32_e32 v11, v12, v4
	v_mul_f32_e32 v12, v3, v4
.LBB162_65:                             ;   in Loop: Header=BB162_51 Depth=1
	s_sub_i32 s8, s18, 24
	v_mov_b32_e32 v3, s8
	s_lshl_b32 s8, s15, 3
	ds_read_b64 v[9:10], v3
	s_add_i32 s9, s23, s8
	v_mov_b32_e32 v3, s9
	s_sub_i32 s9, s19, s22
	s_add_i32 s8, s9, s8
	v_mov_b32_e32 v4, s8
	s_add_i32 s8, s19, 0xffffff38
	ds_write_b64 v16, v[11:12]
	v_mov_b32_e32 v20, s8
	ds_read_b64 v[16:17], v3
	ds_read_b64 v[18:19], v4
	;; [unrolled: 1-line block ×3, first 2 shown]
	s_waitcnt lgkmcnt(4)
	v_mul_f32_e32 v20, v6, v10
	v_fma_f32 v20, v5, v9, -v20
	v_mul_f32_e32 v5, v5, v10
	v_fmac_f32_e32 v5, v6, v9
	v_sub_f32_e32 v2, v2, v5
	s_waitcnt lgkmcnt(2)
	v_mul_f32_e32 v5, v8, v17
	v_mul_f32_e32 v6, v7, v17
	v_sub_f32_e32 v1, v1, v20
	v_fma_f32 v5, v7, v16, -v5
	v_fmac_f32_e32 v6, v8, v16
	v_sub_f32_e32 v1, v1, v5
	v_sub_f32_e32 v2, v2, v6
	s_waitcnt lgkmcnt(1)
	v_mul_f32_e32 v5, v12, v19
	v_mul_f32_e32 v6, v11, v19
	v_fma_f32 v5, v11, v18, -v5
	v_fmac_f32_e32 v6, v12, v18
	s_waitcnt lgkmcnt(0)
	v_cmp_ngt_f32_e64 s[18:19], |v3|, |v4|
	v_sub_f32_e32 v5, v1, v5
	v_sub_f32_e32 v6, v2, v6
	s_mov_b64 s[8:9], -1
	s_and_b64 vcc, exec, s[18:19]
                                        ; implicit-def: $vgpr2
	s_cbranch_vccz .LBB162_67
; %bb.66:                               ;   in Loop: Header=BB162_51 Depth=1
	v_div_scale_f32 v1, s[8:9], v4, v4, v3
	v_div_scale_f32 v2, vcc, v3, v4, v3
	v_rcp_f32_e32 v7, v1
	v_fma_f32 v8, -v1, v7, 1.0
	v_fmac_f32_e32 v7, v8, v7
	v_mul_f32_e32 v8, v2, v7
	v_fma_f32 v9, -v1, v8, v2
	v_fmac_f32_e32 v8, v9, v7
	v_fma_f32 v1, -v1, v8, v2
	v_div_fmas_f32 v1, v1, v7, v8
	v_div_fixup_f32 v1, v1, v4, v3
	v_fma_f32 v2, v3, v1, v4
	v_div_scale_f32 v7, s[8:9], v2, v2, 1.0
	v_div_scale_f32 v8, vcc, 1.0, v2, 1.0
	s_mov_b64 s[8:9], 0
	v_rcp_f32_e32 v9, v7
	v_fma_f32 v10, -v7, v9, 1.0
	v_fmac_f32_e32 v9, v10, v9
	v_mul_f32_e32 v10, v8, v9
	v_fma_f32 v11, -v7, v10, v8
	v_fmac_f32_e32 v10, v11, v9
	v_fma_f32 v7, -v7, v10, v8
	v_div_fmas_f32 v7, v7, v9, v10
	v_fma_f32 v8, v1, v5, v6
	v_fma_f32 v9, v1, v6, -v5
	v_div_fixup_f32 v2, v7, v2, 1.0
	v_mul_f32_e32 v1, v8, v2
	v_mul_f32_e32 v2, v9, v2
.LBB162_67:                             ;   in Loop: Header=BB162_51 Depth=1
	s_andn2_b64 vcc, exec, s[8:9]
	s_cbranch_vccnz .LBB162_69
; %bb.68:                               ;   in Loop: Header=BB162_51 Depth=1
	v_div_scale_f32 v1, s[8:9], v3, v3, v4
	v_div_scale_f32 v2, vcc, v4, v3, v4
	v_rcp_f32_e32 v7, v1
	v_fma_f32 v8, -v1, v7, 1.0
	v_fmac_f32_e32 v7, v8, v7
	v_mul_f32_e32 v8, v2, v7
	v_fma_f32 v9, -v1, v8, v2
	v_fmac_f32_e32 v8, v9, v7
	v_fma_f32 v1, -v1, v8, v2
	v_div_fmas_f32 v1, v1, v7, v8
	v_div_fixup_f32 v1, v1, v3, v4
	v_fmac_f32_e32 v3, v4, v1
	v_div_scale_f32 v2, s[8:9], v3, v3, 1.0
	v_div_scale_f32 v4, vcc, 1.0, v3, 1.0
	v_rcp_f32_e32 v7, v2
	v_fma_f32 v8, -v2, v7, 1.0
	v_fmac_f32_e32 v7, v8, v7
	v_mul_f32_e32 v8, v4, v7
	v_fma_f32 v9, -v2, v8, v4
	v_fmac_f32_e32 v8, v9, v7
	v_fma_f32 v2, -v2, v8, v4
	v_div_fmas_f32 v2, v2, v7, v8
	v_fma_f32 v4, v1, v6, v5
	v_fma_f32 v5, -v1, v5, v6
	v_div_fixup_f32 v2, v2, v3, 1.0
	v_mul_f32_e32 v1, v4, v2
	v_mul_f32_e32 v2, v5, v2
.LBB162_69:                             ;   in Loop: Header=BB162_51 Depth=1
	s_add_i32 s15, s14, -4
	s_sub_i32 s13, s13, 32
	s_cmp_lt_i32 s14, 7
	ds_write_b64 v14, v[1:2]
	s_cbranch_scc1 .LBB162_71
; %bb.70:                               ;   in Loop: Header=BB162_51 Depth=1
	s_mov_b32 s14, s15
	s_branch .LBB162_51
.LBB162_71:
	s_cmp_lt_i32 s15, 0
	s_cbranch_scc1 .LBB162_80
; %bb.72:
	s_mul_i32 s8, s24, 0xc0
	s_lshl_b32 s9, s15, 3
	s_add_i32 s9, s8, s9
	v_lshl_add_u32 v1, v0, 3, s8
	s_add_i32 s13, s9, 0xffffff40
	v_add_u32_e32 v7, 0x1140, v1
	s_branch .LBB162_74
.LBB162_73:                             ;   in Loop: Header=BB162_74 Depth=1
	v_sub_co_u32_e64 v1, s[8:9], s15, 1
	v_readfirstlane_b32 s15, v1
	s_add_i32 s13, s13, -8
	s_and_b64 vcc, exec, s[8:9]
	ds_write_b64 v8, v[5:6]
	s_cbranch_vccnz .LBB162_80
.LBB162_74:                             ; =>This Loop Header: Depth=1
                                        ;     Child Loop BB162_75 Depth 2
	s_mul_i32 s8, s15, 0xc0
	v_add_u32_e32 v8, s8, v15
	ds_read_b64 v[1:2], v8
	s_cmp_le_i32 s11, s15
	v_mov_b32_e32 v3, v7
	s_mov_b32 s9, s13
	s_mov_b32 s14, s11
	s_cbranch_scc1 .LBB162_76
.LBB162_75:                             ;   Parent Loop BB162_74 Depth=1
                                        ; =>  This Inner Loop Header: Depth=2
	v_mov_b32_e32 v6, s9
	ds_read_b64 v[4:5], v3
	ds_read_b64 v[9:10], v6
	s_add_i32 s14, s14, -1
	s_addk_i32 s9, 0xff40
	v_add_u32_e32 v3, 0xffffff40, v3
	s_cmp_le_u32 s14, s15
	s_waitcnt lgkmcnt(0)
	v_mul_f32_e32 v6, v10, v5
	v_mul_f32_e32 v5, v9, v5
	v_fma_f32 v6, v9, v4, -v6
	v_fmac_f32_e32 v5, v10, v4
	v_sub_f32_e32 v1, v1, v6
	v_sub_f32_e32 v2, v2, v5
	s_cbranch_scc0 .LBB162_75
.LBB162_76:                             ;   in Loop: Header=BB162_74 Depth=1
	s_lshl_b32 s9, s15, 3
	s_add_i32 s8, s9, s8
	v_mov_b32_e32 v3, s8
	ds_read_b64 v[3:4], v3
	s_mov_b64 s[8:9], -1
                                        ; implicit-def: $vgpr5
	s_waitcnt lgkmcnt(0)
	v_cmp_ngt_f32_e64 s[18:19], |v3|, |v4|
	s_and_b64 vcc, exec, s[18:19]
	s_cbranch_vccz .LBB162_78
; %bb.77:                               ;   in Loop: Header=BB162_74 Depth=1
	v_div_scale_f32 v5, s[8:9], v4, v4, v3
	v_div_scale_f32 v6, vcc, v3, v4, v3
	v_rcp_f32_e32 v9, v5
	v_fma_f32 v10, -v5, v9, 1.0
	v_fmac_f32_e32 v9, v10, v9
	v_mul_f32_e32 v10, v6, v9
	v_fma_f32 v11, -v5, v10, v6
	v_fmac_f32_e32 v10, v11, v9
	v_fma_f32 v5, -v5, v10, v6
	v_div_fmas_f32 v5, v5, v9, v10
	v_div_fixup_f32 v5, v5, v4, v3
	v_fma_f32 v6, v3, v5, v4
	v_div_scale_f32 v9, s[8:9], v6, v6, 1.0
	v_div_scale_f32 v10, vcc, 1.0, v6, 1.0
	s_mov_b64 s[8:9], 0
	v_rcp_f32_e32 v11, v9
	v_fma_f32 v12, -v9, v11, 1.0
	v_fmac_f32_e32 v11, v12, v11
	v_mul_f32_e32 v12, v10, v11
	v_fma_f32 v13, -v9, v12, v10
	v_fmac_f32_e32 v12, v13, v11
	v_fma_f32 v9, -v9, v12, v10
	v_div_fmas_f32 v9, v9, v11, v12
	v_fma_f32 v10, v1, v5, v2
	v_fma_f32 v11, v2, v5, -v1
	v_div_fixup_f32 v6, v9, v6, 1.0
	v_mul_f32_e32 v5, v10, v6
	v_mul_f32_e32 v6, v11, v6
.LBB162_78:                             ;   in Loop: Header=BB162_74 Depth=1
	s_andn2_b64 vcc, exec, s[8:9]
	s_cbranch_vccnz .LBB162_73
; %bb.79:                               ;   in Loop: Header=BB162_74 Depth=1
	v_div_scale_f32 v5, s[8:9], v3, v3, v4
	v_div_scale_f32 v6, vcc, v4, v3, v4
	v_rcp_f32_e32 v9, v5
	v_fma_f32 v10, -v5, v9, 1.0
	v_fmac_f32_e32 v9, v10, v9
	v_mul_f32_e32 v10, v6, v9
	v_fma_f32 v11, -v5, v10, v6
	v_fmac_f32_e32 v10, v11, v9
	v_fma_f32 v5, -v5, v10, v6
	v_div_fmas_f32 v5, v5, v9, v10
	v_div_fixup_f32 v5, v5, v3, v4
	v_fmac_f32_e32 v3, v4, v5
	v_div_scale_f32 v4, s[8:9], v3, v3, 1.0
	v_div_scale_f32 v6, vcc, 1.0, v3, 1.0
	v_rcp_f32_e32 v9, v4
	v_fma_f32 v10, -v4, v9, 1.0
	v_fmac_f32_e32 v9, v10, v9
	v_mul_f32_e32 v10, v6, v9
	v_fma_f32 v11, -v4, v10, v6
	v_fmac_f32_e32 v10, v11, v9
	v_fma_f32 v4, -v4, v10, v6
	v_div_fmas_f32 v4, v4, v9, v10
	v_fma_f32 v6, v2, v5, v1
	v_fma_f32 v1, -v1, v5, v2
	v_div_fixup_f32 v2, v4, v3, 1.0
	v_mul_f32_e32 v5, v6, v2
	v_mul_f32_e32 v6, v1, v2
	s_branch .LBB162_73
.LBB162_80:
	s_mov_b64 s[8:9], 0
.LBB162_81:
	s_andn2_b64 vcc, exec, s[8:9]
	s_cbranch_vccnz .LBB162_113
; %bb.82:
	s_andn2_b64 vcc, exec, s[6:7]
	s_mul_i32 s8, s24, 0xc0
	s_mov_b32 s14, s11
	s_cbranch_vccnz .LBB162_104
; %bb.83:
	v_lshl_add_u32 v1, v0, 3, s8
	s_mul_i32 s6, s24, 0xc8
	v_add_u32_e32 v13, 0x1140, v1
	s_add_i32 s9, s6, 0xfffffcf8
	s_mov_b32 s13, s11
.LBB162_84:                             ; =>This Loop Header: Depth=1
                                        ;     Child Loop BB162_85 Depth 2
	s_mul_i32 s14, s13, 24
	v_lshl_add_u32 v18, s14, 3, v15
	v_add_u32_e32 v17, 0xffffff40, v18
	v_add_u32_e32 v16, 0xfffffe80, v18
	;; [unrolled: 1-line block ×3, first 2 shown]
	ds_read_b64 v[1:2], v18
	ds_read_b64 v[11:12], v17
	;; [unrolled: 1-line block ×4, first 2 shown]
	s_cmp_le_i32 s11, s13
	s_mov_b32 s6, s9
	v_mov_b32_e32 v3, v13
	s_mov_b32 s7, s11
	s_cbranch_scc1 .LBB162_86
.LBB162_85:                             ;   Parent Loop BB162_84 Depth=1
                                        ; =>  This Inner Loop Header: Depth=2
	v_mov_b32_e32 v4, s6
	ds_read_b64 v[9:10], v3
	ds_read2_b64 v[19:22], v4 offset0:48 offset1:72
	ds_read2_b64 v[23:26], v4 offset1:24
	s_add_i32 s7, s7, -1
	s_add_i32 s6, s6, -8
	v_add_u32_e32 v3, 0xffffff40, v3
	s_waitcnt lgkmcnt(1)
	v_mul_f32_e32 v4, v22, v10
	v_mul_f32_e32 v27, v21, v10
	;; [unrolled: 1-line block ×4, first 2 shown]
	s_waitcnt lgkmcnt(0)
	v_mul_f32_e32 v29, v26, v10
	v_mul_f32_e32 v26, v26, v9
	;; [unrolled: 1-line block ×4, first 2 shown]
	v_fma_f32 v4, v21, v9, -v4
	v_fmac_f32_e32 v27, v22, v9
	v_fma_f32 v21, v19, v9, -v28
	v_fmac_f32_e32 v20, v19, v10
	;; [unrolled: 2-line block ×4, first 2 shown]
	s_cmp_le_i32 s7, s13
	v_sub_f32_e32 v1, v1, v4
	v_sub_f32_e32 v2, v2, v27
	;; [unrolled: 1-line block ×8, first 2 shown]
	s_cbranch_scc0 .LBB162_85
.LBB162_86:                             ;   in Loop: Header=BB162_84 Depth=1
	s_mul_i32 s6, s13, 0xc8
	v_mov_b32_e32 v3, s6
	ds_read_b64 v[3:4], v3
	s_mov_b64 s[6:7], -1
                                        ; implicit-def: $vgpr10
	s_waitcnt lgkmcnt(0)
	v_cmp_ngt_f32_e64 s[18:19], |v3|, |v4|
	s_and_b64 vcc, exec, s[18:19]
	s_cbranch_vccz .LBB162_88
; %bb.87:                               ;   in Loop: Header=BB162_84 Depth=1
	v_div_scale_f32 v9, s[6:7], v4, v4, v3
	v_div_scale_f32 v10, vcc, v3, v4, v3
	v_rcp_f32_e32 v19, v9
	v_fma_f32 v20, -v9, v19, 1.0
	v_fmac_f32_e32 v19, v20, v19
	v_mul_f32_e32 v20, v10, v19
	v_fma_f32 v21, -v9, v20, v10
	v_fmac_f32_e32 v20, v21, v19
	v_fma_f32 v9, -v9, v20, v10
	v_div_fmas_f32 v9, v9, v19, v20
	v_div_fixup_f32 v9, v9, v4, v3
	v_fma_f32 v10, v3, v9, v4
	v_div_scale_f32 v19, s[6:7], v10, v10, 1.0
	v_div_scale_f32 v20, vcc, 1.0, v10, 1.0
	s_mov_b64 s[6:7], 0
	v_rcp_f32_e32 v21, v19
	v_fma_f32 v22, -v19, v21, 1.0
	v_fmac_f32_e32 v21, v22, v21
	v_mul_f32_e32 v22, v20, v21
	v_fma_f32 v23, -v19, v22, v20
	v_fmac_f32_e32 v22, v23, v21
	v_fma_f32 v19, -v19, v22, v20
	v_div_fmas_f32 v19, v19, v21, v22
	v_fma_f32 v20, v1, v9, v2
	v_fma_f32 v21, v2, v9, -v1
	v_div_fixup_f32 v10, v19, v10, 1.0
	v_mul_f32_e32 v9, v20, v10
	v_mul_f32_e32 v10, v21, v10
.LBB162_88:                             ;   in Loop: Header=BB162_84 Depth=1
	s_andn2_b64 vcc, exec, s[6:7]
	s_cbranch_vccnz .LBB162_90
; %bb.89:                               ;   in Loop: Header=BB162_84 Depth=1
	v_div_scale_f32 v9, s[6:7], v3, v3, v4
	v_div_scale_f32 v10, vcc, v4, v3, v4
	v_rcp_f32_e32 v19, v9
	v_fma_f32 v20, -v9, v19, 1.0
	v_fmac_f32_e32 v19, v20, v19
	v_mul_f32_e32 v20, v10, v19
	v_fma_f32 v21, -v9, v20, v10
	v_fmac_f32_e32 v20, v21, v19
	v_fma_f32 v9, -v9, v20, v10
	v_div_fmas_f32 v9, v9, v19, v20
	v_div_fixup_f32 v9, v9, v3, v4
	v_fmac_f32_e32 v3, v4, v9
	v_div_scale_f32 v4, s[6:7], v3, v3, 1.0
	v_div_scale_f32 v10, vcc, 1.0, v3, 1.0
	v_rcp_f32_e32 v19, v4
	v_fma_f32 v20, -v4, v19, 1.0
	v_fmac_f32_e32 v19, v20, v19
	v_mul_f32_e32 v20, v10, v19
	v_fma_f32 v21, -v4, v20, v10
	v_fmac_f32_e32 v20, v21, v19
	v_fma_f32 v4, -v4, v20, v10
	v_div_fmas_f32 v4, v4, v19, v20
	v_fma_f32 v10, v2, v9, v1
	v_fma_f32 v1, -v1, v9, v2
	v_div_fixup_f32 v2, v4, v3, 1.0
	v_mul_f32_e32 v9, v10, v2
	v_mul_f32_e32 v10, v1, v2
.LBB162_90:                             ;   in Loop: Header=BB162_84 Depth=1
	s_lshl_b32 s14, s14, 3
	s_lshl_b32 s15, s13, 3
	s_addk_i32 s14, 0xff40
	s_add_i32 s6, s15, s14
	s_add_i32 s6, s6, -8
	v_mov_b32_e32 v1, s6
	ds_read2_b64 v[1:4], v1 offset1:1
	ds_write_b64 v18, v[9:10]
	s_mov_b64 s[6:7], -1
	s_waitcnt lgkmcnt(1)
	v_mul_f32_e32 v18, v10, v4
	v_mul_f32_e32 v4, v9, v4
	v_fma_f32 v18, v9, v3, -v18
	v_fmac_f32_e32 v4, v10, v3
	v_cmp_ngt_f32_e64 s[18:19], |v1|, |v2|
	v_sub_f32_e32 v3, v11, v18
	v_sub_f32_e32 v4, v12, v4
	s_and_b64 vcc, exec, s[18:19]
                                        ; implicit-def: $vgpr12
	s_cbranch_vccz .LBB162_92
; %bb.91:                               ;   in Loop: Header=BB162_84 Depth=1
	v_div_scale_f32 v11, s[6:7], v2, v2, v1
	v_div_scale_f32 v12, vcc, v1, v2, v1
	v_rcp_f32_e32 v18, v11
	v_fma_f32 v19, -v11, v18, 1.0
	v_fmac_f32_e32 v18, v19, v18
	v_mul_f32_e32 v19, v12, v18
	v_fma_f32 v20, -v11, v19, v12
	v_fmac_f32_e32 v19, v20, v18
	v_fma_f32 v11, -v11, v19, v12
	v_div_fmas_f32 v11, v11, v18, v19
	v_div_fixup_f32 v11, v11, v2, v1
	v_fma_f32 v12, v1, v11, v2
	v_div_scale_f32 v18, s[6:7], v12, v12, 1.0
	v_div_scale_f32 v19, vcc, 1.0, v12, 1.0
	s_mov_b64 s[6:7], 0
	v_rcp_f32_e32 v20, v18
	v_fma_f32 v21, -v18, v20, 1.0
	v_fmac_f32_e32 v20, v21, v20
	v_mul_f32_e32 v21, v19, v20
	v_fma_f32 v22, -v18, v21, v19
	v_fmac_f32_e32 v21, v22, v20
	v_fma_f32 v18, -v18, v21, v19
	v_div_fmas_f32 v18, v18, v20, v21
	v_fma_f32 v19, v11, v3, v4
	v_fma_f32 v20, v11, v4, -v3
	v_div_fixup_f32 v12, v18, v12, 1.0
	v_mul_f32_e32 v11, v19, v12
	v_mul_f32_e32 v12, v20, v12
.LBB162_92:                             ;   in Loop: Header=BB162_84 Depth=1
	s_andn2_b64 vcc, exec, s[6:7]
	s_cbranch_vccnz .LBB162_94
; %bb.93:                               ;   in Loop: Header=BB162_84 Depth=1
	v_div_scale_f32 v11, s[6:7], v1, v1, v2
	v_div_scale_f32 v12, vcc, v2, v1, v2
	v_rcp_f32_e32 v18, v11
	v_fma_f32 v19, -v11, v18, 1.0
	v_fmac_f32_e32 v18, v19, v18
	v_mul_f32_e32 v19, v12, v18
	v_fma_f32 v20, -v11, v19, v12
	v_fmac_f32_e32 v19, v20, v18
	v_fma_f32 v11, -v11, v19, v12
	v_div_fmas_f32 v11, v11, v18, v19
	v_div_fixup_f32 v11, v11, v1, v2
	v_fmac_f32_e32 v1, v2, v11
	v_div_scale_f32 v2, s[6:7], v1, v1, 1.0
	v_div_scale_f32 v12, vcc, 1.0, v1, 1.0
	v_rcp_f32_e32 v18, v2
	v_fma_f32 v19, -v2, v18, 1.0
	v_fmac_f32_e32 v18, v19, v18
	v_mul_f32_e32 v19, v12, v18
	v_fma_f32 v20, -v2, v19, v12
	v_fmac_f32_e32 v19, v20, v18
	v_fma_f32 v2, -v2, v19, v12
	v_div_fmas_f32 v2, v2, v18, v19
	v_fma_f32 v12, v11, v4, v3
	v_fma_f32 v3, -v11, v3, v4
	v_div_fixup_f32 v1, v2, v1, 1.0
	v_mul_f32_e32 v11, v12, v1
	v_mul_f32_e32 v12, v3, v1
.LBB162_94:                             ;   in Loop: Header=BB162_84 Depth=1
	s_addk_i32 s14, 0xff40
	s_add_i32 s14, s14, s15
	v_mov_b32_e32 v1, s14
	ds_read_b64 v[18:19], v1
	s_add_i32 s6, s14, -16
	v_mov_b32_e32 v1, s6
	ds_read2_b64 v[1:4], v1 offset1:1
	ds_write_b64 v17, v[11:12]
	s_waitcnt lgkmcnt(2)
	v_mul_f32_e32 v17, v10, v19
	v_fma_f32 v17, v9, v18, -v17
	v_mul_f32_e32 v19, v9, v19
	v_fmac_f32_e32 v19, v10, v18
	v_sub_f32_e32 v7, v7, v17
	s_waitcnt lgkmcnt(1)
	v_mul_f32_e32 v17, v12, v4
	v_mul_f32_e32 v4, v11, v4
	v_sub_f32_e32 v8, v8, v19
	v_fma_f32 v17, v11, v3, -v17
	v_fmac_f32_e32 v4, v12, v3
	v_cmp_ngt_f32_e64 s[18:19], |v1|, |v2|
	v_sub_f32_e32 v3, v7, v17
	v_sub_f32_e32 v4, v8, v4
	s_mov_b64 s[6:7], -1
	s_and_b64 vcc, exec, s[18:19]
                                        ; implicit-def: $vgpr8
	s_cbranch_vccz .LBB162_96
; %bb.95:                               ;   in Loop: Header=BB162_84 Depth=1
	v_div_scale_f32 v7, s[6:7], v2, v2, v1
	v_div_scale_f32 v8, vcc, v1, v2, v1
	v_rcp_f32_e32 v17, v7
	v_fma_f32 v18, -v7, v17, 1.0
	v_fmac_f32_e32 v17, v18, v17
	v_mul_f32_e32 v18, v8, v17
	v_fma_f32 v19, -v7, v18, v8
	v_fmac_f32_e32 v18, v19, v17
	v_fma_f32 v7, -v7, v18, v8
	v_div_fmas_f32 v7, v7, v17, v18
	v_div_fixup_f32 v7, v7, v2, v1
	v_fma_f32 v8, v1, v7, v2
	v_div_scale_f32 v17, s[6:7], v8, v8, 1.0
	v_div_scale_f32 v18, vcc, 1.0, v8, 1.0
	s_mov_b64 s[6:7], 0
	v_rcp_f32_e32 v19, v17
	v_fma_f32 v20, -v17, v19, 1.0
	v_fmac_f32_e32 v19, v20, v19
	v_mul_f32_e32 v20, v18, v19
	v_fma_f32 v21, -v17, v20, v18
	v_fmac_f32_e32 v20, v21, v19
	v_fma_f32 v17, -v17, v20, v18
	v_div_fmas_f32 v17, v17, v19, v20
	v_fma_f32 v18, v7, v3, v4
	v_fma_f32 v19, v7, v4, -v3
	v_div_fixup_f32 v8, v17, v8, 1.0
	v_mul_f32_e32 v7, v18, v8
	v_mul_f32_e32 v8, v19, v8
.LBB162_96:                             ;   in Loop: Header=BB162_84 Depth=1
	s_andn2_b64 vcc, exec, s[6:7]
	s_cbranch_vccnz .LBB162_98
; %bb.97:                               ;   in Loop: Header=BB162_84 Depth=1
	v_div_scale_f32 v7, s[6:7], v1, v1, v2
	v_div_scale_f32 v8, vcc, v2, v1, v2
	v_rcp_f32_e32 v17, v7
	v_fma_f32 v18, -v7, v17, 1.0
	v_fmac_f32_e32 v17, v18, v17
	v_mul_f32_e32 v18, v8, v17
	v_fma_f32 v19, -v7, v18, v8
	v_fmac_f32_e32 v18, v19, v17
	v_fma_f32 v7, -v7, v18, v8
	v_div_fmas_f32 v7, v7, v17, v18
	v_div_fixup_f32 v7, v7, v1, v2
	v_fmac_f32_e32 v1, v2, v7
	v_div_scale_f32 v2, s[6:7], v1, v1, 1.0
	v_div_scale_f32 v8, vcc, 1.0, v1, 1.0
	v_rcp_f32_e32 v17, v2
	v_fma_f32 v18, -v2, v17, 1.0
	v_fmac_f32_e32 v17, v18, v17
	v_mul_f32_e32 v18, v8, v17
	v_fma_f32 v19, -v2, v18, v8
	v_fmac_f32_e32 v18, v19, v17
	v_fma_f32 v2, -v2, v18, v8
	v_div_fmas_f32 v2, v2, v17, v18
	v_fma_f32 v8, v7, v4, v3
	v_fma_f32 v3, -v7, v3, v4
	v_div_fixup_f32 v1, v2, v1, 1.0
	v_mul_f32_e32 v7, v8, v1
	v_mul_f32_e32 v8, v3, v1
.LBB162_98:                             ;   in Loop: Header=BB162_84 Depth=1
	s_add_i32 s6, s14, 0xffffff38
	v_mov_b32_e32 v1, s6
	ds_read2_b64 v[17:20], v1 offset1:1
	s_add_i32 s6, s14, 0xffffff28
	v_mov_b32_e32 v1, s6
	ds_write_b64 v16, v[7:8]
	ds_read2_b64 v[1:4], v1 offset1:1
	s_waitcnt lgkmcnt(2)
	v_mul_f32_e32 v16, v10, v20
	v_fma_f32 v16, v9, v19, -v16
	v_mul_f32_e32 v9, v9, v20
	v_fmac_f32_e32 v9, v10, v19
	v_sub_f32_e32 v6, v6, v9
	v_mul_f32_e32 v9, v12, v18
	v_sub_f32_e32 v5, v5, v16
	v_fma_f32 v9, v11, v17, -v9
	v_mul_f32_e32 v10, v11, v18
	v_fmac_f32_e32 v10, v12, v17
	v_sub_f32_e32 v5, v5, v9
	s_waitcnt lgkmcnt(0)
	v_mul_f32_e32 v9, v8, v4
	v_mul_f32_e32 v4, v7, v4
	v_sub_f32_e32 v6, v6, v10
	v_fma_f32 v9, v7, v3, -v9
	v_fmac_f32_e32 v4, v8, v3
	v_cmp_ngt_f32_e64 s[14:15], |v1|, |v2|
	v_sub_f32_e32 v5, v5, v9
	v_sub_f32_e32 v6, v6, v4
	s_mov_b64 s[6:7], -1
	s_and_b64 vcc, exec, s[14:15]
                                        ; implicit-def: $vgpr4
	s_cbranch_vccz .LBB162_100
; %bb.99:                               ;   in Loop: Header=BB162_84 Depth=1
	v_div_scale_f32 v3, s[6:7], v2, v2, v1
	v_div_scale_f32 v4, vcc, v1, v2, v1
	v_rcp_f32_e32 v7, v3
	v_fma_f32 v8, -v3, v7, 1.0
	v_fmac_f32_e32 v7, v8, v7
	v_mul_f32_e32 v8, v4, v7
	v_fma_f32 v9, -v3, v8, v4
	v_fmac_f32_e32 v8, v9, v7
	v_fma_f32 v3, -v3, v8, v4
	v_div_fmas_f32 v3, v3, v7, v8
	v_div_fixup_f32 v3, v3, v2, v1
	v_fma_f32 v4, v1, v3, v2
	v_div_scale_f32 v7, s[6:7], v4, v4, 1.0
	v_div_scale_f32 v8, vcc, 1.0, v4, 1.0
	s_mov_b64 s[6:7], 0
	v_rcp_f32_e32 v9, v7
	v_fma_f32 v10, -v7, v9, 1.0
	v_fmac_f32_e32 v9, v10, v9
	v_mul_f32_e32 v10, v8, v9
	v_fma_f32 v11, -v7, v10, v8
	v_fmac_f32_e32 v10, v11, v9
	v_fma_f32 v7, -v7, v10, v8
	v_div_fmas_f32 v7, v7, v9, v10
	v_fma_f32 v8, v3, v5, v6
	v_fma_f32 v9, v3, v6, -v5
	v_div_fixup_f32 v4, v7, v4, 1.0
	v_mul_f32_e32 v3, v8, v4
	v_mul_f32_e32 v4, v9, v4
.LBB162_100:                            ;   in Loop: Header=BB162_84 Depth=1
	s_andn2_b64 vcc, exec, s[6:7]
	s_cbranch_vccnz .LBB162_102
; %bb.101:                              ;   in Loop: Header=BB162_84 Depth=1
	v_div_scale_f32 v3, s[6:7], v1, v1, v2
	v_div_scale_f32 v4, vcc, v2, v1, v2
	v_rcp_f32_e32 v7, v3
	v_fma_f32 v8, -v3, v7, 1.0
	v_fmac_f32_e32 v7, v8, v7
	v_mul_f32_e32 v8, v4, v7
	v_fma_f32 v9, -v3, v8, v4
	v_fmac_f32_e32 v8, v9, v7
	v_fma_f32 v3, -v3, v8, v4
	v_div_fmas_f32 v3, v3, v7, v8
	v_div_fixup_f32 v3, v3, v1, v2
	v_fmac_f32_e32 v1, v2, v3
	v_div_scale_f32 v2, s[6:7], v1, v1, 1.0
	v_div_scale_f32 v4, vcc, 1.0, v1, 1.0
	v_rcp_f32_e32 v7, v2
	v_fma_f32 v8, -v2, v7, 1.0
	v_fmac_f32_e32 v7, v8, v7
	v_mul_f32_e32 v8, v4, v7
	v_fma_f32 v9, -v2, v8, v4
	v_fmac_f32_e32 v8, v9, v7
	v_fma_f32 v2, -v2, v8, v4
	v_div_fmas_f32 v2, v2, v7, v8
	v_fma_f32 v4, v3, v6, v5
	v_fma_f32 v5, -v3, v5, v6
	v_div_fixup_f32 v1, v2, v1, 1.0
	v_mul_f32_e32 v3, v4, v1
	v_mul_f32_e32 v4, v5, v1
.LBB162_102:                            ;   in Loop: Header=BB162_84 Depth=1
	s_add_i32 s14, s13, -4
	s_addk_i32 s9, 0xfd00
	s_cmp_lt_i32 s13, 7
	ds_write_b64 v14, v[3:4]
	s_cbranch_scc1 .LBB162_104
; %bb.103:                              ;   in Loop: Header=BB162_84 Depth=1
	s_mov_b32 s13, s14
	s_branch .LBB162_84
.LBB162_104:
	s_cmp_lt_i32 s14, 0
	s_cbranch_scc1 .LBB162_113
; %bb.105:
	s_mul_i32 s6, s14, 0xc0
	s_lshl_b32 s7, s24, 3
	v_lshl_add_u32 v1, v0, 3, s8
	s_add_i32 s6, s6, s7
	v_add_u32_e32 v7, 0x1140, v1
	s_add_i32 s8, s6, -8
	s_branch .LBB162_107
.LBB162_106:                            ;   in Loop: Header=BB162_107 Depth=1
	v_sub_co_u32_e64 v1, s[6:7], s14, 1
	v_readfirstlane_b32 s14, v1
	s_addk_i32 s8, 0xff40
	s_and_b64 vcc, exec, s[6:7]
	ds_write_b64 v8, v[5:6]
	s_cbranch_vccnz .LBB162_113
.LBB162_107:                            ; =>This Loop Header: Depth=1
                                        ;     Child Loop BB162_108 Depth 2
	s_mul_i32 s6, s14, 0xc0
	v_add_u32_e32 v8, s6, v15
	ds_read_b64 v[1:2], v8
	s_cmp_le_i32 s11, s14
	s_mov_b32 s6, s8
	v_mov_b32_e32 v3, v7
	s_mov_b32 s7, s11
	s_cbranch_scc1 .LBB162_109
.LBB162_108:                            ;   Parent Loop BB162_107 Depth=1
                                        ; =>  This Inner Loop Header: Depth=2
	v_mov_b32_e32 v6, s6
	ds_read_b64 v[4:5], v3
	ds_read_b64 v[9:10], v6
	s_add_i32 s7, s7, -1
	s_add_i32 s6, s6, -8
	v_add_u32_e32 v3, 0xffffff40, v3
	s_cmp_le_u32 s7, s14
	s_waitcnt lgkmcnt(0)
	v_mul_f32_e32 v6, v10, v5
	v_mul_f32_e32 v5, v9, v5
	v_fma_f32 v6, v9, v4, -v6
	v_fmac_f32_e32 v5, v10, v4
	v_sub_f32_e32 v1, v1, v6
	v_sub_f32_e32 v2, v2, v5
	s_cbranch_scc0 .LBB162_108
.LBB162_109:                            ;   in Loop: Header=BB162_107 Depth=1
	s_mul_i32 s6, s14, 0xc8
	v_mov_b32_e32 v3, s6
	ds_read_b64 v[3:4], v3
	s_mov_b64 s[6:7], -1
                                        ; implicit-def: $vgpr5
	s_waitcnt lgkmcnt(0)
	v_cmp_ngt_f32_e64 s[18:19], |v3|, |v4|
	s_and_b64 vcc, exec, s[18:19]
	s_cbranch_vccz .LBB162_111
; %bb.110:                              ;   in Loop: Header=BB162_107 Depth=1
	v_div_scale_f32 v5, s[6:7], v4, v4, v3
	v_div_scale_f32 v6, vcc, v3, v4, v3
	v_rcp_f32_e32 v9, v5
	v_fma_f32 v10, -v5, v9, 1.0
	v_fmac_f32_e32 v9, v10, v9
	v_mul_f32_e32 v10, v6, v9
	v_fma_f32 v11, -v5, v10, v6
	v_fmac_f32_e32 v10, v11, v9
	v_fma_f32 v5, -v5, v10, v6
	v_div_fmas_f32 v5, v5, v9, v10
	v_div_fixup_f32 v5, v5, v4, v3
	v_fma_f32 v6, v3, v5, v4
	v_div_scale_f32 v9, s[6:7], v6, v6, 1.0
	v_div_scale_f32 v10, vcc, 1.0, v6, 1.0
	s_mov_b64 s[6:7], 0
	v_rcp_f32_e32 v11, v9
	v_fma_f32 v12, -v9, v11, 1.0
	v_fmac_f32_e32 v11, v12, v11
	v_mul_f32_e32 v12, v10, v11
	v_fma_f32 v13, -v9, v12, v10
	v_fmac_f32_e32 v12, v13, v11
	v_fma_f32 v9, -v9, v12, v10
	v_div_fmas_f32 v9, v9, v11, v12
	v_fma_f32 v10, v1, v5, v2
	v_fma_f32 v11, v2, v5, -v1
	v_div_fixup_f32 v6, v9, v6, 1.0
	v_mul_f32_e32 v5, v10, v6
	v_mul_f32_e32 v6, v11, v6
.LBB162_111:                            ;   in Loop: Header=BB162_107 Depth=1
	s_andn2_b64 vcc, exec, s[6:7]
	s_cbranch_vccnz .LBB162_106
; %bb.112:                              ;   in Loop: Header=BB162_107 Depth=1
	v_div_scale_f32 v5, s[6:7], v3, v3, v4
	v_div_scale_f32 v6, vcc, v4, v3, v4
	v_rcp_f32_e32 v9, v5
	v_fma_f32 v10, -v5, v9, 1.0
	v_fmac_f32_e32 v9, v10, v9
	v_mul_f32_e32 v10, v6, v9
	v_fma_f32 v11, -v5, v10, v6
	v_fmac_f32_e32 v10, v11, v9
	v_fma_f32 v5, -v5, v10, v6
	v_div_fmas_f32 v5, v5, v9, v10
	v_div_fixup_f32 v5, v5, v3, v4
	v_fmac_f32_e32 v3, v4, v5
	v_div_scale_f32 v4, s[6:7], v3, v3, 1.0
	v_div_scale_f32 v6, vcc, 1.0, v3, 1.0
	v_rcp_f32_e32 v9, v4
	v_fma_f32 v10, -v4, v9, 1.0
	v_fmac_f32_e32 v9, v10, v9
	v_mul_f32_e32 v10, v6, v9
	v_fma_f32 v11, -v4, v10, v6
	v_fmac_f32_e32 v10, v11, v9
	v_fma_f32 v4, -v4, v10, v6
	v_div_fmas_f32 v4, v4, v9, v10
	v_fma_f32 v6, v2, v5, v1
	v_fma_f32 v1, -v1, v5, v2
	v_div_fixup_f32 v2, v4, v3, 1.0
	v_mul_f32_e32 v5, v6, v2
	v_mul_f32_e32 v6, v1, v2
	s_branch .LBB162_106
.LBB162_113:
	s_mov_b64 s[18:19], 0
.LBB162_114:
	s_andn2_b64 vcc, exec, s[18:19]
	s_cbranch_vccnz .LBB162_146
; %bb.115:
	v_mov_b32_e32 v1, 0x1200
	v_lshl_or_b32 v15, v0, 3, v1
	s_cmp_lt_i32 s12, 4
	s_mov_b32 s11, 0
	s_cbranch_scc1 .LBB162_137
; %bb.116:
	s_mov_b32 s8, 0
	s_mov_b32 s9, 0
.LBB162_117:                            ; =>This Loop Header: Depth=1
                                        ;     Child Loop BB162_118 Depth 2
	s_mul_i32 s11, s9, 24
	v_lshl_add_u32 v16, s11, 3, v15
	ds_read2_b64 v[5:8], v16 offset1:24
	ds_read2_b64 v[1:4], v16 offset0:48 offset1:72
	s_cmp_eq_u32 s9, 0
	s_mov_b32 s6, s8
	v_mov_b32_e32 v9, v15
	s_mov_b32 s7, s9
	s_cbranch_scc1 .LBB162_119
.LBB162_118:                            ;   Parent Loop BB162_117 Depth=1
                                        ; =>  This Inner Loop Header: Depth=2
	v_mov_b32_e32 v14, s6
	ds_read_b64 v[21:22], v9
	ds_read2_b64 v[10:13], v14 offset1:24
	ds_read2_b64 v[17:20], v14 offset0:48 offset1:72
	s_add_i32 s7, s7, -1
	s_add_i32 s6, s6, 8
	v_add_u32_e32 v9, 0xc0, v9
	s_waitcnt lgkmcnt(1)
	v_mul_f32_e32 v14, v11, v22
	v_mul_f32_e32 v23, v10, v22
	;; [unrolled: 1-line block ×4, first 2 shown]
	s_waitcnt lgkmcnt(0)
	v_mul_f32_e32 v25, v18, v22
	v_mul_f32_e32 v18, v18, v21
	;; [unrolled: 1-line block ×4, first 2 shown]
	v_fma_f32 v10, v10, v21, -v14
	v_fmac_f32_e32 v23, v11, v21
	v_fma_f32 v11, v12, v21, -v24
	v_fmac_f32_e32 v13, v12, v22
	;; [unrolled: 2-line block ×4, first 2 shown]
	s_cmp_eq_u32 s7, 0
	v_sub_f32_e32 v5, v5, v10
	v_sub_f32_e32 v6, v6, v23
	;; [unrolled: 1-line block ×8, first 2 shown]
	s_cbranch_scc0 .LBB162_118
.LBB162_119:                            ;   in Loop: Header=BB162_117 Depth=1
	s_mul_i32 s6, s9, 0xc8
	v_mov_b32_e32 v9, s6
	ds_read_b64 v[9:10], v9
	s_mov_b64 s[6:7], -1
                                        ; implicit-def: $vgpr14
	s_waitcnt lgkmcnt(0)
	v_cmp_ngt_f32_e64 s[14:15], |v9|, |v10|
	s_and_b64 vcc, exec, s[14:15]
	s_cbranch_vccz .LBB162_121
; %bb.120:                              ;   in Loop: Header=BB162_117 Depth=1
	v_div_scale_f32 v11, s[6:7], v10, v10, v9
	v_div_scale_f32 v12, vcc, v9, v10, v9
	v_rcp_f32_e32 v13, v11
	v_fma_f32 v14, -v11, v13, 1.0
	v_fmac_f32_e32 v13, v14, v13
	v_mul_f32_e32 v14, v12, v13
	v_fma_f32 v17, -v11, v14, v12
	v_fmac_f32_e32 v14, v17, v13
	v_fma_f32 v11, -v11, v14, v12
	v_div_fmas_f32 v11, v11, v13, v14
	v_div_fixup_f32 v11, v11, v10, v9
	v_fma_f32 v12, v9, v11, v10
	v_div_scale_f32 v13, s[6:7], v12, v12, 1.0
	v_div_scale_f32 v14, vcc, 1.0, v12, 1.0
	s_mov_b64 s[6:7], 0
	v_rcp_f32_e32 v17, v13
	v_fma_f32 v18, -v13, v17, 1.0
	v_fmac_f32_e32 v17, v18, v17
	v_mul_f32_e32 v18, v14, v17
	v_fma_f32 v19, -v13, v18, v14
	v_fmac_f32_e32 v18, v19, v17
	v_fma_f32 v13, -v13, v18, v14
	v_div_fmas_f32 v13, v13, v17, v18
	v_fma_f32 v14, v5, v11, v6
	v_fma_f32 v11, v6, v11, -v5
	v_div_fixup_f32 v12, v13, v12, 1.0
	v_mul_f32_e32 v13, v14, v12
	v_mul_f32_e32 v14, v11, v12
.LBB162_121:                            ;   in Loop: Header=BB162_117 Depth=1
	s_andn2_b64 vcc, exec, s[6:7]
	s_cbranch_vccnz .LBB162_123
; %bb.122:                              ;   in Loop: Header=BB162_117 Depth=1
	v_div_scale_f32 v11, s[6:7], v9, v9, v10
	v_div_scale_f32 v12, vcc, v10, v9, v10
	v_rcp_f32_e32 v13, v11
	v_fma_f32 v14, -v11, v13, 1.0
	v_fmac_f32_e32 v13, v14, v13
	v_mul_f32_e32 v14, v12, v13
	v_fma_f32 v17, -v11, v14, v12
	v_fmac_f32_e32 v14, v17, v13
	v_fma_f32 v11, -v11, v14, v12
	v_div_fmas_f32 v11, v11, v13, v14
	v_div_fixup_f32 v11, v11, v9, v10
	v_fmac_f32_e32 v9, v10, v11
	v_div_scale_f32 v10, s[6:7], v9, v9, 1.0
	v_div_scale_f32 v12, vcc, 1.0, v9, 1.0
	v_rcp_f32_e32 v13, v10
	v_fma_f32 v14, -v10, v13, 1.0
	v_fmac_f32_e32 v13, v14, v13
	v_mul_f32_e32 v14, v12, v13
	v_fma_f32 v17, -v10, v14, v12
	v_fmac_f32_e32 v14, v17, v13
	v_fma_f32 v10, -v10, v14, v12
	v_div_fmas_f32 v10, v10, v13, v14
	v_fma_f32 v12, v6, v11, v5
	v_fma_f32 v5, -v5, v11, v6
	v_div_fixup_f32 v6, v10, v9, 1.0
	v_mul_f32_e32 v13, v12, v6
	v_mul_f32_e32 v14, v5, v6
.LBB162_123:                            ;   in Loop: Header=BB162_117 Depth=1
	s_lshl_b32 s11, s11, 3
	s_addk_i32 s11, 0xc0
	s_lshl_b32 s13, s9, 3
	s_add_i32 s6, s11, s13
	v_mov_b32_e32 v5, s6
	ds_read_b128 v[9:12], v5
	s_mov_b64 s[6:7], -1
	ds_write_b64 v16, v[13:14]
	s_waitcnt lgkmcnt(1)
	v_mul_f32_e32 v5, v14, v10
	v_mul_f32_e32 v6, v13, v10
	v_fma_f32 v5, v13, v9, -v5
	v_fmac_f32_e32 v6, v14, v9
	v_cmp_ngt_f32_e64 s[14:15], |v11|, |v12|
	v_sub_f32_e32 v5, v7, v5
	v_sub_f32_e32 v6, v8, v6
	s_and_b64 vcc, exec, s[14:15]
                                        ; implicit-def: $vgpr10
	s_cbranch_vccz .LBB162_125
; %bb.124:                              ;   in Loop: Header=BB162_117 Depth=1
	v_div_scale_f32 v7, s[6:7], v12, v12, v11
	v_div_scale_f32 v8, vcc, v11, v12, v11
	v_rcp_f32_e32 v9, v7
	v_fma_f32 v10, -v7, v9, 1.0
	v_fmac_f32_e32 v9, v10, v9
	v_mul_f32_e32 v10, v8, v9
	v_fma_f32 v17, -v7, v10, v8
	v_fmac_f32_e32 v10, v17, v9
	v_fma_f32 v7, -v7, v10, v8
	v_div_fmas_f32 v7, v7, v9, v10
	v_div_fixup_f32 v7, v7, v12, v11
	v_fma_f32 v8, v11, v7, v12
	v_div_scale_f32 v9, s[6:7], v8, v8, 1.0
	v_div_scale_f32 v10, vcc, 1.0, v8, 1.0
	s_mov_b64 s[6:7], 0
	v_rcp_f32_e32 v17, v9
	v_fma_f32 v18, -v9, v17, 1.0
	v_fmac_f32_e32 v17, v18, v17
	v_mul_f32_e32 v18, v10, v17
	v_fma_f32 v19, -v9, v18, v10
	v_fmac_f32_e32 v18, v19, v17
	v_fma_f32 v9, -v9, v18, v10
	v_div_fmas_f32 v9, v9, v17, v18
	v_fma_f32 v10, v7, v5, v6
	v_fma_f32 v7, v7, v6, -v5
	v_div_fixup_f32 v8, v9, v8, 1.0
	v_mul_f32_e32 v9, v10, v8
	v_mul_f32_e32 v10, v7, v8
.LBB162_125:                            ;   in Loop: Header=BB162_117 Depth=1
	s_andn2_b64 vcc, exec, s[6:7]
	s_cbranch_vccnz .LBB162_127
; %bb.126:                              ;   in Loop: Header=BB162_117 Depth=1
	v_div_scale_f32 v7, s[6:7], v11, v11, v12
	v_div_scale_f32 v8, vcc, v12, v11, v12
	v_rcp_f32_e32 v9, v7
	v_fma_f32 v10, -v7, v9, 1.0
	v_fmac_f32_e32 v9, v10, v9
	v_mul_f32_e32 v10, v8, v9
	v_fma_f32 v17, -v7, v10, v8
	v_fmac_f32_e32 v10, v17, v9
	v_fma_f32 v7, -v7, v10, v8
	v_div_fmas_f32 v7, v7, v9, v10
	v_div_fixup_f32 v7, v7, v11, v12
	v_fmac_f32_e32 v11, v12, v7
	v_div_scale_f32 v8, s[6:7], v11, v11, 1.0
	v_div_scale_f32 v9, vcc, 1.0, v11, 1.0
	v_rcp_f32_e32 v10, v8
	v_fma_f32 v12, -v8, v10, 1.0
	v_fmac_f32_e32 v10, v12, v10
	v_mul_f32_e32 v12, v9, v10
	v_fma_f32 v17, -v8, v12, v9
	v_fmac_f32_e32 v12, v17, v10
	v_fma_f32 v8, -v8, v12, v9
	v_div_fmas_f32 v8, v8, v10, v12
	v_fma_f32 v9, v7, v6, v5
	v_fma_f32 v5, -v7, v5, v6
	v_div_fixup_f32 v6, v8, v11, 1.0
	v_mul_f32_e32 v9, v9, v6
	v_mul_f32_e32 v10, v5, v6
.LBB162_127:                            ;   in Loop: Header=BB162_117 Depth=1
	s_addk_i32 s11, 0xc0
	s_add_i32 s11, s11, s13
	v_mov_b32_e32 v5, s11
	ds_read_b128 v[17:20], v5
	ds_read_b64 v[5:6], v5 offset:16
	s_mov_b64 s[6:7], -1
	ds_write_b64 v16, v[9:10] offset:192
	s_waitcnt lgkmcnt(2)
	v_mul_f32_e32 v7, v14, v18
	v_mul_f32_e32 v8, v13, v18
	v_fma_f32 v7, v13, v17, -v7
	v_fmac_f32_e32 v8, v14, v17
	v_sub_f32_e32 v1, v1, v7
	v_sub_f32_e32 v2, v2, v8
	v_mul_f32_e32 v7, v10, v20
	v_mul_f32_e32 v8, v9, v20
	v_fma_f32 v7, v9, v19, -v7
	v_fmac_f32_e32 v8, v10, v19
	s_waitcnt lgkmcnt(1)
	v_cmp_ngt_f32_e64 s[14:15], |v5|, |v6|
	v_sub_f32_e32 v7, v1, v7
	v_sub_f32_e32 v8, v2, v8
	s_and_b64 vcc, exec, s[14:15]
                                        ; implicit-def: $vgpr2
	s_cbranch_vccz .LBB162_129
; %bb.128:                              ;   in Loop: Header=BB162_117 Depth=1
	v_div_scale_f32 v1, s[6:7], v6, v6, v5
	v_div_scale_f32 v2, vcc, v5, v6, v5
	v_rcp_f32_e32 v11, v1
	v_fma_f32 v12, -v1, v11, 1.0
	v_fmac_f32_e32 v11, v12, v11
	v_mul_f32_e32 v12, v2, v11
	v_fma_f32 v17, -v1, v12, v2
	v_fmac_f32_e32 v12, v17, v11
	v_fma_f32 v1, -v1, v12, v2
	v_div_fmas_f32 v1, v1, v11, v12
	v_div_fixup_f32 v1, v1, v6, v5
	v_fma_f32 v2, v5, v1, v6
	v_div_scale_f32 v11, s[6:7], v2, v2, 1.0
	v_div_scale_f32 v12, vcc, 1.0, v2, 1.0
	s_mov_b64 s[6:7], 0
	v_rcp_f32_e32 v17, v11
	v_fma_f32 v18, -v11, v17, 1.0
	v_fmac_f32_e32 v17, v18, v17
	v_mul_f32_e32 v18, v12, v17
	v_fma_f32 v19, -v11, v18, v12
	v_fmac_f32_e32 v18, v19, v17
	v_fma_f32 v11, -v11, v18, v12
	v_div_fmas_f32 v11, v11, v17, v18
	v_fma_f32 v12, v1, v7, v8
	v_fma_f32 v17, v1, v8, -v7
	v_div_fixup_f32 v2, v11, v2, 1.0
	v_mul_f32_e32 v1, v12, v2
	v_mul_f32_e32 v2, v17, v2
.LBB162_129:                            ;   in Loop: Header=BB162_117 Depth=1
	s_andn2_b64 vcc, exec, s[6:7]
	s_cbranch_vccnz .LBB162_131
; %bb.130:                              ;   in Loop: Header=BB162_117 Depth=1
	v_div_scale_f32 v1, s[6:7], v5, v5, v6
	v_div_scale_f32 v2, vcc, v6, v5, v6
	v_rcp_f32_e32 v11, v1
	v_fma_f32 v12, -v1, v11, 1.0
	v_fmac_f32_e32 v11, v12, v11
	v_mul_f32_e32 v12, v2, v11
	v_fma_f32 v17, -v1, v12, v2
	v_fmac_f32_e32 v12, v17, v11
	v_fma_f32 v1, -v1, v12, v2
	v_div_fmas_f32 v1, v1, v11, v12
	v_div_fixup_f32 v1, v1, v5, v6
	v_fmac_f32_e32 v5, v6, v1
	v_div_scale_f32 v2, s[6:7], v5, v5, 1.0
	v_div_scale_f32 v6, vcc, 1.0, v5, 1.0
	v_rcp_f32_e32 v11, v2
	v_fma_f32 v12, -v2, v11, 1.0
	v_fmac_f32_e32 v11, v12, v11
	v_mul_f32_e32 v12, v6, v11
	v_fma_f32 v17, -v2, v12, v6
	v_fmac_f32_e32 v12, v17, v11
	v_fma_f32 v2, -v2, v12, v6
	v_div_fmas_f32 v2, v2, v11, v12
	v_fma_f32 v6, v1, v8, v7
	v_fma_f32 v7, -v1, v7, v8
	v_div_fixup_f32 v2, v2, v5, 1.0
	v_mul_f32_e32 v1, v6, v2
	v_mul_f32_e32 v2, v7, v2
.LBB162_131:                            ;   in Loop: Header=BB162_117 Depth=1
	v_mov_b32_e32 v5, s11
	ds_read_b128 v[17:20], v5 offset:192
	ds_read_b128 v[5:8], v5 offset:208
	ds_write_b64 v16, v[1:2] offset:384
	s_mov_b64 s[6:7], -1
	s_waitcnt lgkmcnt(2)
	v_mul_f32_e32 v11, v14, v18
	v_fma_f32 v11, v13, v17, -v11
	v_mul_f32_e32 v12, v13, v18
	v_sub_f32_e32 v3, v3, v11
	v_mul_f32_e32 v11, v10, v20
	v_fmac_f32_e32 v12, v14, v17
	v_fma_f32 v11, v9, v19, -v11
	v_mul_f32_e32 v9, v9, v20
	v_sub_f32_e32 v4, v4, v12
	v_fmac_f32_e32 v9, v10, v19
	v_sub_f32_e32 v4, v4, v9
	s_waitcnt lgkmcnt(1)
	v_mul_f32_e32 v9, v2, v6
	v_fma_f32 v9, v1, v5, -v9
	v_mul_f32_e32 v1, v1, v6
	v_sub_f32_e32 v3, v3, v11
	v_fmac_f32_e32 v1, v2, v5
	v_cmp_ngt_f32_e64 s[14:15], |v7|, |v8|
	v_sub_f32_e32 v3, v3, v9
	v_sub_f32_e32 v4, v4, v1
	s_and_b64 vcc, exec, s[14:15]
                                        ; implicit-def: $vgpr2
	s_cbranch_vccz .LBB162_133
; %bb.132:                              ;   in Loop: Header=BB162_117 Depth=1
	v_div_scale_f32 v1, s[6:7], v8, v8, v7
	v_div_scale_f32 v2, vcc, v7, v8, v7
	v_rcp_f32_e32 v5, v1
	v_fma_f32 v6, -v1, v5, 1.0
	v_fmac_f32_e32 v5, v6, v5
	v_mul_f32_e32 v6, v2, v5
	v_fma_f32 v9, -v1, v6, v2
	v_fmac_f32_e32 v6, v9, v5
	v_fma_f32 v1, -v1, v6, v2
	v_div_fmas_f32 v1, v1, v5, v6
	v_div_fixup_f32 v1, v1, v8, v7
	v_fma_f32 v2, v7, v1, v8
	v_div_scale_f32 v5, s[6:7], v2, v2, 1.0
	v_div_scale_f32 v6, vcc, 1.0, v2, 1.0
	s_mov_b64 s[6:7], 0
	v_rcp_f32_e32 v9, v5
	v_fma_f32 v10, -v5, v9, 1.0
	v_fmac_f32_e32 v9, v10, v9
	v_mul_f32_e32 v10, v6, v9
	v_fma_f32 v11, -v5, v10, v6
	v_fmac_f32_e32 v10, v11, v9
	v_fma_f32 v5, -v5, v10, v6
	v_div_fmas_f32 v5, v5, v9, v10
	v_fma_f32 v6, v1, v3, v4
	v_fma_f32 v9, v1, v4, -v3
	v_div_fixup_f32 v2, v5, v2, 1.0
	v_mul_f32_e32 v1, v6, v2
	v_mul_f32_e32 v2, v9, v2
.LBB162_133:                            ;   in Loop: Header=BB162_117 Depth=1
	s_andn2_b64 vcc, exec, s[6:7]
	s_cbranch_vccnz .LBB162_135
; %bb.134:                              ;   in Loop: Header=BB162_117 Depth=1
	v_div_scale_f32 v1, s[6:7], v7, v7, v8
	v_div_scale_f32 v2, vcc, v8, v7, v8
	v_rcp_f32_e32 v5, v1
	v_fma_f32 v6, -v1, v5, 1.0
	v_fmac_f32_e32 v5, v6, v5
	v_mul_f32_e32 v6, v2, v5
	v_fma_f32 v9, -v1, v6, v2
	v_fmac_f32_e32 v6, v9, v5
	v_fma_f32 v1, -v1, v6, v2
	v_div_fmas_f32 v1, v1, v5, v6
	v_div_fixup_f32 v1, v1, v7, v8
	v_fmac_f32_e32 v7, v8, v1
	v_div_scale_f32 v2, s[6:7], v7, v7, 1.0
	v_div_scale_f32 v5, vcc, 1.0, v7, 1.0
	v_rcp_f32_e32 v6, v2
	v_fma_f32 v8, -v2, v6, 1.0
	v_fmac_f32_e32 v6, v8, v6
	v_mul_f32_e32 v8, v5, v6
	v_fma_f32 v9, -v2, v8, v5
	v_fmac_f32_e32 v8, v9, v6
	v_fma_f32 v2, -v2, v8, v5
	v_div_fmas_f32 v2, v2, v6, v8
	v_fma_f32 v5, v1, v4, v3
	v_fma_f32 v3, -v1, v3, v4
	v_div_fixup_f32 v2, v2, v7, 1.0
	v_mul_f32_e32 v1, v5, v2
	v_mul_f32_e32 v2, v3, v2
.LBB162_135:                            ;   in Loop: Header=BB162_117 Depth=1
	s_add_i32 s11, s9, 4
	s_add_i32 s6, s9, 7
	s_addk_i32 s8, 0x300
	s_cmp_ge_i32 s6, s24
	ds_write_b64 v16, v[1:2] offset:576
	s_cbranch_scc1 .LBB162_137
; %bb.136:                              ;   in Loop: Header=BB162_117 Depth=1
	s_mov_b32 s9, s11
	s_branch .LBB162_117
.LBB162_137:
	s_cmp_ge_i32 s11, s24
	s_cbranch_scc1 .LBB162_146
; %bb.138:
	v_mov_b32_e32 v1, 0x1200
	v_lshl_or_b32 v7, v0, 3, v1
	s_mul_i32 s8, s11, 0xc0
	s_branch .LBB162_140
.LBB162_139:                            ;   in Loop: Header=BB162_140 Depth=1
	s_add_i32 s11, s11, 1
	s_addk_i32 s8, 0xc0
	s_cmp_ge_i32 s11, s24
	ds_write_b64 v8, v[5:6]
	s_cbranch_scc1 .LBB162_146
.LBB162_140:                            ; =>This Loop Header: Depth=1
                                        ;     Child Loop BB162_141 Depth 2
	s_mul_i32 s6, s11, 0xc0
	v_add_u32_e32 v8, s6, v15
	ds_read_b64 v[1:2], v8
	s_cmp_eq_u32 s11, 0
	s_mov_b32 s6, s8
	v_mov_b32_e32 v3, v7
	s_mov_b32 s7, s11
	s_cbranch_scc1 .LBB162_142
.LBB162_141:                            ;   Parent Loop BB162_140 Depth=1
                                        ; =>  This Inner Loop Header: Depth=2
	v_mov_b32_e32 v6, s6
	ds_read_b64 v[4:5], v3
	ds_read_b64 v[9:10], v6
	s_add_i32 s7, s7, -1
	s_add_i32 s6, s6, 8
	v_add_u32_e32 v3, 0xc0, v3
	s_cmp_eq_u32 s7, 0
	s_waitcnt lgkmcnt(0)
	v_mul_f32_e32 v6, v10, v5
	v_mul_f32_e32 v5, v9, v5
	v_fma_f32 v6, v9, v4, -v6
	v_fmac_f32_e32 v5, v10, v4
	v_sub_f32_e32 v1, v1, v6
	v_sub_f32_e32 v2, v2, v5
	s_cbranch_scc0 .LBB162_141
.LBB162_142:                            ;   in Loop: Header=BB162_140 Depth=1
	s_mul_i32 s6, s11, 0xc8
	v_mov_b32_e32 v3, s6
	ds_read_b64 v[3:4], v3
	s_mov_b64 s[6:7], -1
                                        ; implicit-def: $vgpr5
	s_waitcnt lgkmcnt(0)
	v_cmp_ngt_f32_e64 s[14:15], |v3|, |v4|
	s_and_b64 vcc, exec, s[14:15]
	s_cbranch_vccz .LBB162_144
; %bb.143:                              ;   in Loop: Header=BB162_140 Depth=1
	v_div_scale_f32 v5, s[6:7], v4, v4, v3
	v_div_scale_f32 v6, vcc, v3, v4, v3
	v_rcp_f32_e32 v9, v5
	v_fma_f32 v10, -v5, v9, 1.0
	v_fmac_f32_e32 v9, v10, v9
	v_mul_f32_e32 v10, v6, v9
	v_fma_f32 v11, -v5, v10, v6
	v_fmac_f32_e32 v10, v11, v9
	v_fma_f32 v5, -v5, v10, v6
	v_div_fmas_f32 v5, v5, v9, v10
	v_div_fixup_f32 v5, v5, v4, v3
	v_fma_f32 v6, v3, v5, v4
	v_div_scale_f32 v9, s[6:7], v6, v6, 1.0
	v_div_scale_f32 v10, vcc, 1.0, v6, 1.0
	s_mov_b64 s[6:7], 0
	v_rcp_f32_e32 v11, v9
	v_fma_f32 v12, -v9, v11, 1.0
	v_fmac_f32_e32 v11, v12, v11
	v_mul_f32_e32 v12, v10, v11
	v_fma_f32 v13, -v9, v12, v10
	v_fmac_f32_e32 v12, v13, v11
	v_fma_f32 v9, -v9, v12, v10
	v_div_fmas_f32 v9, v9, v11, v12
	v_fma_f32 v10, v1, v5, v2
	v_fma_f32 v11, v2, v5, -v1
	v_div_fixup_f32 v6, v9, v6, 1.0
	v_mul_f32_e32 v5, v10, v6
	v_mul_f32_e32 v6, v11, v6
.LBB162_144:                            ;   in Loop: Header=BB162_140 Depth=1
	s_andn2_b64 vcc, exec, s[6:7]
	s_cbranch_vccnz .LBB162_139
; %bb.145:                              ;   in Loop: Header=BB162_140 Depth=1
	v_div_scale_f32 v5, s[6:7], v3, v3, v4
	v_div_scale_f32 v6, vcc, v4, v3, v4
	v_rcp_f32_e32 v9, v5
	v_fma_f32 v10, -v5, v9, 1.0
	v_fmac_f32_e32 v9, v10, v9
	v_mul_f32_e32 v10, v6, v9
	v_fma_f32 v11, -v5, v10, v6
	v_fmac_f32_e32 v10, v11, v9
	v_fma_f32 v5, -v5, v10, v6
	v_div_fmas_f32 v5, v5, v9, v10
	v_div_fixup_f32 v5, v5, v3, v4
	v_fmac_f32_e32 v3, v4, v5
	v_div_scale_f32 v4, s[6:7], v3, v3, 1.0
	v_div_scale_f32 v6, vcc, 1.0, v3, 1.0
	v_rcp_f32_e32 v9, v4
	v_fma_f32 v10, -v4, v9, 1.0
	v_fmac_f32_e32 v9, v10, v9
	v_mul_f32_e32 v10, v6, v9
	v_fma_f32 v11, -v4, v10, v6
	v_fmac_f32_e32 v10, v11, v9
	v_fma_f32 v4, -v4, v10, v6
	v_div_fmas_f32 v4, v4, v9, v10
	v_fma_f32 v6, v2, v5, v1
	v_fma_f32 v1, -v1, v5, v2
	v_div_fixup_f32 v2, v4, v3, 1.0
	v_mul_f32_e32 v5, v6, v2
	v_mul_f32_e32 v6, v1, v2
	s_branch .LBB162_139
.LBB162_146:
	s_and_saveexec_b64 s[6:7], s[0:1]
	s_cbranch_execz .LBB162_150
; %bb.147:
	s_cmp_lt_i32 s12, 1
	s_cbranch_scc1 .LBB162_150
; %bb.148:
	s_lshl_b64 s[0:1], s[4:5], 3
	s_add_u32 s2, s2, s0
	s_addc_u32 s3, s3, s1
	s_lshl_b64 s[0:1], s[16:17], 3
	s_add_u32 s0, s2, s0
	s_addc_u32 s1, s3, s1
	s_add_u32 s0, s0, s21
	s_addc_u32 s1, s1, s20
	s_ashr_i32 s11, s10, 31
	v_lshlrev_b32_e32 v2, 3, v0
	v_mov_b32_e32 v1, s1
	v_add_co_u32_e32 v0, vcc, s0, v2
	s_lshl_b64 s[0:1], s[10:11], 3
	v_addc_co_u32_e32 v1, vcc, 0, v1, vcc
	v_or_b32_e32 v2, 0x1200, v2
	v_mov_b32_e32 v3, s1
.LBB162_149:                            ; =>This Inner Loop Header: Depth=1
	ds_read_b64 v[4:5], v2
	s_add_i32 s12, s12, -1
	v_add_u32_e32 v2, 0xc0, v2
	s_cmp_lg_u32 s12, 0
	s_waitcnt lgkmcnt(0)
	global_store_dwordx2 v[0:1], v[4:5], off
	v_add_co_u32_e32 v0, vcc, s0, v0
	v_addc_co_u32_e32 v1, vcc, v1, v3, vcc
	s_cbranch_scc1 .LBB162_149
.LBB162_150:
	s_endpgm
	.section	.rodata,"a",@progbits
	.p2align	6, 0x0
	.amdhsa_kernel _ZL31rocblas_trsm_small_right_deviceI19rocblas_complex_numIfES1_PKS1_PS1_Li24EEv13rocblas_fill_18rocblas_operation_17rocblas_diagonal_iiT0_T1_lilT2_lili
		.amdhsa_group_segment_fixed_size 9216
		.amdhsa_private_segment_fixed_size 0
		.amdhsa_kernarg_size 360
		.amdhsa_user_sgpr_count 6
		.amdhsa_user_sgpr_private_segment_buffer 1
		.amdhsa_user_sgpr_dispatch_ptr 0
		.amdhsa_user_sgpr_queue_ptr 0
		.amdhsa_user_sgpr_kernarg_segment_ptr 1
		.amdhsa_user_sgpr_dispatch_id 0
		.amdhsa_user_sgpr_flat_scratch_init 0
		.amdhsa_user_sgpr_private_segment_size 0
		.amdhsa_uses_dynamic_stack 0
		.amdhsa_system_sgpr_private_segment_wavefront_offset 0
		.amdhsa_system_sgpr_workgroup_id_x 1
		.amdhsa_system_sgpr_workgroup_id_y 0
		.amdhsa_system_sgpr_workgroup_id_z 1
		.amdhsa_system_sgpr_workgroup_info 0
		.amdhsa_system_vgpr_workitem_id 0
		.amdhsa_next_free_vgpr 85
		.amdhsa_next_free_sgpr 98
		.amdhsa_reserve_vcc 1
		.amdhsa_reserve_flat_scratch 0
		.amdhsa_float_round_mode_32 0
		.amdhsa_float_round_mode_16_64 0
		.amdhsa_float_denorm_mode_32 3
		.amdhsa_float_denorm_mode_16_64 3
		.amdhsa_dx10_clamp 1
		.amdhsa_ieee_mode 1
		.amdhsa_fp16_overflow 0
		.amdhsa_exception_fp_ieee_invalid_op 0
		.amdhsa_exception_fp_denorm_src 0
		.amdhsa_exception_fp_ieee_div_zero 0
		.amdhsa_exception_fp_ieee_overflow 0
		.amdhsa_exception_fp_ieee_underflow 0
		.amdhsa_exception_fp_ieee_inexact 0
		.amdhsa_exception_int_div_zero 0
	.end_amdhsa_kernel
	.section	.text._ZL31rocblas_trsm_small_right_deviceI19rocblas_complex_numIfES1_PKS1_PS1_Li24EEv13rocblas_fill_18rocblas_operation_17rocblas_diagonal_iiT0_T1_lilT2_lili,"axG",@progbits,_ZL31rocblas_trsm_small_right_deviceI19rocblas_complex_numIfES1_PKS1_PS1_Li24EEv13rocblas_fill_18rocblas_operation_17rocblas_diagonal_iiT0_T1_lilT2_lili,comdat
.Lfunc_end162:
	.size	_ZL31rocblas_trsm_small_right_deviceI19rocblas_complex_numIfES1_PKS1_PS1_Li24EEv13rocblas_fill_18rocblas_operation_17rocblas_diagonal_iiT0_T1_lilT2_lili, .Lfunc_end162-_ZL31rocblas_trsm_small_right_deviceI19rocblas_complex_numIfES1_PKS1_PS1_Li24EEv13rocblas_fill_18rocblas_operation_17rocblas_diagonal_iiT0_T1_lilT2_lili
                                        ; -- End function
	.set _ZL31rocblas_trsm_small_right_deviceI19rocblas_complex_numIfES1_PKS1_PS1_Li24EEv13rocblas_fill_18rocblas_operation_17rocblas_diagonal_iiT0_T1_lilT2_lili.num_vgpr, 31
	.set _ZL31rocblas_trsm_small_right_deviceI19rocblas_complex_numIfES1_PKS1_PS1_Li24EEv13rocblas_fill_18rocblas_operation_17rocblas_diagonal_iiT0_T1_lilT2_lili.num_agpr, 0
	.set _ZL31rocblas_trsm_small_right_deviceI19rocblas_complex_numIfES1_PKS1_PS1_Li24EEv13rocblas_fill_18rocblas_operation_17rocblas_diagonal_iiT0_T1_lilT2_lili.numbered_sgpr, 32
	.set _ZL31rocblas_trsm_small_right_deviceI19rocblas_complex_numIfES1_PKS1_PS1_Li24EEv13rocblas_fill_18rocblas_operation_17rocblas_diagonal_iiT0_T1_lilT2_lili.num_named_barrier, 0
	.set _ZL31rocblas_trsm_small_right_deviceI19rocblas_complex_numIfES1_PKS1_PS1_Li24EEv13rocblas_fill_18rocblas_operation_17rocblas_diagonal_iiT0_T1_lilT2_lili.private_seg_size, 0
	.set _ZL31rocblas_trsm_small_right_deviceI19rocblas_complex_numIfES1_PKS1_PS1_Li24EEv13rocblas_fill_18rocblas_operation_17rocblas_diagonal_iiT0_T1_lilT2_lili.uses_vcc, 1
	.set _ZL31rocblas_trsm_small_right_deviceI19rocblas_complex_numIfES1_PKS1_PS1_Li24EEv13rocblas_fill_18rocblas_operation_17rocblas_diagonal_iiT0_T1_lilT2_lili.uses_flat_scratch, 0
	.set _ZL31rocblas_trsm_small_right_deviceI19rocblas_complex_numIfES1_PKS1_PS1_Li24EEv13rocblas_fill_18rocblas_operation_17rocblas_diagonal_iiT0_T1_lilT2_lili.has_dyn_sized_stack, 0
	.set _ZL31rocblas_trsm_small_right_deviceI19rocblas_complex_numIfES1_PKS1_PS1_Li24EEv13rocblas_fill_18rocblas_operation_17rocblas_diagonal_iiT0_T1_lilT2_lili.has_recursion, 0
	.set _ZL31rocblas_trsm_small_right_deviceI19rocblas_complex_numIfES1_PKS1_PS1_Li24EEv13rocblas_fill_18rocblas_operation_17rocblas_diagonal_iiT0_T1_lilT2_lili.has_indirect_call, 0
	.section	.AMDGPU.csdata,"",@progbits
; Kernel info:
; codeLenInByte = 12044
; TotalNumSgprs: 36
; NumVgprs: 31
; ScratchSize: 0
; MemoryBound: 0
; FloatMode: 240
; IeeeMode: 1
; LDSByteSize: 9216 bytes/workgroup (compile time only)
; SGPRBlocks: 12
; VGPRBlocks: 21
; NumSGPRsForWavesPerEU: 102
; NumVGPRsForWavesPerEU: 85
; Occupancy: 2
; WaveLimiterHint : 0
; COMPUTE_PGM_RSRC2:SCRATCH_EN: 0
; COMPUTE_PGM_RSRC2:USER_SGPR: 6
; COMPUTE_PGM_RSRC2:TRAP_HANDLER: 0
; COMPUTE_PGM_RSRC2:TGID_X_EN: 1
; COMPUTE_PGM_RSRC2:TGID_Y_EN: 0
; COMPUTE_PGM_RSRC2:TGID_Z_EN: 1
; COMPUTE_PGM_RSRC2:TIDIG_COMP_CNT: 0
	.section	.text._ZL38rocblas_trsm_small_left_device_sharedBILi28ELi28ELb0E19rocblas_complex_numIfES1_PKS1_PS1_Ev13rocblas_fill_18rocblas_operation_17rocblas_diagonal_iiT3_T4_lilT5_lili,"axG",@progbits,_ZL38rocblas_trsm_small_left_device_sharedBILi28ELi28ELb0E19rocblas_complex_numIfES1_PKS1_PS1_Ev13rocblas_fill_18rocblas_operation_17rocblas_diagonal_iiT3_T4_lilT5_lili,comdat
	.globl	_ZL38rocblas_trsm_small_left_device_sharedBILi28ELi28ELb0E19rocblas_complex_numIfES1_PKS1_PS1_Ev13rocblas_fill_18rocblas_operation_17rocblas_diagonal_iiT3_T4_lilT5_lili ; -- Begin function _ZL38rocblas_trsm_small_left_device_sharedBILi28ELi28ELb0E19rocblas_complex_numIfES1_PKS1_PS1_Ev13rocblas_fill_18rocblas_operation_17rocblas_diagonal_iiT3_T4_lilT5_lili
	.p2align	8
	.type	_ZL38rocblas_trsm_small_left_device_sharedBILi28ELi28ELb0E19rocblas_complex_numIfES1_PKS1_PS1_Ev13rocblas_fill_18rocblas_operation_17rocblas_diagonal_iiT3_T4_lilT5_lili,@function
_ZL38rocblas_trsm_small_left_device_sharedBILi28ELi28ELb0E19rocblas_complex_numIfES1_PKS1_PS1_Ev13rocblas_fill_18rocblas_operation_17rocblas_diagonal_iiT3_T4_lilT5_lili: ; @_ZL38rocblas_trsm_small_left_device_sharedBILi28ELi28ELb0E19rocblas_complex_numIfES1_PKS1_PS1_Ev13rocblas_fill_18rocblas_operation_17rocblas_diagonal_iiT3_T4_lilT5_lili
; %bb.0:
	s_add_u32 s0, s0, s8
	s_load_dwordx4 s[12:15], s[4:5], 0x4
	s_load_dwordx2 s[18:19], s[4:5], 0x14
	s_load_dwordx4 s[8:11], s[4:5], 0x38
	s_load_dwordx2 s[16:17], s[4:5], 0x48
	s_load_dword s27, s[4:5], 0x68
	s_addc_u32 s1, s1, 0
	s_waitcnt lgkmcnt(0)
	s_min_i32 s26, s14, 28
	v_cmp_gt_i32_e32 vcc, s26, v0
	s_and_saveexec_b64 s[20:21], vcc
	s_cbranch_execz .LBB163_15
; %bb.1:
	s_load_dword s24, s[4:5], 0x30
	s_load_dwordx4 s[28:31], s[4:5], 0x20
	s_mul_i32 s9, s9, s7
	s_mul_hi_u32 s33, s8, s7
	s_mul_i32 s8, s8, s7
	s_waitcnt lgkmcnt(0)
	s_ashr_i32 s25, s24, 31
	s_cmpk_lg_i32 s12, 0x71
	s_cselect_b64 s[22:23], -1, 0
	s_add_i32 s9, s33, s9
	s_lshl_b64 s[8:9], s[8:9], 3
	s_lshl_b64 s[30:31], s[30:31], 3
	s_add_u32 s8, s8, s30
	s_addc_u32 s9, s9, s31
	s_add_u32 s8, s28, s8
	v_lshlrev_b32_e32 v5, 3, v0
	s_addc_u32 s9, s29, s9
	v_mov_b32_e32 v1, s9
	v_add_co_u32_e32 v2, vcc, s8, v5
	v_addc_co_u32_e32 v3, vcc, 0, v1, vcc
	v_add_co_u32_e32 v1, vcc, 4, v2
	s_lshl_b64 s[8:9], s[24:25], 3
	v_addc_co_u32_e32 v2, vcc, 0, v3, vcc
	v_mov_b32_e32 v6, s9
	v_mov_b32_e32 v7, v5
	s_mov_b32 s9, s26
	s_branch .LBB163_3
.LBB163_2:                              ;   in Loop: Header=BB163_3 Depth=1
	global_load_dword v3, v[1:2], off offset:-4
	s_add_i32 s9, s9, -1
	v_add_co_u32_e32 v1, vcc, s8, v1
	v_addc_co_u32_e32 v2, vcc, v2, v6, vcc
	s_cmp_eq_u32 s9, 0
	s_waitcnt vmcnt(0)
	ds_write_b64 v7, v[3:4]
	v_add_u32_e32 v7, 0xe0, v7
	s_cbranch_scc1 .LBB163_7
.LBB163_3:                              ; =>This Inner Loop Header: Depth=1
	s_mov_b64 s[24:25], -1
	s_and_b64 vcc, exec, s[22:23]
                                        ; implicit-def: $vgpr4
	s_cbranch_vccz .LBB163_5
; %bb.4:                                ;   in Loop: Header=BB163_3 Depth=1
	global_load_dword v4, v[1:2], off
	s_mov_b64 s[24:25], 0
.LBB163_5:                              ;   in Loop: Header=BB163_3 Depth=1
	s_andn2_b64 vcc, exec, s[24:25]
	s_cbranch_vccnz .LBB163_2
; %bb.6:                                ;   in Loop: Header=BB163_3 Depth=1
	global_load_dword v3, v[1:2], off
	s_waitcnt vmcnt(0)
	v_xor_b32_e32 v4, 0x80000000, v3
	s_branch .LBB163_2
.LBB163_7:
	v_mul_u32_u24_e32 v1, 0xe0, v0
	s_cmpk_lg_i32 s13, 0x84
	s_mov_b64 s[8:9], -1
	v_add_u32_e32 v5, v5, v1
	s_cbranch_scc0 .LBB163_13
; %bb.8:
	ds_read_b64 v[1:2], v5
                                        ; implicit-def: $vgpr3
	s_waitcnt lgkmcnt(0)
	v_cmp_ngt_f32_e64 s[8:9], |v1|, |v2|
	s_and_saveexec_b64 s[22:23], s[8:9]
	s_xor_b64 s[8:9], exec, s[22:23]
	s_cbranch_execz .LBB163_10
; %bb.9:
	v_div_scale_f32 v3, s[22:23], v2, v2, v1
	v_div_scale_f32 v4, vcc, v1, v2, v1
	v_rcp_f32_e32 v6, v3
	v_fma_f32 v7, -v3, v6, 1.0
	v_fmac_f32_e32 v6, v7, v6
	v_mul_f32_e32 v7, v4, v6
	v_fma_f32 v8, -v3, v7, v4
	v_fmac_f32_e32 v7, v8, v6
	v_fma_f32 v3, -v3, v7, v4
	v_div_fmas_f32 v3, v3, v6, v7
	v_div_fixup_f32 v3, v3, v2, v1
	v_fmac_f32_e32 v2, v1, v3
	v_div_scale_f32 v1, s[22:23], v2, v2, 1.0
	v_div_scale_f32 v4, vcc, 1.0, v2, 1.0
	v_rcp_f32_e32 v6, v1
	v_fma_f32 v7, -v1, v6, 1.0
	v_fmac_f32_e32 v6, v7, v6
	v_mul_f32_e32 v7, v4, v6
	v_fma_f32 v8, -v1, v7, v4
	v_fmac_f32_e32 v7, v8, v6
	v_fma_f32 v1, -v1, v7, v4
	v_div_fmas_f32 v1, v1, v6, v7
	v_add_f32_e32 v4, 0, v3
	v_fma_f32 v6, v3, 0, -1.0
	v_div_fixup_f32 v1, v1, v2, 1.0
	v_mul_f32_e32 v3, v4, v1
	v_mul_f32_e32 v4, v6, v1
                                        ; implicit-def: $vgpr1_vgpr2
.LBB163_10:
	s_andn2_saveexec_b64 s[8:9], s[8:9]
	s_cbranch_execz .LBB163_12
; %bb.11:
	v_div_scale_f32 v3, s[22:23], v1, v1, v2
	v_div_scale_f32 v4, vcc, v2, v1, v2
	v_rcp_f32_e32 v6, v3
	v_fma_f32 v7, -v3, v6, 1.0
	v_fmac_f32_e32 v6, v7, v6
	v_mul_f32_e32 v7, v4, v6
	v_fma_f32 v8, -v3, v7, v4
	v_fmac_f32_e32 v7, v8, v6
	v_fma_f32 v3, -v3, v7, v4
	v_div_fmas_f32 v3, v3, v6, v7
	v_div_fixup_f32 v4, v3, v1, v2
	v_fmac_f32_e32 v1, v2, v4
	v_div_scale_f32 v2, s[22:23], v1, v1, 1.0
	v_div_scale_f32 v3, vcc, 1.0, v1, 1.0
	v_rcp_f32_e32 v6, v2
	v_fma_f32 v7, -v2, v6, 1.0
	v_fmac_f32_e32 v6, v7, v6
	v_mul_f32_e32 v7, v3, v6
	v_fma_f32 v8, -v2, v7, v3
	v_fmac_f32_e32 v7, v8, v6
	v_fma_f32 v2, -v2, v7, v3
	v_div_fmas_f32 v2, v2, v6, v7
	v_fma_f32 v3, v4, 0, 1.0
	v_div_fixup_f32 v1, v2, v1, 1.0
	v_mul_f32_e32 v3, v3, v1
	v_mul_f32_e64 v4, -v4, v1
.LBB163_12:
	s_or_b64 exec, exec, s[8:9]
	s_mov_b64 s[8:9], 0
	ds_write_b64 v5, v[3:4]
.LBB163_13:
	s_and_b64 vcc, exec, s[8:9]
	s_cbranch_vccz .LBB163_15
; %bb.14:
	v_mov_b32_e32 v1, 1.0
	v_mov_b32_e32 v2, 0
	ds_write_b64 v5, v[1:2]
.LBB163_15:
	s_or_b64 exec, exec, s[20:21]
	s_load_dword s22, s[4:5], 0x50
	s_load_dwordx2 s[8:9], s[4:5], 0x58
	s_add_i32 s27, s27, -1
	s_waitcnt lgkmcnt(0)
	s_ashr_i32 s13, s22, 31
	s_mul_i32 s4, s9, s7
	s_mul_hi_u32 s5, s8, s7
	s_add_i32 s9, s5, s4
	s_mul_i32 s4, s6, 0xffffffe4
	s_add_i32 s4, s15, s4
	s_cmp_ge_u32 s6, s27
	s_mul_i32 s6, s6, 28
	s_mul_i32 s8, s8, s7
	s_cselect_b32 s4, s4, 28
	s_ashr_i32 s7, s6, 31
	s_cmp_gt_i32 s14, 0
	v_cmp_gt_i32_e64 s[4:5], s4, v0
	s_cselect_b64 s[14:15], -1, 0
	s_and_b64 s[24:25], s[4:5], s[14:15]
	s_and_saveexec_b64 s[20:21], s[24:25]
	s_cbranch_execz .LBB163_18
; %bb.16:
	v_lshlrev_b32_e32 v3, 3, v0
	s_lshl_b64 s[28:29], s[6:7], 3
	s_lshl_b64 s[24:25], s[8:9], 3
	v_mov_b32_e32 v1, s29
	v_add_co_u32_e32 v4, vcc, s28, v3
	s_lshl_b64 s[28:29], s[16:17], 3
	s_add_u32 s7, s10, s28
	s_addc_u32 s23, s11, s29
	s_add_u32 s24, s7, s24
	v_addc_co_u32_e32 v5, vcc, 0, v1, vcc
	s_addc_u32 s25, s23, s25
	v_mov_b32_e32 v1, s24
	v_mov_b32_e32 v2, s25
	v_mad_u64_u32 v[1:2], s[24:25], v4, s22, v[1:2]
	v_mul_lo_u32 v4, v4, s13
	v_mul_lo_u32 v5, v5, s22
	v_add_co_u32_e32 v1, vcc, 4, v1
	v_add_u32_e32 v3, 0x1880, v3
	v_add3_u32 v2, v5, v2, v4
	v_addc_co_u32_e32 v2, vcc, 0, v2, vcc
	s_mov_b32 s7, s26
.LBB163_17:                             ; =>This Inner Loop Header: Depth=1
	global_load_dwordx2 v[4:5], v[1:2], off offset:-4
	s_add_i32 s7, s7, -1
	v_add_co_u32_e32 v1, vcc, 8, v1
	v_addc_co_u32_e32 v2, vcc, 0, v2, vcc
	s_cmp_lg_u32 s7, 0
	s_waitcnt vmcnt(0)
	v_mul_f32_e32 v7, s19, v5
	v_mul_f32_e32 v6, s18, v5
	v_fma_f32 v5, s18, v4, -v7
	v_fmac_f32_e32 v6, s19, v4
	ds_write_b64 v3, v[5:6]
	v_add_u32_e32 v3, 0xe0, v3
	s_cbranch_scc1 .LBB163_17
.LBB163_18:
	s_or_b64 exec, exec, s[20:21]
	v_mov_b32_e32 v1, 0x1880
	s_cmpk_eq_i32 s12, 0x6f
	v_lshl_add_u32 v3, v0, 3, v1
	s_mov_b64 s[12:13], -1
	s_waitcnt lgkmcnt(0)
	; wave barrier
	s_cbranch_scc1 .LBB163_40
; %bb.19:
	s_mov_b32 s13, 0
	s_mov_b32 s12, s13
	;; [unrolled: 1-line block ×3, first 2 shown]
	s_branch .LBB163_21
.LBB163_20:                             ;   in Loop: Header=BB163_21 Depth=1
	s_cmp_ge_i32 s7, s26
	s_cselect_b64 s[18:19], -1, 0
	s_add_i32 s12, s12, 1
	s_cmp_eq_u32 s12, 3
	s_cselect_b64 s[20:21], -1, 0
	s_or_b64 s[18:19], s[18:19], s[20:21]
	s_andn2_b64 vcc, exec, s[18:19]
	s_cbranch_vccz .LBB163_39
.LBB163_21:                             ; =>This Loop Header: Depth=1
                                        ;     Child Loop BB163_24 Depth 2
                                        ;       Child Loop BB163_25 Depth 3
                                        ;       Child Loop BB163_28 Depth 3
                                        ;         Child Loop BB163_29 Depth 4
                                        ;       Child Loop BB163_33 Depth 3
                                        ;         Child Loop BB163_35 Depth 4
	s_lshl_b64 s[18:19], s[12:13], 2
	s_getpc_b64 s[20:21]
	s_add_u32 s20, s20, __const._ZL38rocblas_trsm_small_left_device_sharedBILi28ELi28ELb0E19rocblas_complex_numIfES1_PKS1_PS1_Ev13rocblas_fill_18rocblas_operation_17rocblas_diagonal_iiT3_T4_lilT5_lili.step_sizes@rel32@lo+4
	s_addc_u32 s21, s21, __const._ZL38rocblas_trsm_small_left_device_sharedBILi28ELi28ELb0E19rocblas_complex_numIfES1_PKS1_PS1_Ev13rocblas_fill_18rocblas_operation_17rocblas_diagonal_iiT3_T4_lilT5_lili.step_sizes@rel32@hi+12
	s_add_u32 s18, s20, s18
	s_addc_u32 s19, s21, s19
	s_load_dword s20, s[18:19], 0x0
	s_waitcnt lgkmcnt(0)
	s_add_i32 s21, s20, -1
	s_add_i32 s18, s21, s7
	s_cmp_ge_i32 s18, s26
	s_cbranch_scc1 .LBB163_20
; %bb.22:                               ;   in Loop: Header=BB163_21 Depth=1
	s_mul_i32 s24, s7, 0xe0
	s_max_i32 s23, s20, 1
	v_add_u32_e32 v4, s24, v3
	s_mul_i32 s25, s20, 0xe0
	s_mul_i32 s27, s7, 0xe8
	;; [unrolled: 1-line block ×3, first 2 shown]
	s_branch .LBB163_24
.LBB163_23:                             ;   in Loop: Header=BB163_24 Depth=2
	s_add_i32 s7, s7, s20
	s_add_i32 s18, s21, s7
	;; [unrolled: 1-line block ×4, first 2 shown]
	s_cmp_ge_i32 s18, s26
	v_add_u32_e32 v4, s25, v4
	s_cbranch_scc1 .LBB163_20
.LBB163_24:                             ;   Parent Loop BB163_21 Depth=1
                                        ; =>  This Loop Header: Depth=2
                                        ;       Child Loop BB163_25 Depth 3
                                        ;       Child Loop BB163_28 Depth 3
                                        ;         Child Loop BB163_29 Depth 4
                                        ;       Child Loop BB163_33 Depth 3
                                        ;         Child Loop BB163_35 Depth 4
	s_mov_b32 s18, 0
	v_mov_b32_e32 v1, v4
	s_mov_b32 s19, s23
.LBB163_25:                             ;   Parent Loop BB163_21 Depth=1
                                        ;     Parent Loop BB163_24 Depth=2
                                        ; =>    This Inner Loop Header: Depth=3
	ds_read_b64 v[5:6], v1
	v_mov_b32_e32 v2, s18
	s_add_i32 s19, s19, -1
	s_add_i32 s18, s18, 8
	v_add_u32_e32 v1, 0xe0, v1
	s_cmp_eq_u32 s19, 0
	s_waitcnt lgkmcnt(0)
	buffer_store_dword v6, v2, s[0:3], 0 offen offset:4
	buffer_store_dword v5, v2, s[0:3], 0 offen
	s_cbranch_scc0 .LBB163_25
; %bb.26:                               ;   in Loop: Header=BB163_24 Depth=2
	s_cmp_lt_i32 s7, 1
	s_cbranch_scc1 .LBB163_31
; %bb.27:                               ;   in Loop: Header=BB163_24 Depth=2
	s_mov_b32 s18, 0
	s_mov_b32 s19, s24
.LBB163_28:                             ;   Parent Loop BB163_21 Depth=1
                                        ;     Parent Loop BB163_24 Depth=2
                                        ; =>    This Loop Header: Depth=3
                                        ;         Child Loop BB163_29 Depth 4
	s_mul_i32 s29, s18, 0xe0
	v_add_u32_e32 v1, s29, v3
	ds_read_b64 v[1:2], v1
	s_mov_b32 s29, 0
	s_mov_b32 s30, s19
	;; [unrolled: 1-line block ×3, first 2 shown]
.LBB163_29:                             ;   Parent Loop BB163_21 Depth=1
                                        ;     Parent Loop BB163_24 Depth=2
                                        ;       Parent Loop BB163_28 Depth=3
                                        ; =>      This Inner Loop Header: Depth=4
	v_mov_b32_e32 v7, s29
	buffer_load_dword v8, v7, s[0:3], 0 offen
	buffer_load_dword v9, v7, s[0:3], 0 offen offset:4
	v_mov_b32_e32 v5, s30
	ds_read_b64 v[5:6], v5
	s_add_i32 s31, s31, -1
	s_addk_i32 s30, 0xe0
	s_add_i32 s29, s29, 8
	s_cmp_eq_u32 s31, 0
	s_waitcnt lgkmcnt(0)
	v_mul_f32_e32 v10, v6, v2
	v_mul_f32_e32 v6, v6, v1
	v_fma_f32 v10, v5, v1, -v10
	v_fmac_f32_e32 v6, v5, v2
	s_waitcnt vmcnt(1)
	v_sub_f32_e32 v5, v8, v10
	s_waitcnt vmcnt(0)
	v_sub_f32_e32 v6, v9, v6
	buffer_store_dword v5, v7, s[0:3], 0 offen
	buffer_store_dword v6, v7, s[0:3], 0 offen offset:4
	s_cbranch_scc0 .LBB163_29
; %bb.30:                               ;   in Loop: Header=BB163_28 Depth=3
	s_add_i32 s18, s18, 1
	s_add_i32 s19, s19, 8
	s_cmp_eq_u32 s18, s7
	s_cbranch_scc0 .LBB163_28
.LBB163_31:                             ;   in Loop: Header=BB163_24 Depth=2
	s_mul_i32 s29, s7, 0xe0
	s_mov_b32 s30, 0
	s_mov_b32 s31, s27
	s_branch .LBB163_33
.LBB163_32:                             ;   in Loop: Header=BB163_33 Depth=3
	s_mul_i32 s18, s34, 0xe8
	v_mov_b32_e32 v5, s18
	ds_read_b64 v[5:6], v5
	s_lshl_b32 s18, s30, 3
	s_add_i32 s30, s30, 1
	s_addk_i32 s31, 0xe0
	v_mov_b32_e32 v9, s18
	s_waitcnt vmcnt(0) lgkmcnt(0)
	v_mul_f32_e32 v7, v6, v2
	v_mul_f32_e32 v8, v5, v2
	v_fma_f32 v7, v5, v1, -v7
	v_fmac_f32_e32 v8, v6, v1
	v_add_u32_e32 v1, s33, v3
	s_cmp_eq_u32 s30, s23
	buffer_store_dword v7, v9, s[0:3], 0 offen
	buffer_store_dword v8, v9, s[0:3], 0 offen offset:4
	ds_write_b64 v1, v[7:8]
	s_cbranch_scc1 .LBB163_23
.LBB163_33:                             ;   Parent Loop BB163_21 Depth=1
                                        ;     Parent Loop BB163_24 Depth=2
                                        ; =>    This Loop Header: Depth=3
                                        ;         Child Loop BB163_35 Depth 4
	s_cmp_lg_u32 s30, 0
	s_cbranch_scc0 .LBB163_37
; %bb.34:                               ;   in Loop: Header=BB163_33 Depth=3
	s_lshl_b32 s18, s30, 3
	v_mov_b32_e32 v5, s18
	buffer_load_dword v1, v5, s[0:3], 0 offen
	buffer_load_dword v2, v5, s[0:3], 0 offen offset:4
	s_add_i32 s34, s30, s7
	s_mul_i32 s33, s34, 0xe0
	s_mov_b32 s18, 0
	s_mov_b32 s19, s31
	;; [unrolled: 1-line block ×3, first 2 shown]
.LBB163_35:                             ;   Parent Loop BB163_21 Depth=1
                                        ;     Parent Loop BB163_24 Depth=2
                                        ;       Parent Loop BB163_33 Depth=3
                                        ; =>      This Inner Loop Header: Depth=4
	v_mov_b32_e32 v6, s18
	buffer_load_dword v8, v6, s[0:3], 0 offen offset:4
	buffer_load_dword v9, v6, s[0:3], 0 offen
	v_mov_b32_e32 v6, s19
	ds_read_b64 v[6:7], v6
	s_add_i32 s35, s35, -1
	s_add_i32 s18, s18, 8
	s_add_i32 s19, s19, 8
	s_cmp_eq_u32 s35, 0
	s_waitcnt vmcnt(1) lgkmcnt(0)
	v_mul_f32_e32 v10, v7, v8
	v_mul_f32_e32 v8, v6, v8
	s_waitcnt vmcnt(0)
	v_fma_f32 v6, v6, v9, -v10
	v_fmac_f32_e32 v8, v7, v9
	v_sub_f32_e32 v1, v1, v6
	v_sub_f32_e32 v2, v2, v8
	buffer_store_dword v1, v5, s[0:3], 0 offen
	buffer_store_dword v2, v5, s[0:3], 0 offen offset:4
	s_cbranch_scc0 .LBB163_35
; %bb.36:                               ;   in Loop: Header=BB163_33 Depth=3
	s_branch .LBB163_32
.LBB163_37:                             ;   in Loop: Header=BB163_33 Depth=3
                                        ; implicit-def: $vgpr1
                                        ; implicit-def: $vgpr2
                                        ; implicit-def: $sgpr34
                                        ; implicit-def: $sgpr33
	s_cbranch_execz .LBB163_32
; %bb.38:                               ;   in Loop: Header=BB163_33 Depth=3
	buffer_load_dword v1, off, s[0:3], 0
	buffer_load_dword v2, off, s[0:3], 0 offset:4
	s_mov_b32 s33, s29
	s_mov_b32 s34, s7
	s_branch .LBB163_32
.LBB163_39:
	s_mov_b64 s[12:13], 0
.LBB163_40:
	s_and_b64 vcc, exec, s[12:13]
	s_cbranch_vccz .LBB163_60
; %bb.41:
	s_add_i32 s7, s26, -1
	v_mov_b32_e32 v1, 0x1880
	s_mul_i32 s20, s26, 0xe0
	s_mov_b32 s13, 0
	v_lshl_add_u32 v4, v0, 3, v1
	s_addk_i32 s20, 0xff20
	s_mov_b32 s12, s13
	s_mov_b32 s21, s7
	s_branch .LBB163_43
.LBB163_42:                             ;   in Loop: Header=BB163_43 Depth=1
	s_cmp_lt_i32 s21, 0
	s_cselect_b64 s[18:19], -1, 0
	s_add_i32 s12, s12, 1
	s_cmp_eq_u32 s12, 3
	s_cselect_b64 s[24:25], -1, 0
	s_or_b64 s[18:19], s[18:19], s[24:25]
	s_and_b64 vcc, exec, s[18:19]
	s_cbranch_vccnz .LBB163_60
.LBB163_43:                             ; =>This Loop Header: Depth=1
                                        ;     Child Loop BB163_46 Depth 2
                                        ;       Child Loop BB163_47 Depth 3
                                        ;       Child Loop BB163_49 Depth 3
                                        ;         Child Loop BB163_50 Depth 4
                                        ;       Child Loop BB163_54 Depth 3
                                        ;         Child Loop BB163_56 Depth 4
	s_lshl_b64 s[18:19], s[12:13], 2
	s_getpc_b64 s[24:25]
	s_add_u32 s24, s24, __const._ZL38rocblas_trsm_small_left_device_sharedBILi28ELi28ELb0E19rocblas_complex_numIfES1_PKS1_PS1_Ev13rocblas_fill_18rocblas_operation_17rocblas_diagonal_iiT3_T4_lilT5_lili.step_sizes@rel32@lo+4
	s_addc_u32 s25, s25, __const._ZL38rocblas_trsm_small_left_device_sharedBILi28ELi28ELb0E19rocblas_complex_numIfES1_PKS1_PS1_Ev13rocblas_fill_18rocblas_operation_17rocblas_diagonal_iiT3_T4_lilT5_lili.step_sizes@rel32@hi+12
	s_add_u32 s18, s24, s18
	s_addc_u32 s19, s25, s19
	s_load_dword s23, s[18:19], 0x0
	s_waitcnt lgkmcnt(0)
	s_add_i32 s24, s23, -1
	s_cmp_lt_i32 s21, s24
	s_cbranch_scc1 .LBB163_42
; %bb.44:                               ;   in Loop: Header=BB163_43 Depth=1
	s_mul_i32 s18, s21, 0xe0
	v_add_u32_e32 v5, s18, v4
	s_lshl_b32 s18, s21, 3
	s_add_i32 s28, s20, s18
	s_lshl_b32 s18, s23, 3
	s_max_i32 s25, s23, 1
	s_mul_i32 s27, s23, 0xffffff20
	s_sub_i32 s29, 0, s18
	s_mul_i32 s30, s21, 0xe8
	s_mul_i32 s31, s23, 0xffffff18
	s_branch .LBB163_46
.LBB163_45:                             ;   in Loop: Header=BB163_46 Depth=2
	s_sub_i32 s21, s21, s23
	s_add_i32 s28, s28, s29
	s_add_i32 s30, s30, s31
	s_cmp_lt_i32 s21, s24
	v_add_u32_e32 v5, s27, v5
	s_cbranch_scc1 .LBB163_42
.LBB163_46:                             ;   Parent Loop BB163_43 Depth=1
                                        ; =>  This Loop Header: Depth=2
                                        ;       Child Loop BB163_47 Depth 3
                                        ;       Child Loop BB163_49 Depth 3
                                        ;         Child Loop BB163_50 Depth 4
                                        ;       Child Loop BB163_54 Depth 3
                                        ;         Child Loop BB163_56 Depth 4
	s_mov_b32 s18, 0
	v_mov_b32_e32 v1, v5
	s_mov_b32 s19, s25
.LBB163_47:                             ;   Parent Loop BB163_43 Depth=1
                                        ;     Parent Loop BB163_46 Depth=2
                                        ; =>    This Inner Loop Header: Depth=3
	ds_read_b64 v[6:7], v1
	v_mov_b32_e32 v2, s18
	s_add_i32 s19, s19, -1
	s_add_i32 s18, s18, 8
	v_add_u32_e32 v1, 0xffffff20, v1
	s_cmp_eq_u32 s19, 0
	s_waitcnt lgkmcnt(0)
	buffer_store_dword v7, v2, s[0:3], 0 offen offset:4
	buffer_store_dword v6, v2, s[0:3], 0 offen
	s_cbranch_scc0 .LBB163_47
; %bb.48:                               ;   in Loop: Header=BB163_46 Depth=2
	s_cmp_le_i32 s7, s21
	s_mov_b32 s18, s28
	s_mov_b32 s19, s7
	s_cbranch_scc1 .LBB163_52
.LBB163_49:                             ;   Parent Loop BB163_43 Depth=1
                                        ;     Parent Loop BB163_46 Depth=2
                                        ; =>    This Loop Header: Depth=3
                                        ;         Child Loop BB163_50 Depth 4
	s_mul_i32 s33, s19, 0xe0
	v_add_u32_e32 v1, s33, v3
	ds_read_b64 v[1:2], v1
	s_mov_b32 s33, 0
	s_mov_b32 s34, s18
	;; [unrolled: 1-line block ×3, first 2 shown]
.LBB163_50:                             ;   Parent Loop BB163_43 Depth=1
                                        ;     Parent Loop BB163_46 Depth=2
                                        ;       Parent Loop BB163_49 Depth=3
                                        ; =>      This Inner Loop Header: Depth=4
	v_mov_b32_e32 v8, s33
	buffer_load_dword v9, v8, s[0:3], 0 offen
	buffer_load_dword v10, v8, s[0:3], 0 offen offset:4
	v_mov_b32_e32 v6, s34
	ds_read_b64 v[6:7], v6
	s_add_i32 s35, s35, -1
	s_add_i32 s34, s34, -8
	s_add_i32 s33, s33, 8
	s_cmp_eq_u32 s35, 0
	s_waitcnt lgkmcnt(0)
	v_mul_f32_e32 v11, v7, v2
	v_mul_f32_e32 v7, v7, v1
	v_fma_f32 v11, v6, v1, -v11
	v_fmac_f32_e32 v7, v6, v2
	s_waitcnt vmcnt(1)
	v_sub_f32_e32 v6, v9, v11
	s_waitcnt vmcnt(0)
	v_sub_f32_e32 v7, v10, v7
	buffer_store_dword v6, v8, s[0:3], 0 offen
	buffer_store_dword v7, v8, s[0:3], 0 offen offset:4
	s_cbranch_scc0 .LBB163_50
; %bb.51:                               ;   in Loop: Header=BB163_49 Depth=3
	s_add_i32 s19, s19, -1
	s_addk_i32 s18, 0xff20
	s_cmp_le_i32 s19, s21
	s_cbranch_scc0 .LBB163_49
.LBB163_52:                             ;   in Loop: Header=BB163_46 Depth=2
	s_mov_b32 s33, 0
	s_mov_b32 s34, s30
	s_branch .LBB163_54
.LBB163_53:                             ;   in Loop: Header=BB163_54 Depth=3
	s_mul_i32 s18, s35, 0xe8
	v_mov_b32_e32 v6, s18
	ds_read_b64 v[6:7], v6
	s_lshl_b32 s18, s33, 3
	v_mov_b32_e32 v10, s18
	s_mul_i32 s18, s35, 0xe0
	s_add_i32 s33, s33, 1
	s_waitcnt vmcnt(0) lgkmcnt(0)
	v_mul_f32_e32 v8, v7, v2
	v_mul_f32_e32 v9, v6, v2
	s_add_i32 s34, s34, -8
	v_fma_f32 v8, v6, v1, -v8
	v_fmac_f32_e32 v9, v7, v1
	v_add_u32_e32 v1, s18, v3
	s_cmp_eq_u32 s33, s25
	buffer_store_dword v8, v10, s[0:3], 0 offen
	buffer_store_dword v9, v10, s[0:3], 0 offen offset:4
	ds_write_b64 v1, v[8:9]
	s_cbranch_scc1 .LBB163_45
.LBB163_54:                             ;   Parent Loop BB163_43 Depth=1
                                        ;     Parent Loop BB163_46 Depth=2
                                        ; =>    This Loop Header: Depth=3
                                        ;         Child Loop BB163_56 Depth 4
	s_cmp_lg_u32 s33, 0
	s_cbranch_scc0 .LBB163_58
; %bb.55:                               ;   in Loop: Header=BB163_54 Depth=3
	s_lshl_b32 s18, s33, 3
	v_mov_b32_e32 v6, s18
	buffer_load_dword v1, v6, s[0:3], 0 offen
	buffer_load_dword v2, v6, s[0:3], 0 offen offset:4
	s_sub_i32 s35, s21, s33
	s_mov_b32 s18, 0
	s_mov_b32 s19, s34
	;; [unrolled: 1-line block ×3, first 2 shown]
.LBB163_56:                             ;   Parent Loop BB163_43 Depth=1
                                        ;     Parent Loop BB163_46 Depth=2
                                        ;       Parent Loop BB163_54 Depth=3
                                        ; =>      This Inner Loop Header: Depth=4
	v_mov_b32_e32 v7, s18
	buffer_load_dword v9, v7, s[0:3], 0 offen offset:4
	buffer_load_dword v10, v7, s[0:3], 0 offen
	v_mov_b32_e32 v7, s19
	ds_read_b64 v[7:8], v7
	s_add_i32 s36, s36, -1
	s_addk_i32 s19, 0xff20
	s_add_i32 s18, s18, 8
	s_cmp_eq_u32 s36, 0
	s_waitcnt vmcnt(1) lgkmcnt(0)
	v_mul_f32_e32 v11, v8, v9
	v_mul_f32_e32 v9, v7, v9
	s_waitcnt vmcnt(0)
	v_fma_f32 v7, v7, v10, -v11
	v_fmac_f32_e32 v9, v8, v10
	v_sub_f32_e32 v1, v1, v7
	v_sub_f32_e32 v2, v2, v9
	buffer_store_dword v1, v6, s[0:3], 0 offen
	buffer_store_dword v2, v6, s[0:3], 0 offen offset:4
	s_cbranch_scc0 .LBB163_56
; %bb.57:                               ;   in Loop: Header=BB163_54 Depth=3
	s_branch .LBB163_53
.LBB163_58:                             ;   in Loop: Header=BB163_54 Depth=3
                                        ; implicit-def: $vgpr1
                                        ; implicit-def: $vgpr2
                                        ; implicit-def: $sgpr35
	s_cbranch_execz .LBB163_53
; %bb.59:                               ;   in Loop: Header=BB163_54 Depth=3
	buffer_load_dword v1, off, s[0:3], 0
	buffer_load_dword v2, off, s[0:3], 0 offset:4
	s_mov_b32 s35, s21
	s_branch .LBB163_53
.LBB163_60:
	s_waitcnt lgkmcnt(0)
	; wave barrier
	s_and_saveexec_b64 s[12:13], s[4:5]
	s_cbranch_execz .LBB163_64
; %bb.61:
	s_andn2_b64 vcc, exec, s[14:15]
	s_cbranch_vccnz .LBB163_64
; %bb.62:
	s_lshl_b64 s[4:5], s[8:9], 3
	s_add_u32 s7, s10, s4
	s_addc_u32 s8, s11, s5
	s_lshl_b64 s[4:5], s[16:17], 3
	s_add_u32 s9, s7, s4
	s_addc_u32 s8, s8, s5
	s_mul_hi_i32 s5, s22, s6
	s_mul_i32 s4, s22, s6
	v_mad_i64_i32 v[1:2], s[6:7], s22, v0, 0
	s_lshl_b64 s[4:5], s[4:5], 3
	s_add_u32 s4, s9, s4
	v_lshlrev_b64 v[1:2], 3, v[1:2]
	s_addc_u32 s5, s8, s5
	v_mov_b32_e32 v3, s5
	v_add_co_u32_e32 v1, vcc, s4, v1
	v_addc_co_u32_e32 v2, vcc, v3, v2, vcc
	v_mov_b32_e32 v3, 0x1880
	v_lshl_add_u32 v0, v0, 3, v3
.LBB163_63:                             ; =>This Inner Loop Header: Depth=1
	ds_read_b64 v[3:4], v0
	s_add_i32 s26, s26, -1
	v_add_u32_e32 v0, 0xe0, v0
	s_cmp_lg_u32 s26, 0
	s_waitcnt lgkmcnt(0)
	global_store_dwordx2 v[1:2], v[3:4], off
	v_add_co_u32_e32 v1, vcc, 8, v1
	v_addc_co_u32_e32 v2, vcc, 0, v2, vcc
	s_cbranch_scc1 .LBB163_63
.LBB163_64:
	s_endpgm
	.section	.rodata,"a",@progbits
	.p2align	6, 0x0
	.amdhsa_kernel _ZL38rocblas_trsm_small_left_device_sharedBILi28ELi28ELb0E19rocblas_complex_numIfES1_PKS1_PS1_Ev13rocblas_fill_18rocblas_operation_17rocblas_diagonal_iiT3_T4_lilT5_lili
		.amdhsa_group_segment_fixed_size 12544
		.amdhsa_private_segment_fixed_size 240
		.amdhsa_kernarg_size 360
		.amdhsa_user_sgpr_count 6
		.amdhsa_user_sgpr_private_segment_buffer 1
		.amdhsa_user_sgpr_dispatch_ptr 0
		.amdhsa_user_sgpr_queue_ptr 0
		.amdhsa_user_sgpr_kernarg_segment_ptr 1
		.amdhsa_user_sgpr_dispatch_id 0
		.amdhsa_user_sgpr_flat_scratch_init 0
		.amdhsa_user_sgpr_private_segment_size 0
		.amdhsa_uses_dynamic_stack 0
		.amdhsa_system_sgpr_private_segment_wavefront_offset 1
		.amdhsa_system_sgpr_workgroup_id_x 1
		.amdhsa_system_sgpr_workgroup_id_y 0
		.amdhsa_system_sgpr_workgroup_id_z 1
		.amdhsa_system_sgpr_workgroup_info 0
		.amdhsa_system_vgpr_workitem_id 0
		.amdhsa_next_free_vgpr 85
		.amdhsa_next_free_sgpr 98
		.amdhsa_reserve_vcc 1
		.amdhsa_reserve_flat_scratch 0
		.amdhsa_float_round_mode_32 0
		.amdhsa_float_round_mode_16_64 0
		.amdhsa_float_denorm_mode_32 3
		.amdhsa_float_denorm_mode_16_64 3
		.amdhsa_dx10_clamp 1
		.amdhsa_ieee_mode 1
		.amdhsa_fp16_overflow 0
		.amdhsa_exception_fp_ieee_invalid_op 0
		.amdhsa_exception_fp_denorm_src 0
		.amdhsa_exception_fp_ieee_div_zero 0
		.amdhsa_exception_fp_ieee_overflow 0
		.amdhsa_exception_fp_ieee_underflow 0
		.amdhsa_exception_fp_ieee_inexact 0
		.amdhsa_exception_int_div_zero 0
	.end_amdhsa_kernel
	.section	.text._ZL38rocblas_trsm_small_left_device_sharedBILi28ELi28ELb0E19rocblas_complex_numIfES1_PKS1_PS1_Ev13rocblas_fill_18rocblas_operation_17rocblas_diagonal_iiT3_T4_lilT5_lili,"axG",@progbits,_ZL38rocblas_trsm_small_left_device_sharedBILi28ELi28ELb0E19rocblas_complex_numIfES1_PKS1_PS1_Ev13rocblas_fill_18rocblas_operation_17rocblas_diagonal_iiT3_T4_lilT5_lili,comdat
.Lfunc_end163:
	.size	_ZL38rocblas_trsm_small_left_device_sharedBILi28ELi28ELb0E19rocblas_complex_numIfES1_PKS1_PS1_Ev13rocblas_fill_18rocblas_operation_17rocblas_diagonal_iiT3_T4_lilT5_lili, .Lfunc_end163-_ZL38rocblas_trsm_small_left_device_sharedBILi28ELi28ELb0E19rocblas_complex_numIfES1_PKS1_PS1_Ev13rocblas_fill_18rocblas_operation_17rocblas_diagonal_iiT3_T4_lilT5_lili
                                        ; -- End function
	.set _ZL38rocblas_trsm_small_left_device_sharedBILi28ELi28ELb0E19rocblas_complex_numIfES1_PKS1_PS1_Ev13rocblas_fill_18rocblas_operation_17rocblas_diagonal_iiT3_T4_lilT5_lili.num_vgpr, 12
	.set _ZL38rocblas_trsm_small_left_device_sharedBILi28ELi28ELb0E19rocblas_complex_numIfES1_PKS1_PS1_Ev13rocblas_fill_18rocblas_operation_17rocblas_diagonal_iiT3_T4_lilT5_lili.num_agpr, 0
	.set _ZL38rocblas_trsm_small_left_device_sharedBILi28ELi28ELb0E19rocblas_complex_numIfES1_PKS1_PS1_Ev13rocblas_fill_18rocblas_operation_17rocblas_diagonal_iiT3_T4_lilT5_lili.numbered_sgpr, 37
	.set _ZL38rocblas_trsm_small_left_device_sharedBILi28ELi28ELb0E19rocblas_complex_numIfES1_PKS1_PS1_Ev13rocblas_fill_18rocblas_operation_17rocblas_diagonal_iiT3_T4_lilT5_lili.num_named_barrier, 0
	.set _ZL38rocblas_trsm_small_left_device_sharedBILi28ELi28ELb0E19rocblas_complex_numIfES1_PKS1_PS1_Ev13rocblas_fill_18rocblas_operation_17rocblas_diagonal_iiT3_T4_lilT5_lili.private_seg_size, 240
	.set _ZL38rocblas_trsm_small_left_device_sharedBILi28ELi28ELb0E19rocblas_complex_numIfES1_PKS1_PS1_Ev13rocblas_fill_18rocblas_operation_17rocblas_diagonal_iiT3_T4_lilT5_lili.uses_vcc, 1
	.set _ZL38rocblas_trsm_small_left_device_sharedBILi28ELi28ELb0E19rocblas_complex_numIfES1_PKS1_PS1_Ev13rocblas_fill_18rocblas_operation_17rocblas_diagonal_iiT3_T4_lilT5_lili.uses_flat_scratch, 0
	.set _ZL38rocblas_trsm_small_left_device_sharedBILi28ELi28ELb0E19rocblas_complex_numIfES1_PKS1_PS1_Ev13rocblas_fill_18rocblas_operation_17rocblas_diagonal_iiT3_T4_lilT5_lili.has_dyn_sized_stack, 0
	.set _ZL38rocblas_trsm_small_left_device_sharedBILi28ELi28ELb0E19rocblas_complex_numIfES1_PKS1_PS1_Ev13rocblas_fill_18rocblas_operation_17rocblas_diagonal_iiT3_T4_lilT5_lili.has_recursion, 0
	.set _ZL38rocblas_trsm_small_left_device_sharedBILi28ELi28ELb0E19rocblas_complex_numIfES1_PKS1_PS1_Ev13rocblas_fill_18rocblas_operation_17rocblas_diagonal_iiT3_T4_lilT5_lili.has_indirect_call, 0
	.section	.AMDGPU.csdata,"",@progbits
; Kernel info:
; codeLenInByte = 2704
; TotalNumSgprs: 41
; NumVgprs: 12
; ScratchSize: 240
; MemoryBound: 0
; FloatMode: 240
; IeeeMode: 1
; LDSByteSize: 12544 bytes/workgroup (compile time only)
; SGPRBlocks: 12
; VGPRBlocks: 21
; NumSGPRsForWavesPerEU: 102
; NumVGPRsForWavesPerEU: 85
; Occupancy: 2
; WaveLimiterHint : 0
; COMPUTE_PGM_RSRC2:SCRATCH_EN: 1
; COMPUTE_PGM_RSRC2:USER_SGPR: 6
; COMPUTE_PGM_RSRC2:TRAP_HANDLER: 0
; COMPUTE_PGM_RSRC2:TGID_X_EN: 1
; COMPUTE_PGM_RSRC2:TGID_Y_EN: 0
; COMPUTE_PGM_RSRC2:TGID_Z_EN: 1
; COMPUTE_PGM_RSRC2:TIDIG_COMP_CNT: 0
	.section	.text._ZL30rocblas_trsm_small_left_deviceILi28ELi28ELb0E19rocblas_complex_numIfES1_PKS1_PS1_Ev13rocblas_fill_18rocblas_operation_17rocblas_diagonal_iiT3_T4_lilT5_lili,"axG",@progbits,_ZL30rocblas_trsm_small_left_deviceILi28ELi28ELb0E19rocblas_complex_numIfES1_PKS1_PS1_Ev13rocblas_fill_18rocblas_operation_17rocblas_diagonal_iiT3_T4_lilT5_lili,comdat
	.globl	_ZL30rocblas_trsm_small_left_deviceILi28ELi28ELb0E19rocblas_complex_numIfES1_PKS1_PS1_Ev13rocblas_fill_18rocblas_operation_17rocblas_diagonal_iiT3_T4_lilT5_lili ; -- Begin function _ZL30rocblas_trsm_small_left_deviceILi28ELi28ELb0E19rocblas_complex_numIfES1_PKS1_PS1_Ev13rocblas_fill_18rocblas_operation_17rocblas_diagonal_iiT3_T4_lilT5_lili
	.p2align	8
	.type	_ZL30rocblas_trsm_small_left_deviceILi28ELi28ELb0E19rocblas_complex_numIfES1_PKS1_PS1_Ev13rocblas_fill_18rocblas_operation_17rocblas_diagonal_iiT3_T4_lilT5_lili,@function
_ZL30rocblas_trsm_small_left_deviceILi28ELi28ELb0E19rocblas_complex_numIfES1_PKS1_PS1_Ev13rocblas_fill_18rocblas_operation_17rocblas_diagonal_iiT3_T4_lilT5_lili: ; @_ZL30rocblas_trsm_small_left_deviceILi28ELi28ELb0E19rocblas_complex_numIfES1_PKS1_PS1_Ev13rocblas_fill_18rocblas_operation_17rocblas_diagonal_iiT3_T4_lilT5_lili
; %bb.0:
	s_add_u32 s0, s0, s8
	s_load_dwordx4 s[12:15], s[4:5], 0x4
	s_load_dwordx2 s[16:17], s[4:5], 0x14
	s_load_dwordx4 s[8:11], s[4:5], 0x38
	s_load_dwordx2 s[18:19], s[4:5], 0x48
	s_load_dword s27, s[4:5], 0x68
	s_addc_u32 s1, s1, 0
	s_waitcnt lgkmcnt(0)
	s_min_i32 s26, s14, 28
	v_cmp_gt_i32_e32 vcc, s26, v0
	s_and_saveexec_b64 s[20:21], vcc
	s_cbranch_execz .LBB164_15
; %bb.1:
	s_load_dword s24, s[4:5], 0x30
	s_load_dwordx4 s[28:31], s[4:5], 0x20
	s_mul_i32 s9, s9, s7
	s_mul_hi_u32 s14, s8, s7
	s_mul_i32 s8, s8, s7
	s_waitcnt lgkmcnt(0)
	s_ashr_i32 s25, s24, 31
	s_cmpk_lg_i32 s12, 0x71
	s_cselect_b64 s[22:23], -1, 0
	s_add_i32 s9, s14, s9
	s_lshl_b64 s[8:9], s[8:9], 3
	s_lshl_b64 s[30:31], s[30:31], 3
	s_add_u32 s8, s8, s30
	s_addc_u32 s9, s9, s31
	s_add_u32 s8, s28, s8
	v_lshlrev_b32_e32 v5, 3, v0
	s_addc_u32 s9, s29, s9
	v_mov_b32_e32 v1, s9
	v_add_co_u32_e32 v2, vcc, s8, v5
	v_addc_co_u32_e32 v3, vcc, 0, v1, vcc
	v_add_co_u32_e32 v1, vcc, 4, v2
	s_lshl_b64 s[8:9], s[24:25], 3
	v_addc_co_u32_e32 v2, vcc, 0, v3, vcc
	v_mov_b32_e32 v6, s9
	v_mov_b32_e32 v7, v5
	s_mov_b32 s9, s26
	s_branch .LBB164_3
.LBB164_2:                              ;   in Loop: Header=BB164_3 Depth=1
	global_load_dword v3, v[1:2], off offset:-4
	s_add_i32 s9, s9, -1
	v_add_co_u32_e32 v1, vcc, s8, v1
	v_addc_co_u32_e32 v2, vcc, v2, v6, vcc
	s_cmp_eq_u32 s9, 0
	s_waitcnt vmcnt(0)
	ds_write_b64 v7, v[3:4]
	v_add_u32_e32 v7, 0xe0, v7
	s_cbranch_scc1 .LBB164_7
.LBB164_3:                              ; =>This Inner Loop Header: Depth=1
	s_mov_b64 s[24:25], -1
	s_and_b64 vcc, exec, s[22:23]
                                        ; implicit-def: $vgpr4
	s_cbranch_vccz .LBB164_5
; %bb.4:                                ;   in Loop: Header=BB164_3 Depth=1
	global_load_dword v4, v[1:2], off
	s_mov_b64 s[24:25], 0
.LBB164_5:                              ;   in Loop: Header=BB164_3 Depth=1
	s_andn2_b64 vcc, exec, s[24:25]
	s_cbranch_vccnz .LBB164_2
; %bb.6:                                ;   in Loop: Header=BB164_3 Depth=1
	global_load_dword v3, v[1:2], off
	s_waitcnt vmcnt(0)
	v_xor_b32_e32 v4, 0x80000000, v3
	s_branch .LBB164_2
.LBB164_7:
	s_cmpk_lg_i32 s13, 0x84
	v_mul_u32_u24_e32 v6, 0xe0, v0
	s_mov_b64 s[8:9], -1
	s_cbranch_scc0 .LBB164_13
; %bb.8:
	v_add_u32_e32 v7, v5, v6
	ds_read_b64 v[1:2], v7
                                        ; implicit-def: $vgpr3
	s_waitcnt lgkmcnt(0)
	v_cmp_ngt_f32_e64 s[8:9], |v1|, |v2|
	s_and_saveexec_b64 s[22:23], s[8:9]
	s_xor_b64 s[8:9], exec, s[22:23]
	s_cbranch_execz .LBB164_10
; %bb.9:
	v_div_scale_f32 v3, s[22:23], v2, v2, v1
	v_div_scale_f32 v4, vcc, v1, v2, v1
	v_rcp_f32_e32 v8, v3
	v_fma_f32 v9, -v3, v8, 1.0
	v_fmac_f32_e32 v8, v9, v8
	v_mul_f32_e32 v9, v4, v8
	v_fma_f32 v10, -v3, v9, v4
	v_fmac_f32_e32 v9, v10, v8
	v_fma_f32 v3, -v3, v9, v4
	v_div_fmas_f32 v3, v3, v8, v9
	v_div_fixup_f32 v3, v3, v2, v1
	v_fmac_f32_e32 v2, v1, v3
	v_div_scale_f32 v1, s[22:23], v2, v2, 1.0
	v_div_scale_f32 v4, vcc, 1.0, v2, 1.0
	v_rcp_f32_e32 v8, v1
	v_fma_f32 v9, -v1, v8, 1.0
	v_fmac_f32_e32 v8, v9, v8
	v_mul_f32_e32 v9, v4, v8
	v_fma_f32 v10, -v1, v9, v4
	v_fmac_f32_e32 v9, v10, v8
	v_fma_f32 v1, -v1, v9, v4
	v_div_fmas_f32 v1, v1, v8, v9
	v_add_f32_e32 v4, 0, v3
	v_fma_f32 v8, v3, 0, -1.0
	v_div_fixup_f32 v1, v1, v2, 1.0
	v_mul_f32_e32 v3, v4, v1
	v_mul_f32_e32 v4, v8, v1
                                        ; implicit-def: $vgpr1_vgpr2
.LBB164_10:
	s_andn2_saveexec_b64 s[8:9], s[8:9]
	s_cbranch_execz .LBB164_12
; %bb.11:
	v_div_scale_f32 v3, s[22:23], v1, v1, v2
	v_div_scale_f32 v4, vcc, v2, v1, v2
	v_rcp_f32_e32 v8, v3
	v_fma_f32 v9, -v3, v8, 1.0
	v_fmac_f32_e32 v8, v9, v8
	v_mul_f32_e32 v9, v4, v8
	v_fma_f32 v10, -v3, v9, v4
	v_fmac_f32_e32 v9, v10, v8
	v_fma_f32 v3, -v3, v9, v4
	v_div_fmas_f32 v3, v3, v8, v9
	v_div_fixup_f32 v4, v3, v1, v2
	v_fmac_f32_e32 v1, v2, v4
	v_div_scale_f32 v2, s[22:23], v1, v1, 1.0
	v_div_scale_f32 v3, vcc, 1.0, v1, 1.0
	v_rcp_f32_e32 v8, v2
	v_fma_f32 v9, -v2, v8, 1.0
	v_fmac_f32_e32 v8, v9, v8
	v_mul_f32_e32 v9, v3, v8
	v_fma_f32 v10, -v2, v9, v3
	v_fmac_f32_e32 v9, v10, v8
	v_fma_f32 v2, -v2, v9, v3
	v_div_fmas_f32 v2, v2, v8, v9
	v_fma_f32 v3, v4, 0, 1.0
	v_div_fixup_f32 v1, v2, v1, 1.0
	v_mul_f32_e32 v3, v3, v1
	v_mul_f32_e64 v4, -v4, v1
.LBB164_12:
	s_or_b64 exec, exec, s[8:9]
	s_mov_b64 s[8:9], 0
	ds_write_b64 v7, v[3:4]
.LBB164_13:
	s_and_b64 vcc, exec, s[8:9]
	s_cbranch_vccz .LBB164_15
; %bb.14:
	v_add_u32_e32 v3, v5, v6
	v_mov_b32_e32 v1, 1.0
	v_mov_b32_e32 v2, 0
	ds_write_b64 v3, v[1:2]
.LBB164_15:
	s_or_b64 exec, exec, s[20:21]
	s_mul_i32 s8, s6, 0xffffffe4
	s_add_i32 s27, s27, -1
	s_add_i32 s8, s15, s8
	s_cmp_ge_u32 s6, s27
	s_cselect_b32 s8, s8, 28
	v_cmp_gt_i32_e32 vcc, s8, v0
	s_waitcnt lgkmcnt(0)
	; wave barrier
	s_and_saveexec_b64 s[8:9], vcc
	s_cbranch_execz .LBB164_58
; %bb.16:
	s_load_dwordx2 s[8:9], s[4:5], 0x58
	s_load_dword s13, s[4:5], 0x50
	s_waitcnt lgkmcnt(0)
	s_mul_i32 s5, s9, s7
	s_mul_hi_u32 s9, s8, s7
	s_mul_i32 s4, s8, s7
	v_mad_u64_u32 v[0:1], s[6:7], s6, 28, v[0:1]
	s_add_i32 s5, s9, s5
	s_lshl_b64 s[4:5], s[4:5], 3
	v_mad_i64_i32 v[0:1], s[6:7], s13, v0, 0
	s_add_u32 s8, s10, s4
	s_addc_u32 s9, s11, s5
	s_lshl_b64 s[6:7], s[18:19], 3
	s_add_u32 s8, s8, s6
	v_lshlrev_b64 v[0:1], 3, v[0:1]
	s_addc_u32 s9, s9, s7
	v_mov_b32_e32 v2, s9
	v_add_co_u32_e32 v6, vcc, s8, v0
	v_addc_co_u32_e32 v7, vcc, v2, v1, vcc
	s_cmpk_eq_i32 s12, 0x6f
	s_mov_b64 s[8:9], -1
	s_cbranch_scc1 .LBB164_38
; %bb.17:
	s_add_u32 s8, s10, s6
	s_addc_u32 s9, s11, s7
	s_add_u32 s8, s8, s4
	s_addc_u32 s9, s9, s5
	v_mov_b32_e32 v2, s9
	v_add_co_u32_e32 v3, vcc, s8, v0
	v_addc_co_u32_e32 v2, vcc, v2, v1, vcc
	v_add_co_u32_e32 v8, vcc, 4, v3
	s_mov_b32 s9, 0
	v_addc_co_u32_e32 v9, vcc, 0, v2, vcc
	s_mov_b32 s12, s9
	s_mov_b32 s14, s9
	s_branch .LBB164_19
.LBB164_18:                             ;   in Loop: Header=BB164_19 Depth=1
	s_cmp_ge_i32 s14, s26
	s_cselect_b64 s[18:19], -1, 0
	s_add_i32 s12, s12, 1
	s_cmp_eq_u32 s12, 3
	s_cselect_b64 s[20:21], -1, 0
	s_or_b64 s[18:19], s[18:19], s[20:21]
	s_andn2_b64 vcc, exec, s[18:19]
	s_cbranch_vccz .LBB164_37
.LBB164_19:                             ; =>This Loop Header: Depth=1
                                        ;     Child Loop BB164_22 Depth 2
                                        ;       Child Loop BB164_23 Depth 3
                                        ;       Child Loop BB164_26 Depth 3
                                        ;         Child Loop BB164_27 Depth 4
                                        ;       Child Loop BB164_31 Depth 3
                                        ;         Child Loop BB164_33 Depth 4
	s_mov_b32 s13, s9
	s_lshl_b64 s[18:19], s[12:13], 2
	s_getpc_b64 s[20:21]
	s_add_u32 s20, s20, __const._ZL30rocblas_trsm_small_left_deviceILi28ELi28ELb0E19rocblas_complex_numIfES1_PKS1_PS1_Ev13rocblas_fill_18rocblas_operation_17rocblas_diagonal_iiT3_T4_lilT5_lili.step_sizes@rel32@lo+4
	s_addc_u32 s21, s21, __const._ZL30rocblas_trsm_small_left_deviceILi28ELi28ELb0E19rocblas_complex_numIfES1_PKS1_PS1_Ev13rocblas_fill_18rocblas_operation_17rocblas_diagonal_iiT3_T4_lilT5_lili.step_sizes@rel32@hi+12
	s_add_u32 s18, s20, s18
	s_addc_u32 s19, s21, s19
	s_load_dword s18, s[18:19], 0x0
	s_waitcnt lgkmcnt(0)
	s_add_i32 s13, s18, -1
	s_add_i32 s8, s13, s14
	s_cmp_ge_i32 s8, s26
	s_cbranch_scc1 .LBB164_18
; %bb.20:                               ;   in Loop: Header=BB164_19 Depth=1
	s_ashr_i32 s15, s14, 31
	s_lshl_b64 s[20:21], s[14:15], 3
	s_ashr_i32 s19, s18, 31
	v_mov_b32_e32 v3, s21
	v_add_co_u32_e32 v2, vcc, s20, v8
	s_lshl_b64 s[20:21], s[18:19], 3
	s_max_i32 s27, s18, 1
	v_addc_co_u32_e32 v3, vcc, v9, v3, vcc
	s_mul_i32 s15, s14, 0xe0
	s_mul_i32 s19, s18, 0xe0
	;; [unrolled: 1-line block ×4, first 2 shown]
	v_mov_b32_e32 v10, s21
	s_branch .LBB164_22
.LBB164_21:                             ;   in Loop: Header=BB164_22 Depth=2
	s_add_i32 s14, s14, s18
	s_add_i32 s8, s13, s14
	;; [unrolled: 1-line block ×4, first 2 shown]
	v_add_co_u32_e32 v2, vcc, s20, v2
	s_cmp_ge_i32 s8, s26
	v_addc_co_u32_e32 v3, vcc, v3, v10, vcc
	s_cbranch_scc1 .LBB164_18
.LBB164_22:                             ;   Parent Loop BB164_19 Depth=1
                                        ; =>  This Loop Header: Depth=2
                                        ;       Child Loop BB164_23 Depth 3
                                        ;       Child Loop BB164_26 Depth 3
                                        ;         Child Loop BB164_27 Depth 4
                                        ;       Child Loop BB164_31 Depth 3
                                        ;         Child Loop BB164_33 Depth 4
	v_mov_b32_e32 v5, v3
	s_mov_b32 s8, 0
	v_mov_b32_e32 v4, v2
	s_mov_b32 s21, s27
.LBB164_23:                             ;   Parent Loop BB164_19 Depth=1
                                        ;     Parent Loop BB164_22 Depth=2
                                        ; =>    This Inner Loop Header: Depth=3
	global_load_dwordx2 v[11:12], v[4:5], off offset:-4
	v_mov_b32_e32 v13, s8
	s_add_i32 s21, s21, -1
	v_add_co_u32_e32 v4, vcc, 8, v4
	s_add_i32 s8, s8, 8
	v_addc_co_u32_e32 v5, vcc, 0, v5, vcc
	s_cmp_eq_u32 s21, 0
	s_waitcnt vmcnt(0)
	v_mul_f32_e32 v14, s17, v12
	v_mul_f32_e32 v12, s16, v12
	v_fma_f32 v14, v11, s16, -v14
	v_fmac_f32_e32 v12, s17, v11
	buffer_store_dword v14, v13, s[0:3], 0 offen
	buffer_store_dword v12, v13, s[0:3], 0 offen offset:4
	s_cbranch_scc0 .LBB164_23
; %bb.24:                               ;   in Loop: Header=BB164_22 Depth=2
	s_cmp_lt_i32 s14, 1
	s_cbranch_scc1 .LBB164_29
; %bb.25:                               ;   in Loop: Header=BB164_22 Depth=2
	s_mov_b32 s8, 0
	s_mov_b32 s21, s15
.LBB164_26:                             ;   Parent Loop BB164_19 Depth=1
                                        ;     Parent Loop BB164_22 Depth=2
                                        ; =>    This Loop Header: Depth=3
                                        ;         Child Loop BB164_27 Depth 4
	s_lshl_b64 s[22:23], s[8:9], 3
	v_mov_b32_e32 v5, s23
	v_add_co_u32_e32 v4, vcc, s22, v6
	v_addc_co_u32_e32 v5, vcc, v7, v5, vcc
	global_load_dwordx2 v[4:5], v[4:5], off
	s_mov_b32 s22, 0
	s_mov_b32 s23, s21
	;; [unrolled: 1-line block ×3, first 2 shown]
.LBB164_27:                             ;   Parent Loop BB164_19 Depth=1
                                        ;     Parent Loop BB164_22 Depth=2
                                        ;       Parent Loop BB164_26 Depth=3
                                        ; =>      This Inner Loop Header: Depth=4
	v_mov_b32_e32 v13, s22
	buffer_load_dword v14, v13, s[0:3], 0 offen
	buffer_load_dword v15, v13, s[0:3], 0 offen offset:4
	v_mov_b32_e32 v11, s23
	ds_read_b64 v[11:12], v11
	s_add_i32 s24, s24, -1
	s_addk_i32 s23, 0xe0
	s_add_i32 s22, s22, 8
	s_cmp_eq_u32 s24, 0
	s_waitcnt vmcnt(2) lgkmcnt(0)
	v_mul_f32_e32 v16, v12, v5
	v_mul_f32_e32 v12, v12, v4
	v_fma_f32 v16, v11, v4, -v16
	v_fmac_f32_e32 v12, v11, v5
	s_waitcnt vmcnt(1)
	v_sub_f32_e32 v11, v14, v16
	s_waitcnt vmcnt(0)
	v_sub_f32_e32 v12, v15, v12
	buffer_store_dword v11, v13, s[0:3], 0 offen
	buffer_store_dword v12, v13, s[0:3], 0 offen offset:4
	s_cbranch_scc0 .LBB164_27
; %bb.28:                               ;   in Loop: Header=BB164_26 Depth=3
	s_add_i32 s8, s8, 1
	s_add_i32 s21, s21, 8
	s_cmp_eq_u32 s8, s14
	s_cbranch_scc0 .LBB164_26
.LBB164_29:                             ;   in Loop: Header=BB164_22 Depth=2
	s_mov_b32 s8, 0
	s_mov_b32 s21, s28
	s_branch .LBB164_31
.LBB164_30:                             ;   in Loop: Header=BB164_31 Depth=3
	s_mul_i32 s23, s22, 0xe8
	v_mov_b32_e32 v11, s23
	ds_read_b64 v[11:12], v11
	s_lshl_b32 s23, s8, 3
	v_mov_b32_e32 v15, s23
	s_ashr_i32 s23, s22, 31
	s_lshl_b64 s[22:23], s[22:23], 3
	s_waitcnt vmcnt(0) lgkmcnt(0)
	v_mul_f32_e32 v13, v12, v5
	v_mul_f32_e32 v14, v11, v5
	v_fma_f32 v13, v11, v4, -v13
	v_fmac_f32_e32 v14, v12, v4
	v_mov_b32_e32 v5, s23
	v_add_co_u32_e32 v4, vcc, s22, v6
	s_add_i32 s8, s8, 1
	s_addk_i32 s21, 0xe0
	v_addc_co_u32_e32 v5, vcc, v7, v5, vcc
	s_cmp_eq_u32 s8, s27
	buffer_store_dword v13, v15, s[0:3], 0 offen
	buffer_store_dword v14, v15, s[0:3], 0 offen offset:4
	global_store_dwordx2 v[4:5], v[13:14], off
	s_cbranch_scc1 .LBB164_21
.LBB164_31:                             ;   Parent Loop BB164_19 Depth=1
                                        ;     Parent Loop BB164_22 Depth=2
                                        ; =>    This Loop Header: Depth=3
                                        ;         Child Loop BB164_33 Depth 4
	s_cmp_lg_u32 s8, 0
	s_cbranch_scc0 .LBB164_35
; %bb.32:                               ;   in Loop: Header=BB164_31 Depth=3
	s_lshl_b32 s22, s8, 3
	v_mov_b32_e32 v11, s22
	buffer_load_dword v4, v11, s[0:3], 0 offen
	buffer_load_dword v5, v11, s[0:3], 0 offen offset:4
	s_add_i32 s22, s8, s14
	s_mov_b32 s23, 0
	s_mov_b32 s24, s21
	;; [unrolled: 1-line block ×3, first 2 shown]
.LBB164_33:                             ;   Parent Loop BB164_19 Depth=1
                                        ;     Parent Loop BB164_22 Depth=2
                                        ;       Parent Loop BB164_31 Depth=3
                                        ; =>      This Inner Loop Header: Depth=4
	v_mov_b32_e32 v12, s23
	buffer_load_dword v14, v12, s[0:3], 0 offen offset:4
	buffer_load_dword v15, v12, s[0:3], 0 offen
	v_mov_b32_e32 v12, s24
	ds_read_b64 v[12:13], v12
	s_add_i32 s25, s25, -1
	s_add_i32 s23, s23, 8
	s_add_i32 s24, s24, 8
	s_cmp_eq_u32 s25, 0
	s_waitcnt vmcnt(1) lgkmcnt(0)
	v_mul_f32_e32 v16, v13, v14
	v_mul_f32_e32 v14, v12, v14
	s_waitcnt vmcnt(0)
	v_fma_f32 v12, v12, v15, -v16
	v_fmac_f32_e32 v14, v13, v15
	v_sub_f32_e32 v4, v4, v12
	v_sub_f32_e32 v5, v5, v14
	buffer_store_dword v4, v11, s[0:3], 0 offen
	buffer_store_dword v5, v11, s[0:3], 0 offen offset:4
	s_cbranch_scc0 .LBB164_33
; %bb.34:                               ;   in Loop: Header=BB164_31 Depth=3
	s_branch .LBB164_30
.LBB164_35:                             ;   in Loop: Header=BB164_31 Depth=3
                                        ; implicit-def: $vgpr4
                                        ; implicit-def: $vgpr5
                                        ; implicit-def: $sgpr22
	s_cbranch_execz .LBB164_30
; %bb.36:                               ;   in Loop: Header=BB164_31 Depth=3
	buffer_load_dword v4, off, s[0:3], 0
	buffer_load_dword v5, off, s[0:3], 0 offset:4
	s_mov_b32 s22, s14
	s_branch .LBB164_30
.LBB164_37:
	s_mov_b64 s[8:9], 0
.LBB164_38:
	s_and_b64 vcc, exec, s[8:9]
	s_cbranch_vccz .LBB164_58
; %bb.39:
	s_add_i32 s14, s26, -1
	s_add_u32 s6, s10, s6
	s_addc_u32 s7, s11, s7
	s_add_u32 s4, s6, s4
	s_addc_u32 s5, s7, s5
	v_mov_b32_e32 v2, s5
	v_add_co_u32_e32 v0, vcc, s4, v0
	v_addc_co_u32_e32 v1, vcc, v2, v1, vcc
	v_add_co_u32_e32 v2, vcc, 4, v0
	s_mul_i32 s15, s26, 0xe0
	s_mov_b32 s5, 0
	v_addc_co_u32_e32 v3, vcc, 0, v1, vcc
	s_addk_i32 s15, 0xff20
	s_mov_b32 s6, s14
	s_mov_b32 s4, s5
	s_branch .LBB164_41
.LBB164_40:                             ;   in Loop: Header=BB164_41 Depth=1
	s_cmp_lt_i32 s6, 0
	s_cselect_b64 s[8:9], -1, 0
	s_add_i32 s4, s4, 1
	s_cmp_eq_u32 s4, 3
	s_cselect_b64 s[10:11], -1, 0
	s_or_b64 s[8:9], s[8:9], s[10:11]
	s_and_b64 vcc, exec, s[8:9]
	s_cbranch_vccnz .LBB164_58
.LBB164_41:                             ; =>This Loop Header: Depth=1
                                        ;     Child Loop BB164_44 Depth 2
                                        ;       Child Loop BB164_45 Depth 3
                                        ;       Child Loop BB164_47 Depth 3
                                        ;         Child Loop BB164_48 Depth 4
                                        ;       Child Loop BB164_52 Depth 3
                                        ;         Child Loop BB164_54 Depth 4
	s_lshl_b64 s[8:9], s[4:5], 2
	s_getpc_b64 s[10:11]
	s_add_u32 s10, s10, __const._ZL30rocblas_trsm_small_left_deviceILi28ELi28ELb0E19rocblas_complex_numIfES1_PKS1_PS1_Ev13rocblas_fill_18rocblas_operation_17rocblas_diagonal_iiT3_T4_lilT5_lili.step_sizes@rel32@lo+4
	s_addc_u32 s11, s11, __const._ZL30rocblas_trsm_small_left_deviceILi28ELi28ELb0E19rocblas_complex_numIfES1_PKS1_PS1_Ev13rocblas_fill_18rocblas_operation_17rocblas_diagonal_iiT3_T4_lilT5_lili.step_sizes@rel32@hi+12
	s_add_u32 s8, s10, s8
	s_addc_u32 s9, s11, s9
	s_load_dword s18, s[8:9], 0x0
	s_waitcnt lgkmcnt(0)
	s_add_i32 s19, s18, -1
	s_cmp_lt_i32 s6, s19
	s_cbranch_scc1 .LBB164_40
; %bb.42:                               ;   in Loop: Header=BB164_41 Depth=1
	s_lshl_b32 s7, s6, 3
	s_add_i32 s21, s15, s7
	s_lshl_b32 s7, s18, 3
	s_max_i32 s20, s18, 1
	s_sub_i32 s22, 0, s7
	s_mul_i32 s23, s6, 0xe8
	s_mul_i32 s24, s18, 0xffffff18
	s_branch .LBB164_44
.LBB164_43:                             ;   in Loop: Header=BB164_44 Depth=2
	s_sub_i32 s6, s6, s18
	s_add_i32 s21, s21, s22
	s_add_i32 s23, s23, s24
	s_cmp_lt_i32 s6, s19
	s_cbranch_scc1 .LBB164_40
.LBB164_44:                             ;   Parent Loop BB164_41 Depth=1
                                        ; =>  This Loop Header: Depth=2
                                        ;       Child Loop BB164_45 Depth 3
                                        ;       Child Loop BB164_47 Depth 3
                                        ;         Child Loop BB164_48 Depth 4
                                        ;       Child Loop BB164_52 Depth 3
                                        ;         Child Loop BB164_54 Depth 4
	s_ashr_i32 s7, s6, 31
	s_lshl_b64 s[8:9], s[6:7], 3
	v_mov_b32_e32 v1, s9
	v_add_co_u32_e32 v0, vcc, s8, v2
	v_addc_co_u32_e32 v1, vcc, v3, v1, vcc
	s_mov_b32 s8, 0
	s_mov_b32 s9, s20
.LBB164_45:                             ;   Parent Loop BB164_41 Depth=1
                                        ;     Parent Loop BB164_44 Depth=2
                                        ; =>    This Inner Loop Header: Depth=3
	global_load_dwordx2 v[4:5], v[0:1], off offset:-4
	v_mov_b32_e32 v8, s8
	s_add_i32 s9, s9, -1
	v_add_co_u32_e32 v0, vcc, -8, v0
	s_add_i32 s8, s8, 8
	v_addc_co_u32_e32 v1, vcc, -1, v1, vcc
	s_cmp_eq_u32 s9, 0
	s_waitcnt vmcnt(0)
	v_mul_f32_e32 v9, s17, v5
	v_mul_f32_e32 v5, s16, v5
	v_fma_f32 v9, v4, s16, -v9
	v_fmac_f32_e32 v5, s17, v4
	buffer_store_dword v9, v8, s[0:3], 0 offen
	buffer_store_dword v5, v8, s[0:3], 0 offen offset:4
	s_cbranch_scc0 .LBB164_45
; %bb.46:                               ;   in Loop: Header=BB164_44 Depth=2
	s_cmp_le_i32 s14, s6
	s_mov_b32 s10, s21
	s_mov_b32 s8, s14
	s_cbranch_scc1 .LBB164_50
.LBB164_47:                             ;   Parent Loop BB164_41 Depth=1
                                        ;     Parent Loop BB164_44 Depth=2
                                        ; =>    This Loop Header: Depth=3
                                        ;         Child Loop BB164_48 Depth 4
	s_ashr_i32 s9, s8, 31
	s_lshl_b64 s[12:13], s[8:9], 3
	v_mov_b32_e32 v1, s13
	v_add_co_u32_e32 v0, vcc, s12, v6
	v_addc_co_u32_e32 v1, vcc, v7, v1, vcc
	global_load_dwordx2 v[0:1], v[0:1], off
	s_mov_b32 s9, 0
	s_mov_b32 s11, s10
	s_mov_b32 s12, s20
.LBB164_48:                             ;   Parent Loop BB164_41 Depth=1
                                        ;     Parent Loop BB164_44 Depth=2
                                        ;       Parent Loop BB164_47 Depth=3
                                        ; =>      This Inner Loop Header: Depth=4
	v_mov_b32_e32 v8, s9
	buffer_load_dword v9, v8, s[0:3], 0 offen
	buffer_load_dword v10, v8, s[0:3], 0 offen offset:4
	v_mov_b32_e32 v4, s11
	ds_read_b64 v[4:5], v4
	s_add_i32 s12, s12, -1
	s_add_i32 s11, s11, -8
	s_add_i32 s9, s9, 8
	s_cmp_eq_u32 s12, 0
	s_waitcnt vmcnt(2) lgkmcnt(0)
	v_mul_f32_e32 v11, v5, v1
	v_mul_f32_e32 v5, v5, v0
	v_fma_f32 v11, v4, v0, -v11
	v_fmac_f32_e32 v5, v4, v1
	s_waitcnt vmcnt(1)
	v_sub_f32_e32 v4, v9, v11
	s_waitcnt vmcnt(0)
	v_sub_f32_e32 v5, v10, v5
	buffer_store_dword v4, v8, s[0:3], 0 offen
	buffer_store_dword v5, v8, s[0:3], 0 offen offset:4
	s_cbranch_scc0 .LBB164_48
; %bb.49:                               ;   in Loop: Header=BB164_47 Depth=3
	s_add_i32 s8, s8, -1
	s_addk_i32 s10, 0xff20
	s_cmp_le_i32 s8, s6
	s_cbranch_scc0 .LBB164_47
.LBB164_50:                             ;   in Loop: Header=BB164_44 Depth=2
	s_mov_b32 s25, 0
	s_mov_b32 s26, s23
	s_branch .LBB164_52
.LBB164_51:                             ;   in Loop: Header=BB164_52 Depth=3
	s_mulk_i32 s10, 0xe8
	v_mov_b32_e32 v4, s10
	ds_read_b64 v[4:5], v4
	s_lshl_b64 s[8:9], s[8:9], 3
	s_lshl_b32 s10, s25, 3
	s_add_i32 s25, s25, 1
	s_add_i32 s26, s26, -8
	s_waitcnt vmcnt(0) lgkmcnt(0)
	v_mul_f32_e32 v8, v5, v1
	v_mul_f32_e32 v9, v4, v1
	v_fma_f32 v8, v4, v0, -v8
	v_fmac_f32_e32 v9, v5, v0
	v_mov_b32_e32 v1, s9
	v_add_co_u32_e32 v0, vcc, s8, v6
	v_mov_b32_e32 v10, s10
	v_addc_co_u32_e32 v1, vcc, v7, v1, vcc
	s_cmp_eq_u32 s25, s20
	buffer_store_dword v8, v10, s[0:3], 0 offen
	buffer_store_dword v9, v10, s[0:3], 0 offen offset:4
	global_store_dwordx2 v[0:1], v[8:9], off
	s_cbranch_scc1 .LBB164_43
.LBB164_52:                             ;   Parent Loop BB164_41 Depth=1
                                        ;     Parent Loop BB164_44 Depth=2
                                        ; =>    This Loop Header: Depth=3
                                        ;         Child Loop BB164_54 Depth 4
	s_cmp_lg_u32 s25, 0
	s_cbranch_scc0 .LBB164_56
; %bb.53:                               ;   in Loop: Header=BB164_52 Depth=3
	s_lshl_b32 s8, s25, 3
	v_mov_b32_e32 v4, s8
	buffer_load_dword v0, v4, s[0:3], 0 offen
	buffer_load_dword v1, v4, s[0:3], 0 offen offset:4
	s_mov_b32 s8, 0
	s_mov_b32 s9, s26
	;; [unrolled: 1-line block ×3, first 2 shown]
.LBB164_54:                             ;   Parent Loop BB164_41 Depth=1
                                        ;     Parent Loop BB164_44 Depth=2
                                        ;       Parent Loop BB164_52 Depth=3
                                        ; =>      This Inner Loop Header: Depth=4
	v_mov_b32_e32 v5, s8
	buffer_load_dword v10, v5, s[0:3], 0 offen offset:4
	buffer_load_dword v11, v5, s[0:3], 0 offen
	v_mov_b32_e32 v5, s9
	ds_read_b64 v[8:9], v5
	s_add_i32 s10, s10, -1
	s_addk_i32 s9, 0xff20
	s_add_i32 s8, s8, 8
	s_cmp_eq_u32 s10, 0
	s_waitcnt vmcnt(1) lgkmcnt(0)
	v_mul_f32_e32 v5, v9, v10
	v_mul_f32_e32 v10, v8, v10
	s_waitcnt vmcnt(0)
	v_fma_f32 v5, v8, v11, -v5
	v_fmac_f32_e32 v10, v9, v11
	v_sub_f32_e32 v0, v0, v5
	v_sub_f32_e32 v1, v1, v10
	buffer_store_dword v0, v4, s[0:3], 0 offen
	buffer_store_dword v1, v4, s[0:3], 0 offen offset:4
	s_cbranch_scc0 .LBB164_54
; %bb.55:                               ;   in Loop: Header=BB164_52 Depth=3
	s_sub_i32 s10, s6, s25
	s_ashr_i32 s11, s10, 31
	s_mov_b64 s[8:9], s[10:11]
	s_branch .LBB164_51
.LBB164_56:                             ;   in Loop: Header=BB164_52 Depth=3
                                        ; implicit-def: $vgpr0
                                        ; implicit-def: $vgpr1
                                        ; implicit-def: $sgpr10
                                        ; implicit-def: $sgpr8_sgpr9
	s_cbranch_execz .LBB164_51
; %bb.57:                               ;   in Loop: Header=BB164_52 Depth=3
	buffer_load_dword v0, off, s[0:3], 0
	buffer_load_dword v1, off, s[0:3], 0 offset:4
	s_mov_b64 s[8:9], s[6:7]
	s_mov_b32 s10, s6
	s_branch .LBB164_51
.LBB164_58:
	s_endpgm
	.section	.rodata,"a",@progbits
	.p2align	6, 0x0
	.amdhsa_kernel _ZL30rocblas_trsm_small_left_deviceILi28ELi28ELb0E19rocblas_complex_numIfES1_PKS1_PS1_Ev13rocblas_fill_18rocblas_operation_17rocblas_diagonal_iiT3_T4_lilT5_lili
		.amdhsa_group_segment_fixed_size 6272
		.amdhsa_private_segment_fixed_size 240
		.amdhsa_kernarg_size 360
		.amdhsa_user_sgpr_count 6
		.amdhsa_user_sgpr_private_segment_buffer 1
		.amdhsa_user_sgpr_dispatch_ptr 0
		.amdhsa_user_sgpr_queue_ptr 0
		.amdhsa_user_sgpr_kernarg_segment_ptr 1
		.amdhsa_user_sgpr_dispatch_id 0
		.amdhsa_user_sgpr_flat_scratch_init 0
		.amdhsa_user_sgpr_private_segment_size 0
		.amdhsa_uses_dynamic_stack 0
		.amdhsa_system_sgpr_private_segment_wavefront_offset 1
		.amdhsa_system_sgpr_workgroup_id_x 1
		.amdhsa_system_sgpr_workgroup_id_y 0
		.amdhsa_system_sgpr_workgroup_id_z 1
		.amdhsa_system_sgpr_workgroup_info 0
		.amdhsa_system_vgpr_workitem_id 0
		.amdhsa_next_free_vgpr 65
		.amdhsa_next_free_sgpr 98
		.amdhsa_reserve_vcc 1
		.amdhsa_reserve_flat_scratch 0
		.amdhsa_float_round_mode_32 0
		.amdhsa_float_round_mode_16_64 0
		.amdhsa_float_denorm_mode_32 3
		.amdhsa_float_denorm_mode_16_64 3
		.amdhsa_dx10_clamp 1
		.amdhsa_ieee_mode 1
		.amdhsa_fp16_overflow 0
		.amdhsa_exception_fp_ieee_invalid_op 0
		.amdhsa_exception_fp_denorm_src 0
		.amdhsa_exception_fp_ieee_div_zero 0
		.amdhsa_exception_fp_ieee_overflow 0
		.amdhsa_exception_fp_ieee_underflow 0
		.amdhsa_exception_fp_ieee_inexact 0
		.amdhsa_exception_int_div_zero 0
	.end_amdhsa_kernel
	.section	.text._ZL30rocblas_trsm_small_left_deviceILi28ELi28ELb0E19rocblas_complex_numIfES1_PKS1_PS1_Ev13rocblas_fill_18rocblas_operation_17rocblas_diagonal_iiT3_T4_lilT5_lili,"axG",@progbits,_ZL30rocblas_trsm_small_left_deviceILi28ELi28ELb0E19rocblas_complex_numIfES1_PKS1_PS1_Ev13rocblas_fill_18rocblas_operation_17rocblas_diagonal_iiT3_T4_lilT5_lili,comdat
.Lfunc_end164:
	.size	_ZL30rocblas_trsm_small_left_deviceILi28ELi28ELb0E19rocblas_complex_numIfES1_PKS1_PS1_Ev13rocblas_fill_18rocblas_operation_17rocblas_diagonal_iiT3_T4_lilT5_lili, .Lfunc_end164-_ZL30rocblas_trsm_small_left_deviceILi28ELi28ELb0E19rocblas_complex_numIfES1_PKS1_PS1_Ev13rocblas_fill_18rocblas_operation_17rocblas_diagonal_iiT3_T4_lilT5_lili
                                        ; -- End function
	.set _ZL30rocblas_trsm_small_left_deviceILi28ELi28ELb0E19rocblas_complex_numIfES1_PKS1_PS1_Ev13rocblas_fill_18rocblas_operation_17rocblas_diagonal_iiT3_T4_lilT5_lili.num_vgpr, 17
	.set _ZL30rocblas_trsm_small_left_deviceILi28ELi28ELb0E19rocblas_complex_numIfES1_PKS1_PS1_Ev13rocblas_fill_18rocblas_operation_17rocblas_diagonal_iiT3_T4_lilT5_lili.num_agpr, 0
	.set _ZL30rocblas_trsm_small_left_deviceILi28ELi28ELb0E19rocblas_complex_numIfES1_PKS1_PS1_Ev13rocblas_fill_18rocblas_operation_17rocblas_diagonal_iiT3_T4_lilT5_lili.numbered_sgpr, 32
	.set _ZL30rocblas_trsm_small_left_deviceILi28ELi28ELb0E19rocblas_complex_numIfES1_PKS1_PS1_Ev13rocblas_fill_18rocblas_operation_17rocblas_diagonal_iiT3_T4_lilT5_lili.num_named_barrier, 0
	.set _ZL30rocblas_trsm_small_left_deviceILi28ELi28ELb0E19rocblas_complex_numIfES1_PKS1_PS1_Ev13rocblas_fill_18rocblas_operation_17rocblas_diagonal_iiT3_T4_lilT5_lili.private_seg_size, 240
	.set _ZL30rocblas_trsm_small_left_deviceILi28ELi28ELb0E19rocblas_complex_numIfES1_PKS1_PS1_Ev13rocblas_fill_18rocblas_operation_17rocblas_diagonal_iiT3_T4_lilT5_lili.uses_vcc, 1
	.set _ZL30rocblas_trsm_small_left_deviceILi28ELi28ELb0E19rocblas_complex_numIfES1_PKS1_PS1_Ev13rocblas_fill_18rocblas_operation_17rocblas_diagonal_iiT3_T4_lilT5_lili.uses_flat_scratch, 0
	.set _ZL30rocblas_trsm_small_left_deviceILi28ELi28ELb0E19rocblas_complex_numIfES1_PKS1_PS1_Ev13rocblas_fill_18rocblas_operation_17rocblas_diagonal_iiT3_T4_lilT5_lili.has_dyn_sized_stack, 0
	.set _ZL30rocblas_trsm_small_left_deviceILi28ELi28ELb0E19rocblas_complex_numIfES1_PKS1_PS1_Ev13rocblas_fill_18rocblas_operation_17rocblas_diagonal_iiT3_T4_lilT5_lili.has_recursion, 0
	.set _ZL30rocblas_trsm_small_left_deviceILi28ELi28ELb0E19rocblas_complex_numIfES1_PKS1_PS1_Ev13rocblas_fill_18rocblas_operation_17rocblas_diagonal_iiT3_T4_lilT5_lili.has_indirect_call, 0
	.section	.AMDGPU.csdata,"",@progbits
; Kernel info:
; codeLenInByte = 2540
; TotalNumSgprs: 36
; NumVgprs: 17
; ScratchSize: 240
; MemoryBound: 0
; FloatMode: 240
; IeeeMode: 1
; LDSByteSize: 6272 bytes/workgroup (compile time only)
; SGPRBlocks: 12
; VGPRBlocks: 16
; NumSGPRsForWavesPerEU: 102
; NumVGPRsForWavesPerEU: 65
; Occupancy: 3
; WaveLimiterHint : 0
; COMPUTE_PGM_RSRC2:SCRATCH_EN: 1
; COMPUTE_PGM_RSRC2:USER_SGPR: 6
; COMPUTE_PGM_RSRC2:TRAP_HANDLER: 0
; COMPUTE_PGM_RSRC2:TGID_X_EN: 1
; COMPUTE_PGM_RSRC2:TGID_Y_EN: 0
; COMPUTE_PGM_RSRC2:TGID_Z_EN: 1
; COMPUTE_PGM_RSRC2:TIDIG_COMP_CNT: 0
	.section	.text._ZL38rocblas_trsm_small_left_device_sharedBILi28ELi28ELb1E19rocblas_complex_numIfES1_PKS1_PS1_Ev13rocblas_fill_18rocblas_operation_17rocblas_diagonal_iiT3_T4_lilT5_lili,"axG",@progbits,_ZL38rocblas_trsm_small_left_device_sharedBILi28ELi28ELb1E19rocblas_complex_numIfES1_PKS1_PS1_Ev13rocblas_fill_18rocblas_operation_17rocblas_diagonal_iiT3_T4_lilT5_lili,comdat
	.globl	_ZL38rocblas_trsm_small_left_device_sharedBILi28ELi28ELb1E19rocblas_complex_numIfES1_PKS1_PS1_Ev13rocblas_fill_18rocblas_operation_17rocblas_diagonal_iiT3_T4_lilT5_lili ; -- Begin function _ZL38rocblas_trsm_small_left_device_sharedBILi28ELi28ELb1E19rocblas_complex_numIfES1_PKS1_PS1_Ev13rocblas_fill_18rocblas_operation_17rocblas_diagonal_iiT3_T4_lilT5_lili
	.p2align	8
	.type	_ZL38rocblas_trsm_small_left_device_sharedBILi28ELi28ELb1E19rocblas_complex_numIfES1_PKS1_PS1_Ev13rocblas_fill_18rocblas_operation_17rocblas_diagonal_iiT3_T4_lilT5_lili,@function
_ZL38rocblas_trsm_small_left_device_sharedBILi28ELi28ELb1E19rocblas_complex_numIfES1_PKS1_PS1_Ev13rocblas_fill_18rocblas_operation_17rocblas_diagonal_iiT3_T4_lilT5_lili: ; @_ZL38rocblas_trsm_small_left_device_sharedBILi28ELi28ELb1E19rocblas_complex_numIfES1_PKS1_PS1_Ev13rocblas_fill_18rocblas_operation_17rocblas_diagonal_iiT3_T4_lilT5_lili
; %bb.0:
	s_add_u32 s0, s0, s8
	s_load_dwordx4 s[12:15], s[4:5], 0x4
	s_load_dwordx2 s[18:19], s[4:5], 0x14
	s_load_dwordx4 s[8:11], s[4:5], 0x38
	s_load_dwordx2 s[16:17], s[4:5], 0x48
	s_load_dword s27, s[4:5], 0x68
	s_addc_u32 s1, s1, 0
	s_waitcnt lgkmcnt(0)
	s_min_i32 s26, s14, 28
	v_cmp_gt_i32_e32 vcc, s26, v0
	s_and_saveexec_b64 s[20:21], vcc
	s_cbranch_execz .LBB165_15
; %bb.1:
	s_load_dword s24, s[4:5], 0x30
	s_load_dwordx4 s[28:31], s[4:5], 0x20
	s_mul_i32 s9, s9, s7
	s_mul_hi_u32 s33, s8, s7
	s_mul_i32 s8, s8, s7
	s_waitcnt lgkmcnt(0)
	s_ashr_i32 s25, s24, 31
	s_cmpk_lg_i32 s12, 0x71
	s_cselect_b64 s[22:23], -1, 0
	s_add_i32 s9, s33, s9
	s_lshl_b64 s[8:9], s[8:9], 3
	s_lshl_b64 s[30:31], s[30:31], 3
	s_add_u32 s8, s8, s30
	s_addc_u32 s9, s9, s31
	s_add_u32 s8, s28, s8
	v_lshlrev_b32_e32 v5, 3, v0
	s_addc_u32 s9, s29, s9
	v_mov_b32_e32 v1, s9
	v_add_co_u32_e32 v2, vcc, s8, v5
	v_addc_co_u32_e32 v3, vcc, 0, v1, vcc
	v_add_co_u32_e32 v1, vcc, 4, v2
	s_lshl_b64 s[8:9], s[24:25], 3
	v_addc_co_u32_e32 v2, vcc, 0, v3, vcc
	v_mov_b32_e32 v6, s9
	v_mov_b32_e32 v7, v5
	s_mov_b32 s9, s26
	s_branch .LBB165_3
.LBB165_2:                              ;   in Loop: Header=BB165_3 Depth=1
	global_load_dword v3, v[1:2], off offset:-4
	s_add_i32 s9, s9, -1
	v_add_co_u32_e32 v1, vcc, s8, v1
	v_addc_co_u32_e32 v2, vcc, v2, v6, vcc
	s_cmp_eq_u32 s9, 0
	s_waitcnt vmcnt(0)
	ds_write_b64 v7, v[3:4]
	v_add_u32_e32 v7, 0xe0, v7
	s_cbranch_scc1 .LBB165_7
.LBB165_3:                              ; =>This Inner Loop Header: Depth=1
	s_mov_b64 s[24:25], -1
	s_and_b64 vcc, exec, s[22:23]
                                        ; implicit-def: $vgpr4
	s_cbranch_vccz .LBB165_5
; %bb.4:                                ;   in Loop: Header=BB165_3 Depth=1
	global_load_dword v4, v[1:2], off
	s_mov_b64 s[24:25], 0
.LBB165_5:                              ;   in Loop: Header=BB165_3 Depth=1
	s_andn2_b64 vcc, exec, s[24:25]
	s_cbranch_vccnz .LBB165_2
; %bb.6:                                ;   in Loop: Header=BB165_3 Depth=1
	global_load_dword v3, v[1:2], off
	s_waitcnt vmcnt(0)
	v_xor_b32_e32 v4, 0x80000000, v3
	s_branch .LBB165_2
.LBB165_7:
	v_mul_u32_u24_e32 v1, 0xe0, v0
	s_cmpk_lg_i32 s13, 0x84
	s_mov_b64 s[8:9], -1
	v_add_u32_e32 v5, v5, v1
	s_cbranch_scc0 .LBB165_13
; %bb.8:
	ds_read_b64 v[1:2], v5
                                        ; implicit-def: $vgpr3
	s_waitcnt lgkmcnt(0)
	v_cmp_ngt_f32_e64 s[8:9], |v1|, |v2|
	s_and_saveexec_b64 s[22:23], s[8:9]
	s_xor_b64 s[8:9], exec, s[22:23]
	s_cbranch_execz .LBB165_10
; %bb.9:
	v_div_scale_f32 v3, s[22:23], v2, v2, v1
	v_div_scale_f32 v4, vcc, v1, v2, v1
	v_rcp_f32_e32 v6, v3
	v_fma_f32 v7, -v3, v6, 1.0
	v_fmac_f32_e32 v6, v7, v6
	v_mul_f32_e32 v7, v4, v6
	v_fma_f32 v8, -v3, v7, v4
	v_fmac_f32_e32 v7, v8, v6
	v_fma_f32 v3, -v3, v7, v4
	v_div_fmas_f32 v3, v3, v6, v7
	v_div_fixup_f32 v3, v3, v2, v1
	v_fmac_f32_e32 v2, v1, v3
	v_div_scale_f32 v1, s[22:23], v2, v2, 1.0
	v_div_scale_f32 v4, vcc, 1.0, v2, 1.0
	v_rcp_f32_e32 v6, v1
	v_fma_f32 v7, -v1, v6, 1.0
	v_fmac_f32_e32 v6, v7, v6
	v_mul_f32_e32 v7, v4, v6
	v_fma_f32 v8, -v1, v7, v4
	v_fmac_f32_e32 v7, v8, v6
	v_fma_f32 v1, -v1, v7, v4
	v_div_fmas_f32 v1, v1, v6, v7
	v_add_f32_e32 v4, 0, v3
	v_fma_f32 v6, v3, 0, -1.0
	v_div_fixup_f32 v1, v1, v2, 1.0
	v_mul_f32_e32 v3, v4, v1
	v_mul_f32_e32 v4, v6, v1
                                        ; implicit-def: $vgpr1_vgpr2
.LBB165_10:
	s_andn2_saveexec_b64 s[8:9], s[8:9]
	s_cbranch_execz .LBB165_12
; %bb.11:
	v_div_scale_f32 v3, s[22:23], v1, v1, v2
	v_div_scale_f32 v4, vcc, v2, v1, v2
	v_rcp_f32_e32 v6, v3
	v_fma_f32 v7, -v3, v6, 1.0
	v_fmac_f32_e32 v6, v7, v6
	v_mul_f32_e32 v7, v4, v6
	v_fma_f32 v8, -v3, v7, v4
	v_fmac_f32_e32 v7, v8, v6
	v_fma_f32 v3, -v3, v7, v4
	v_div_fmas_f32 v3, v3, v6, v7
	v_div_fixup_f32 v4, v3, v1, v2
	v_fmac_f32_e32 v1, v2, v4
	v_div_scale_f32 v2, s[22:23], v1, v1, 1.0
	v_div_scale_f32 v3, vcc, 1.0, v1, 1.0
	v_rcp_f32_e32 v6, v2
	v_fma_f32 v7, -v2, v6, 1.0
	v_fmac_f32_e32 v6, v7, v6
	v_mul_f32_e32 v7, v3, v6
	v_fma_f32 v8, -v2, v7, v3
	v_fmac_f32_e32 v7, v8, v6
	v_fma_f32 v2, -v2, v7, v3
	v_div_fmas_f32 v2, v2, v6, v7
	v_fma_f32 v3, v4, 0, 1.0
	v_div_fixup_f32 v1, v2, v1, 1.0
	v_mul_f32_e32 v3, v3, v1
	v_mul_f32_e64 v4, -v4, v1
.LBB165_12:
	s_or_b64 exec, exec, s[8:9]
	s_mov_b64 s[8:9], 0
	ds_write_b64 v5, v[3:4]
.LBB165_13:
	s_and_b64 vcc, exec, s[8:9]
	s_cbranch_vccz .LBB165_15
; %bb.14:
	v_mov_b32_e32 v1, 1.0
	v_mov_b32_e32 v2, 0
	ds_write_b64 v5, v[1:2]
.LBB165_15:
	s_or_b64 exec, exec, s[20:21]
	s_load_dword s22, s[4:5], 0x50
	s_load_dwordx2 s[8:9], s[4:5], 0x58
	s_add_i32 s27, s27, -1
	s_waitcnt lgkmcnt(0)
	s_ashr_i32 s13, s22, 31
	s_mul_i32 s4, s9, s7
	s_mul_hi_u32 s5, s8, s7
	s_add_i32 s9, s5, s4
	s_mul_i32 s4, s6, 0xffffffe4
	s_add_i32 s4, s15, s4
	s_cmp_ge_u32 s6, s27
	s_mul_i32 s6, s6, 28
	s_mul_i32 s8, s8, s7
	s_cselect_b32 s4, s4, 28
	s_ashr_i32 s7, s6, 31
	s_cmp_gt_i32 s14, 0
	v_cmp_gt_i32_e64 s[4:5], s4, v0
	s_cselect_b64 s[14:15], -1, 0
	s_and_b64 s[24:25], s[4:5], s[14:15]
	s_and_saveexec_b64 s[20:21], s[24:25]
	s_cbranch_execz .LBB165_18
; %bb.16:
	v_lshlrev_b32_e32 v3, 3, v0
	s_lshl_b64 s[28:29], s[6:7], 3
	s_lshl_b64 s[24:25], s[8:9], 3
	v_mov_b32_e32 v1, s29
	v_add_co_u32_e32 v4, vcc, s28, v3
	s_lshl_b64 s[28:29], s[16:17], 3
	s_add_u32 s7, s10, s28
	s_addc_u32 s23, s11, s29
	s_add_u32 s24, s7, s24
	v_addc_co_u32_e32 v5, vcc, 0, v1, vcc
	s_addc_u32 s25, s23, s25
	v_mov_b32_e32 v1, s24
	v_mov_b32_e32 v2, s25
	v_mad_u64_u32 v[1:2], s[24:25], v4, s22, v[1:2]
	v_mul_lo_u32 v4, v4, s13
	v_mul_lo_u32 v5, v5, s22
	v_add_co_u32_e32 v1, vcc, 4, v1
	v_add_u32_e32 v3, 0x1880, v3
	v_add3_u32 v2, v5, v2, v4
	v_addc_co_u32_e32 v2, vcc, 0, v2, vcc
	s_mov_b32 s7, s26
.LBB165_17:                             ; =>This Inner Loop Header: Depth=1
	global_load_dwordx2 v[4:5], v[1:2], off offset:-4
	s_add_i32 s7, s7, -1
	v_add_co_u32_e32 v1, vcc, 8, v1
	v_addc_co_u32_e32 v2, vcc, 0, v2, vcc
	s_cmp_lg_u32 s7, 0
	s_waitcnt vmcnt(0)
	v_mul_f32_e32 v7, s19, v5
	v_mul_f32_e32 v6, s18, v5
	v_fma_f32 v5, s18, v4, -v7
	v_fmac_f32_e32 v6, s19, v4
	ds_write_b64 v3, v[5:6]
	v_add_u32_e32 v3, 0xe0, v3
	s_cbranch_scc1 .LBB165_17
.LBB165_18:
	s_or_b64 exec, exec, s[20:21]
	v_mov_b32_e32 v1, 0x1880
	s_cmpk_eq_i32 s12, 0x6f
	v_lshl_add_u32 v3, v0, 3, v1
	s_mov_b64 s[12:13], -1
	s_waitcnt lgkmcnt(0)
	; wave barrier
	s_cbranch_scc1 .LBB165_39
; %bb.19:
	s_add_i32 s7, s26, -1
	s_lshl_b32 s20, s26, 3
	s_mov_b32 s13, 0
	s_add_i32 s20, s20, -8
	s_mov_b32 s12, s13
	s_mov_b32 s21, s7
	s_branch .LBB165_21
.LBB165_20:                             ;   in Loop: Header=BB165_21 Depth=1
	s_cmp_lt_i32 s21, 0
	s_cselect_b64 s[18:19], -1, 0
	s_add_i32 s12, s12, 1
	s_cmp_eq_u32 s12, 3
	s_cselect_b64 s[24:25], -1, 0
	s_or_b64 s[18:19], s[18:19], s[24:25]
	s_andn2_b64 vcc, exec, s[18:19]
	s_cbranch_vccz .LBB165_38
.LBB165_21:                             ; =>This Loop Header: Depth=1
                                        ;     Child Loop BB165_24 Depth 2
                                        ;       Child Loop BB165_25 Depth 3
                                        ;       Child Loop BB165_27 Depth 3
                                        ;         Child Loop BB165_28 Depth 4
                                        ;       Child Loop BB165_32 Depth 3
                                        ;         Child Loop BB165_34 Depth 4
	s_lshl_b64 s[18:19], s[12:13], 2
	s_getpc_b64 s[24:25]
	s_add_u32 s24, s24, __const._ZL38rocblas_trsm_small_left_device_sharedBILi28ELi28ELb1E19rocblas_complex_numIfES1_PKS1_PS1_Ev13rocblas_fill_18rocblas_operation_17rocblas_diagonal_iiT3_T4_lilT5_lili.step_sizes@rel32@lo+4
	s_addc_u32 s25, s25, __const._ZL38rocblas_trsm_small_left_device_sharedBILi28ELi28ELb1E19rocblas_complex_numIfES1_PKS1_PS1_Ev13rocblas_fill_18rocblas_operation_17rocblas_diagonal_iiT3_T4_lilT5_lili.step_sizes@rel32@hi+12
	s_add_u32 s18, s24, s18
	s_addc_u32 s19, s25, s19
	s_load_dword s23, s[18:19], 0x0
	s_waitcnt lgkmcnt(0)
	s_add_i32 s24, s23, -1
	s_cmp_lt_i32 s21, s24
	s_cbranch_scc1 .LBB165_20
; %bb.22:                               ;   in Loop: Header=BB165_21 Depth=1
	s_mul_i32 s18, s21, 0xe0
	s_max_i32 s25, s23, 1
	v_add_u32_e32 v4, s18, v3
	s_mul_i32 s27, s23, 0xffffff20
	s_add_i32 s28, s20, s18
	s_mul_i32 s29, s21, 0xe8
	s_mul_i32 s30, s23, 0xffffff18
	s_branch .LBB165_24
.LBB165_23:                             ;   in Loop: Header=BB165_24 Depth=2
	s_sub_i32 s21, s21, s23
	s_add_i32 s28, s28, s27
	s_add_i32 s29, s29, s30
	s_cmp_lt_i32 s21, s24
	v_add_u32_e32 v4, s27, v4
	s_cbranch_scc1 .LBB165_20
.LBB165_24:                             ;   Parent Loop BB165_21 Depth=1
                                        ; =>  This Loop Header: Depth=2
                                        ;       Child Loop BB165_25 Depth 3
                                        ;       Child Loop BB165_27 Depth 3
                                        ;         Child Loop BB165_28 Depth 4
                                        ;       Child Loop BB165_32 Depth 3
                                        ;         Child Loop BB165_34 Depth 4
	s_mov_b32 s18, 0
	v_mov_b32_e32 v1, v4
	s_mov_b32 s19, s25
.LBB165_25:                             ;   Parent Loop BB165_21 Depth=1
                                        ;     Parent Loop BB165_24 Depth=2
                                        ; =>    This Inner Loop Header: Depth=3
	ds_read_b64 v[5:6], v1
	v_mov_b32_e32 v2, s18
	s_add_i32 s19, s19, -1
	s_add_i32 s18, s18, 8
	v_add_u32_e32 v1, 0xffffff20, v1
	s_cmp_eq_u32 s19, 0
	s_waitcnt lgkmcnt(0)
	buffer_store_dword v6, v2, s[0:3], 0 offen offset:4
	buffer_store_dword v5, v2, s[0:3], 0 offen
	s_cbranch_scc0 .LBB165_25
; %bb.26:                               ;   in Loop: Header=BB165_24 Depth=2
	s_cmp_le_i32 s7, s21
	s_mov_b32 s18, s28
	s_mov_b32 s19, s7
	s_cbranch_scc1 .LBB165_30
.LBB165_27:                             ;   Parent Loop BB165_21 Depth=1
                                        ;     Parent Loop BB165_24 Depth=2
                                        ; =>    This Loop Header: Depth=3
                                        ;         Child Loop BB165_28 Depth 4
	s_mul_i32 s31, s19, 0xe0
	v_add_u32_e32 v1, s31, v3
	ds_read_b64 v[1:2], v1
	s_mov_b32 s31, 0
	s_mov_b32 s33, s18
	;; [unrolled: 1-line block ×3, first 2 shown]
.LBB165_28:                             ;   Parent Loop BB165_21 Depth=1
                                        ;     Parent Loop BB165_24 Depth=2
                                        ;       Parent Loop BB165_27 Depth=3
                                        ; =>      This Inner Loop Header: Depth=4
	v_mov_b32_e32 v7, s31
	buffer_load_dword v8, v7, s[0:3], 0 offen
	buffer_load_dword v9, v7, s[0:3], 0 offen offset:4
	v_mov_b32_e32 v5, s33
	ds_read_b64 v[5:6], v5
	s_add_i32 s34, s34, -1
	s_addk_i32 s33, 0xff20
	s_add_i32 s31, s31, 8
	s_cmp_eq_u32 s34, 0
	s_waitcnt lgkmcnt(0)
	v_mul_f32_e32 v10, v6, v2
	v_mul_f32_e32 v6, v6, v1
	v_fma_f32 v10, v5, v1, -v10
	v_fmac_f32_e32 v6, v5, v2
	s_waitcnt vmcnt(1)
	v_sub_f32_e32 v5, v8, v10
	s_waitcnt vmcnt(0)
	v_sub_f32_e32 v6, v9, v6
	buffer_store_dword v5, v7, s[0:3], 0 offen
	buffer_store_dword v6, v7, s[0:3], 0 offen offset:4
	s_cbranch_scc0 .LBB165_28
; %bb.29:                               ;   in Loop: Header=BB165_27 Depth=3
	s_add_i32 s19, s19, -1
	s_add_i32 s18, s18, -8
	s_cmp_le_i32 s19, s21
	s_cbranch_scc0 .LBB165_27
.LBB165_30:                             ;   in Loop: Header=BB165_24 Depth=2
	s_mul_i32 s31, s21, 0xe0
	s_mov_b32 s33, 0
	s_mov_b32 s34, s29
	s_branch .LBB165_32
.LBB165_31:                             ;   in Loop: Header=BB165_32 Depth=3
	s_mul_i32 s18, s36, 0xe8
	v_mov_b32_e32 v5, s18
	ds_read_b64 v[5:6], v5
	s_lshl_b32 s18, s33, 3
	s_add_i32 s33, s33, 1
	s_addk_i32 s34, 0xff20
	v_mov_b32_e32 v9, s18
	s_waitcnt vmcnt(0) lgkmcnt(0)
	v_mul_f32_e32 v7, v6, v2
	v_mul_f32_e32 v8, v5, v2
	v_fma_f32 v7, v5, v1, -v7
	v_fmac_f32_e32 v8, v6, v1
	v_add_u32_e32 v1, s35, v3
	s_cmp_eq_u32 s33, s25
	buffer_store_dword v7, v9, s[0:3], 0 offen
	buffer_store_dword v8, v9, s[0:3], 0 offen offset:4
	ds_write_b64 v1, v[7:8]
	s_cbranch_scc1 .LBB165_23
.LBB165_32:                             ;   Parent Loop BB165_21 Depth=1
                                        ;     Parent Loop BB165_24 Depth=2
                                        ; =>    This Loop Header: Depth=3
                                        ;         Child Loop BB165_34 Depth 4
	s_cmp_lg_u32 s33, 0
	s_cbranch_scc0 .LBB165_36
; %bb.33:                               ;   in Loop: Header=BB165_32 Depth=3
	s_lshl_b32 s18, s33, 3
	v_mov_b32_e32 v5, s18
	buffer_load_dword v1, v5, s[0:3], 0 offen
	buffer_load_dword v2, v5, s[0:3], 0 offen offset:4
	s_sub_i32 s36, s21, s33
	s_mul_i32 s35, s36, 0xe0
	s_mov_b32 s18, 0
	s_mov_b32 s19, s34
	;; [unrolled: 1-line block ×3, first 2 shown]
.LBB165_34:                             ;   Parent Loop BB165_21 Depth=1
                                        ;     Parent Loop BB165_24 Depth=2
                                        ;       Parent Loop BB165_32 Depth=3
                                        ; =>      This Inner Loop Header: Depth=4
	v_mov_b32_e32 v6, s18
	buffer_load_dword v8, v6, s[0:3], 0 offen offset:4
	buffer_load_dword v9, v6, s[0:3], 0 offen
	v_mov_b32_e32 v6, s19
	ds_read_b64 v[6:7], v6
	s_add_i32 s37, s37, -1
	s_add_i32 s19, s19, -8
	s_add_i32 s18, s18, 8
	s_cmp_eq_u32 s37, 0
	s_waitcnt vmcnt(1) lgkmcnt(0)
	v_mul_f32_e32 v10, v7, v8
	v_mul_f32_e32 v8, v6, v8
	s_waitcnt vmcnt(0)
	v_fma_f32 v6, v6, v9, -v10
	v_fmac_f32_e32 v8, v7, v9
	v_sub_f32_e32 v1, v1, v6
	v_sub_f32_e32 v2, v2, v8
	buffer_store_dword v1, v5, s[0:3], 0 offen
	buffer_store_dword v2, v5, s[0:3], 0 offen offset:4
	s_cbranch_scc0 .LBB165_34
; %bb.35:                               ;   in Loop: Header=BB165_32 Depth=3
	s_branch .LBB165_31
.LBB165_36:                             ;   in Loop: Header=BB165_32 Depth=3
                                        ; implicit-def: $vgpr1
                                        ; implicit-def: $vgpr2
                                        ; implicit-def: $sgpr36
                                        ; implicit-def: $sgpr35
	s_cbranch_execz .LBB165_31
; %bb.37:                               ;   in Loop: Header=BB165_32 Depth=3
	buffer_load_dword v1, off, s[0:3], 0
	buffer_load_dword v2, off, s[0:3], 0 offset:4
	s_mov_b32 s35, s31
	s_mov_b32 s36, s21
	s_branch .LBB165_31
.LBB165_38:
	s_mov_b64 s[12:13], 0
.LBB165_39:
	s_and_b64 vcc, exec, s[12:13]
	s_cbranch_vccz .LBB165_60
; %bb.40:
	v_mov_b32_e32 v1, 0x1880
	s_mov_b32 s13, 0
	v_lshl_add_u32 v4, v0, 3, v1
	s_mov_b32 s12, s13
	s_mov_b32 s7, s13
	s_branch .LBB165_42
.LBB165_41:                             ;   in Loop: Header=BB165_42 Depth=1
	s_cmp_ge_i32 s7, s26
	s_cselect_b64 s[18:19], -1, 0
	s_add_i32 s12, s12, 1
	s_cmp_eq_u32 s12, 3
	s_cselect_b64 s[20:21], -1, 0
	s_or_b64 s[18:19], s[18:19], s[20:21]
	s_and_b64 vcc, exec, s[18:19]
	s_cbranch_vccnz .LBB165_60
.LBB165_42:                             ; =>This Loop Header: Depth=1
                                        ;     Child Loop BB165_45 Depth 2
                                        ;       Child Loop BB165_46 Depth 3
                                        ;       Child Loop BB165_49 Depth 3
                                        ;         Child Loop BB165_50 Depth 4
                                        ;       Child Loop BB165_54 Depth 3
                                        ;         Child Loop BB165_56 Depth 4
	s_lshl_b64 s[18:19], s[12:13], 2
	s_getpc_b64 s[20:21]
	s_add_u32 s20, s20, __const._ZL38rocblas_trsm_small_left_device_sharedBILi28ELi28ELb1E19rocblas_complex_numIfES1_PKS1_PS1_Ev13rocblas_fill_18rocblas_operation_17rocblas_diagonal_iiT3_T4_lilT5_lili.step_sizes@rel32@lo+4
	s_addc_u32 s21, s21, __const._ZL38rocblas_trsm_small_left_device_sharedBILi28ELi28ELb1E19rocblas_complex_numIfES1_PKS1_PS1_Ev13rocblas_fill_18rocblas_operation_17rocblas_diagonal_iiT3_T4_lilT5_lili.step_sizes@rel32@hi+12
	s_add_u32 s18, s20, s18
	s_addc_u32 s19, s21, s19
	s_load_dword s20, s[18:19], 0x0
	s_waitcnt lgkmcnt(0)
	s_add_i32 s21, s20, -1
	s_add_i32 s18, s21, s7
	s_cmp_ge_i32 s18, s26
	s_cbranch_scc1 .LBB165_41
; %bb.43:                               ;   in Loop: Header=BB165_42 Depth=1
	s_mul_i32 s18, s7, 0xe0
	s_max_i32 s23, s20, 1
	v_add_u32_e32 v5, s18, v4
	s_mul_i32 s24, s20, 0xe0
	s_lshl_b32 s25, s7, 3
	s_lshl_b32 s27, s20, 3
	s_mul_i32 s28, s7, 0xe8
	s_mul_i32 s29, s20, 0xe8
	s_branch .LBB165_45
.LBB165_44:                             ;   in Loop: Header=BB165_45 Depth=2
	s_add_i32 s7, s7, s20
	s_add_i32 s18, s21, s7
	;; [unrolled: 1-line block ×4, first 2 shown]
	s_cmp_ge_i32 s18, s26
	v_add_u32_e32 v5, s24, v5
	s_cbranch_scc1 .LBB165_41
.LBB165_45:                             ;   Parent Loop BB165_42 Depth=1
                                        ; =>  This Loop Header: Depth=2
                                        ;       Child Loop BB165_46 Depth 3
                                        ;       Child Loop BB165_49 Depth 3
                                        ;         Child Loop BB165_50 Depth 4
                                        ;       Child Loop BB165_54 Depth 3
                                        ;         Child Loop BB165_56 Depth 4
	s_mov_b32 s18, 0
	v_mov_b32_e32 v1, v5
	s_mov_b32 s19, s23
.LBB165_46:                             ;   Parent Loop BB165_42 Depth=1
                                        ;     Parent Loop BB165_45 Depth=2
                                        ; =>    This Inner Loop Header: Depth=3
	ds_read_b64 v[6:7], v1
	v_mov_b32_e32 v2, s18
	s_add_i32 s19, s19, -1
	s_add_i32 s18, s18, 8
	v_add_u32_e32 v1, 0xe0, v1
	s_cmp_eq_u32 s19, 0
	s_waitcnt lgkmcnt(0)
	buffer_store_dword v7, v2, s[0:3], 0 offen offset:4
	buffer_store_dword v6, v2, s[0:3], 0 offen
	s_cbranch_scc0 .LBB165_46
; %bb.47:                               ;   in Loop: Header=BB165_45 Depth=2
	s_cmp_lt_i32 s7, 1
	s_cbranch_scc1 .LBB165_52
; %bb.48:                               ;   in Loop: Header=BB165_45 Depth=2
	s_mov_b32 s18, 0
	s_mov_b32 s19, s25
.LBB165_49:                             ;   Parent Loop BB165_42 Depth=1
                                        ;     Parent Loop BB165_45 Depth=2
                                        ; =>    This Loop Header: Depth=3
                                        ;         Child Loop BB165_50 Depth 4
	s_mul_i32 s30, s18, 0xe0
	v_add_u32_e32 v1, s30, v3
	ds_read_b64 v[1:2], v1
	s_mov_b32 s30, 0
	s_mov_b32 s31, s19
	;; [unrolled: 1-line block ×3, first 2 shown]
.LBB165_50:                             ;   Parent Loop BB165_42 Depth=1
                                        ;     Parent Loop BB165_45 Depth=2
                                        ;       Parent Loop BB165_49 Depth=3
                                        ; =>      This Inner Loop Header: Depth=4
	v_mov_b32_e32 v8, s30
	buffer_load_dword v9, v8, s[0:3], 0 offen
	buffer_load_dword v10, v8, s[0:3], 0 offen offset:4
	v_mov_b32_e32 v6, s31
	ds_read_b64 v[6:7], v6
	s_add_i32 s33, s33, -1
	s_add_i32 s31, s31, 8
	s_add_i32 s30, s30, 8
	s_cmp_eq_u32 s33, 0
	s_waitcnt lgkmcnt(0)
	v_mul_f32_e32 v11, v7, v2
	v_mul_f32_e32 v7, v7, v1
	v_fma_f32 v11, v6, v1, -v11
	v_fmac_f32_e32 v7, v6, v2
	s_waitcnt vmcnt(1)
	v_sub_f32_e32 v6, v9, v11
	s_waitcnt vmcnt(0)
	v_sub_f32_e32 v7, v10, v7
	buffer_store_dword v6, v8, s[0:3], 0 offen
	buffer_store_dword v7, v8, s[0:3], 0 offen offset:4
	s_cbranch_scc0 .LBB165_50
; %bb.51:                               ;   in Loop: Header=BB165_49 Depth=3
	s_add_i32 s18, s18, 1
	s_addk_i32 s19, 0xe0
	s_cmp_eq_u32 s18, s7
	s_cbranch_scc0 .LBB165_49
.LBB165_52:                             ;   in Loop: Header=BB165_45 Depth=2
	s_mov_b32 s30, 0
	s_mov_b32 s31, s28
	s_branch .LBB165_54
.LBB165_53:                             ;   in Loop: Header=BB165_54 Depth=3
	s_add_i32 s18, s30, s7
	s_mul_i32 s19, s18, 0xe8
	v_mov_b32_e32 v6, s19
	ds_read_b64 v[6:7], v6
	s_lshl_b32 s19, s30, 3
	s_mulk_i32 s18, 0xe0
	s_add_i32 s30, s30, 1
	s_add_i32 s31, s31, 8
	s_waitcnt vmcnt(0) lgkmcnt(0)
	v_mul_f32_e32 v8, v7, v2
	v_mul_f32_e32 v9, v6, v2
	v_mov_b32_e32 v10, s19
	v_fma_f32 v8, v6, v1, -v8
	v_fmac_f32_e32 v9, v7, v1
	v_add_u32_e32 v1, s18, v3
	s_cmp_eq_u32 s30, s23
	buffer_store_dword v8, v10, s[0:3], 0 offen
	buffer_store_dword v9, v10, s[0:3], 0 offen offset:4
	ds_write_b64 v1, v[8:9]
	s_cbranch_scc1 .LBB165_44
.LBB165_54:                             ;   Parent Loop BB165_42 Depth=1
                                        ;     Parent Loop BB165_45 Depth=2
                                        ; =>    This Loop Header: Depth=3
                                        ;         Child Loop BB165_56 Depth 4
	s_cmp_lg_u32 s30, 0
	s_cbranch_scc0 .LBB165_58
; %bb.55:                               ;   in Loop: Header=BB165_54 Depth=3
	s_lshl_b32 s18, s30, 3
	v_mov_b32_e32 v6, s18
	buffer_load_dword v1, v6, s[0:3], 0 offen
	buffer_load_dword v2, v6, s[0:3], 0 offen offset:4
	s_mov_b32 s18, 0
	s_mov_b32 s19, s31
	;; [unrolled: 1-line block ×3, first 2 shown]
.LBB165_56:                             ;   Parent Loop BB165_42 Depth=1
                                        ;     Parent Loop BB165_45 Depth=2
                                        ;       Parent Loop BB165_54 Depth=3
                                        ; =>      This Inner Loop Header: Depth=4
	v_mov_b32_e32 v7, s18
	buffer_load_dword v9, v7, s[0:3], 0 offen offset:4
	buffer_load_dword v10, v7, s[0:3], 0 offen
	v_mov_b32_e32 v7, s19
	ds_read_b64 v[7:8], v7
	s_add_i32 s33, s33, -1
	s_addk_i32 s19, 0xe0
	s_add_i32 s18, s18, 8
	s_cmp_eq_u32 s33, 0
	s_waitcnt vmcnt(1) lgkmcnt(0)
	v_mul_f32_e32 v11, v8, v9
	v_mul_f32_e32 v9, v7, v9
	s_waitcnt vmcnt(0)
	v_fma_f32 v7, v7, v10, -v11
	v_fmac_f32_e32 v9, v8, v10
	v_sub_f32_e32 v1, v1, v7
	v_sub_f32_e32 v2, v2, v9
	buffer_store_dword v1, v6, s[0:3], 0 offen
	buffer_store_dword v2, v6, s[0:3], 0 offen offset:4
	s_cbranch_scc0 .LBB165_56
; %bb.57:                               ;   in Loop: Header=BB165_54 Depth=3
	s_branch .LBB165_53
.LBB165_58:                             ;   in Loop: Header=BB165_54 Depth=3
                                        ; implicit-def: $vgpr1
                                        ; implicit-def: $vgpr2
	s_cbranch_execz .LBB165_53
; %bb.59:                               ;   in Loop: Header=BB165_54 Depth=3
	buffer_load_dword v1, off, s[0:3], 0
	buffer_load_dword v2, off, s[0:3], 0 offset:4
	s_branch .LBB165_53
.LBB165_60:
	s_waitcnt lgkmcnt(0)
	; wave barrier
	s_and_saveexec_b64 s[12:13], s[4:5]
	s_cbranch_execz .LBB165_64
; %bb.61:
	s_andn2_b64 vcc, exec, s[14:15]
	s_cbranch_vccnz .LBB165_64
; %bb.62:
	s_lshl_b64 s[4:5], s[8:9], 3
	s_add_u32 s7, s10, s4
	s_addc_u32 s8, s11, s5
	s_lshl_b64 s[4:5], s[16:17], 3
	s_add_u32 s9, s7, s4
	s_addc_u32 s8, s8, s5
	s_mul_hi_i32 s5, s22, s6
	s_mul_i32 s4, s22, s6
	v_mad_i64_i32 v[1:2], s[6:7], s22, v0, 0
	s_lshl_b64 s[4:5], s[4:5], 3
	s_add_u32 s4, s9, s4
	v_lshlrev_b64 v[1:2], 3, v[1:2]
	s_addc_u32 s5, s8, s5
	v_mov_b32_e32 v3, s5
	v_add_co_u32_e32 v1, vcc, s4, v1
	v_addc_co_u32_e32 v2, vcc, v3, v2, vcc
	v_mov_b32_e32 v3, 0x1880
	v_lshl_add_u32 v0, v0, 3, v3
.LBB165_63:                             ; =>This Inner Loop Header: Depth=1
	ds_read_b64 v[3:4], v0
	s_add_i32 s26, s26, -1
	v_add_u32_e32 v0, 0xe0, v0
	s_cmp_lg_u32 s26, 0
	s_waitcnt lgkmcnt(0)
	global_store_dwordx2 v[1:2], v[3:4], off
	v_add_co_u32_e32 v1, vcc, 8, v1
	v_addc_co_u32_e32 v2, vcc, 0, v2, vcc
	s_cbranch_scc1 .LBB165_63
.LBB165_64:
	s_endpgm
	.section	.rodata,"a",@progbits
	.p2align	6, 0x0
	.amdhsa_kernel _ZL38rocblas_trsm_small_left_device_sharedBILi28ELi28ELb1E19rocblas_complex_numIfES1_PKS1_PS1_Ev13rocblas_fill_18rocblas_operation_17rocblas_diagonal_iiT3_T4_lilT5_lili
		.amdhsa_group_segment_fixed_size 12544
		.amdhsa_private_segment_fixed_size 240
		.amdhsa_kernarg_size 360
		.amdhsa_user_sgpr_count 6
		.amdhsa_user_sgpr_private_segment_buffer 1
		.amdhsa_user_sgpr_dispatch_ptr 0
		.amdhsa_user_sgpr_queue_ptr 0
		.amdhsa_user_sgpr_kernarg_segment_ptr 1
		.amdhsa_user_sgpr_dispatch_id 0
		.amdhsa_user_sgpr_flat_scratch_init 0
		.amdhsa_user_sgpr_private_segment_size 0
		.amdhsa_uses_dynamic_stack 0
		.amdhsa_system_sgpr_private_segment_wavefront_offset 1
		.amdhsa_system_sgpr_workgroup_id_x 1
		.amdhsa_system_sgpr_workgroup_id_y 0
		.amdhsa_system_sgpr_workgroup_id_z 1
		.amdhsa_system_sgpr_workgroup_info 0
		.amdhsa_system_vgpr_workitem_id 0
		.amdhsa_next_free_vgpr 85
		.amdhsa_next_free_sgpr 98
		.amdhsa_reserve_vcc 1
		.amdhsa_reserve_flat_scratch 0
		.amdhsa_float_round_mode_32 0
		.amdhsa_float_round_mode_16_64 0
		.amdhsa_float_denorm_mode_32 3
		.amdhsa_float_denorm_mode_16_64 3
		.amdhsa_dx10_clamp 1
		.amdhsa_ieee_mode 1
		.amdhsa_fp16_overflow 0
		.amdhsa_exception_fp_ieee_invalid_op 0
		.amdhsa_exception_fp_denorm_src 0
		.amdhsa_exception_fp_ieee_div_zero 0
		.amdhsa_exception_fp_ieee_overflow 0
		.amdhsa_exception_fp_ieee_underflow 0
		.amdhsa_exception_fp_ieee_inexact 0
		.amdhsa_exception_int_div_zero 0
	.end_amdhsa_kernel
	.section	.text._ZL38rocblas_trsm_small_left_device_sharedBILi28ELi28ELb1E19rocblas_complex_numIfES1_PKS1_PS1_Ev13rocblas_fill_18rocblas_operation_17rocblas_diagonal_iiT3_T4_lilT5_lili,"axG",@progbits,_ZL38rocblas_trsm_small_left_device_sharedBILi28ELi28ELb1E19rocblas_complex_numIfES1_PKS1_PS1_Ev13rocblas_fill_18rocblas_operation_17rocblas_diagonal_iiT3_T4_lilT5_lili,comdat
.Lfunc_end165:
	.size	_ZL38rocblas_trsm_small_left_device_sharedBILi28ELi28ELb1E19rocblas_complex_numIfES1_PKS1_PS1_Ev13rocblas_fill_18rocblas_operation_17rocblas_diagonal_iiT3_T4_lilT5_lili, .Lfunc_end165-_ZL38rocblas_trsm_small_left_device_sharedBILi28ELi28ELb1E19rocblas_complex_numIfES1_PKS1_PS1_Ev13rocblas_fill_18rocblas_operation_17rocblas_diagonal_iiT3_T4_lilT5_lili
                                        ; -- End function
	.set _ZL38rocblas_trsm_small_left_device_sharedBILi28ELi28ELb1E19rocblas_complex_numIfES1_PKS1_PS1_Ev13rocblas_fill_18rocblas_operation_17rocblas_diagonal_iiT3_T4_lilT5_lili.num_vgpr, 12
	.set _ZL38rocblas_trsm_small_left_device_sharedBILi28ELi28ELb1E19rocblas_complex_numIfES1_PKS1_PS1_Ev13rocblas_fill_18rocblas_operation_17rocblas_diagonal_iiT3_T4_lilT5_lili.num_agpr, 0
	.set _ZL38rocblas_trsm_small_left_device_sharedBILi28ELi28ELb1E19rocblas_complex_numIfES1_PKS1_PS1_Ev13rocblas_fill_18rocblas_operation_17rocblas_diagonal_iiT3_T4_lilT5_lili.numbered_sgpr, 38
	.set _ZL38rocblas_trsm_small_left_device_sharedBILi28ELi28ELb1E19rocblas_complex_numIfES1_PKS1_PS1_Ev13rocblas_fill_18rocblas_operation_17rocblas_diagonal_iiT3_T4_lilT5_lili.num_named_barrier, 0
	.set _ZL38rocblas_trsm_small_left_device_sharedBILi28ELi28ELb1E19rocblas_complex_numIfES1_PKS1_PS1_Ev13rocblas_fill_18rocblas_operation_17rocblas_diagonal_iiT3_T4_lilT5_lili.private_seg_size, 240
	.set _ZL38rocblas_trsm_small_left_device_sharedBILi28ELi28ELb1E19rocblas_complex_numIfES1_PKS1_PS1_Ev13rocblas_fill_18rocblas_operation_17rocblas_diagonal_iiT3_T4_lilT5_lili.uses_vcc, 1
	.set _ZL38rocblas_trsm_small_left_device_sharedBILi28ELi28ELb1E19rocblas_complex_numIfES1_PKS1_PS1_Ev13rocblas_fill_18rocblas_operation_17rocblas_diagonal_iiT3_T4_lilT5_lili.uses_flat_scratch, 0
	.set _ZL38rocblas_trsm_small_left_device_sharedBILi28ELi28ELb1E19rocblas_complex_numIfES1_PKS1_PS1_Ev13rocblas_fill_18rocblas_operation_17rocblas_diagonal_iiT3_T4_lilT5_lili.has_dyn_sized_stack, 0
	.set _ZL38rocblas_trsm_small_left_device_sharedBILi28ELi28ELb1E19rocblas_complex_numIfES1_PKS1_PS1_Ev13rocblas_fill_18rocblas_operation_17rocblas_diagonal_iiT3_T4_lilT5_lili.has_recursion, 0
	.set _ZL38rocblas_trsm_small_left_device_sharedBILi28ELi28ELb1E19rocblas_complex_numIfES1_PKS1_PS1_Ev13rocblas_fill_18rocblas_operation_17rocblas_diagonal_iiT3_T4_lilT5_lili.has_indirect_call, 0
	.section	.AMDGPU.csdata,"",@progbits
; Kernel info:
; codeLenInByte = 2688
; TotalNumSgprs: 42
; NumVgprs: 12
; ScratchSize: 240
; MemoryBound: 0
; FloatMode: 240
; IeeeMode: 1
; LDSByteSize: 12544 bytes/workgroup (compile time only)
; SGPRBlocks: 12
; VGPRBlocks: 21
; NumSGPRsForWavesPerEU: 102
; NumVGPRsForWavesPerEU: 85
; Occupancy: 2
; WaveLimiterHint : 0
; COMPUTE_PGM_RSRC2:SCRATCH_EN: 1
; COMPUTE_PGM_RSRC2:USER_SGPR: 6
; COMPUTE_PGM_RSRC2:TRAP_HANDLER: 0
; COMPUTE_PGM_RSRC2:TGID_X_EN: 1
; COMPUTE_PGM_RSRC2:TGID_Y_EN: 0
; COMPUTE_PGM_RSRC2:TGID_Z_EN: 1
; COMPUTE_PGM_RSRC2:TIDIG_COMP_CNT: 0
	.section	.text._ZL30rocblas_trsm_small_left_deviceILi28ELi28ELb1E19rocblas_complex_numIfES1_PKS1_PS1_Ev13rocblas_fill_18rocblas_operation_17rocblas_diagonal_iiT3_T4_lilT5_lili,"axG",@progbits,_ZL30rocblas_trsm_small_left_deviceILi28ELi28ELb1E19rocblas_complex_numIfES1_PKS1_PS1_Ev13rocblas_fill_18rocblas_operation_17rocblas_diagonal_iiT3_T4_lilT5_lili,comdat
	.globl	_ZL30rocblas_trsm_small_left_deviceILi28ELi28ELb1E19rocblas_complex_numIfES1_PKS1_PS1_Ev13rocblas_fill_18rocblas_operation_17rocblas_diagonal_iiT3_T4_lilT5_lili ; -- Begin function _ZL30rocblas_trsm_small_left_deviceILi28ELi28ELb1E19rocblas_complex_numIfES1_PKS1_PS1_Ev13rocblas_fill_18rocblas_operation_17rocblas_diagonal_iiT3_T4_lilT5_lili
	.p2align	8
	.type	_ZL30rocblas_trsm_small_left_deviceILi28ELi28ELb1E19rocblas_complex_numIfES1_PKS1_PS1_Ev13rocblas_fill_18rocblas_operation_17rocblas_diagonal_iiT3_T4_lilT5_lili,@function
_ZL30rocblas_trsm_small_left_deviceILi28ELi28ELb1E19rocblas_complex_numIfES1_PKS1_PS1_Ev13rocblas_fill_18rocblas_operation_17rocblas_diagonal_iiT3_T4_lilT5_lili: ; @_ZL30rocblas_trsm_small_left_deviceILi28ELi28ELb1E19rocblas_complex_numIfES1_PKS1_PS1_Ev13rocblas_fill_18rocblas_operation_17rocblas_diagonal_iiT3_T4_lilT5_lili
; %bb.0:
	s_add_u32 s0, s0, s8
	s_load_dwordx4 s[12:15], s[4:5], 0x4
	s_load_dwordx2 s[16:17], s[4:5], 0x14
	s_load_dwordx4 s[8:11], s[4:5], 0x38
	s_load_dwordx2 s[18:19], s[4:5], 0x48
	s_load_dword s27, s[4:5], 0x68
	s_addc_u32 s1, s1, 0
	s_waitcnt lgkmcnt(0)
	s_min_i32 s26, s14, 28
	v_cmp_gt_i32_e32 vcc, s26, v0
	s_and_saveexec_b64 s[20:21], vcc
	s_cbranch_execz .LBB166_15
; %bb.1:
	s_load_dword s24, s[4:5], 0x30
	s_load_dwordx4 s[28:31], s[4:5], 0x20
	s_mul_i32 s9, s9, s7
	s_mul_hi_u32 s14, s8, s7
	s_mul_i32 s8, s8, s7
	s_waitcnt lgkmcnt(0)
	s_ashr_i32 s25, s24, 31
	s_cmpk_lg_i32 s12, 0x71
	s_cselect_b64 s[22:23], -1, 0
	s_add_i32 s9, s14, s9
	s_lshl_b64 s[8:9], s[8:9], 3
	s_lshl_b64 s[30:31], s[30:31], 3
	s_add_u32 s8, s8, s30
	s_addc_u32 s9, s9, s31
	s_add_u32 s8, s28, s8
	v_lshlrev_b32_e32 v5, 3, v0
	s_addc_u32 s9, s29, s9
	v_mov_b32_e32 v1, s9
	v_add_co_u32_e32 v2, vcc, s8, v5
	v_addc_co_u32_e32 v3, vcc, 0, v1, vcc
	v_add_co_u32_e32 v1, vcc, 4, v2
	s_lshl_b64 s[8:9], s[24:25], 3
	v_addc_co_u32_e32 v2, vcc, 0, v3, vcc
	v_mov_b32_e32 v6, s9
	v_mov_b32_e32 v7, v5
	s_mov_b32 s9, s26
	s_branch .LBB166_3
.LBB166_2:                              ;   in Loop: Header=BB166_3 Depth=1
	global_load_dword v3, v[1:2], off offset:-4
	s_add_i32 s9, s9, -1
	v_add_co_u32_e32 v1, vcc, s8, v1
	v_addc_co_u32_e32 v2, vcc, v2, v6, vcc
	s_cmp_eq_u32 s9, 0
	s_waitcnt vmcnt(0)
	ds_write_b64 v7, v[3:4]
	v_add_u32_e32 v7, 0xe0, v7
	s_cbranch_scc1 .LBB166_7
.LBB166_3:                              ; =>This Inner Loop Header: Depth=1
	s_mov_b64 s[24:25], -1
	s_and_b64 vcc, exec, s[22:23]
                                        ; implicit-def: $vgpr4
	s_cbranch_vccz .LBB166_5
; %bb.4:                                ;   in Loop: Header=BB166_3 Depth=1
	global_load_dword v4, v[1:2], off
	s_mov_b64 s[24:25], 0
.LBB166_5:                              ;   in Loop: Header=BB166_3 Depth=1
	s_andn2_b64 vcc, exec, s[24:25]
	s_cbranch_vccnz .LBB166_2
; %bb.6:                                ;   in Loop: Header=BB166_3 Depth=1
	global_load_dword v3, v[1:2], off
	s_waitcnt vmcnt(0)
	v_xor_b32_e32 v4, 0x80000000, v3
	s_branch .LBB166_2
.LBB166_7:
	s_cmpk_lg_i32 s13, 0x84
	v_mul_u32_u24_e32 v6, 0xe0, v0
	s_mov_b64 s[8:9], -1
	s_cbranch_scc0 .LBB166_13
; %bb.8:
	v_add_u32_e32 v7, v5, v6
	ds_read_b64 v[1:2], v7
                                        ; implicit-def: $vgpr3
	s_waitcnt lgkmcnt(0)
	v_cmp_ngt_f32_e64 s[8:9], |v1|, |v2|
	s_and_saveexec_b64 s[22:23], s[8:9]
	s_xor_b64 s[8:9], exec, s[22:23]
	s_cbranch_execz .LBB166_10
; %bb.9:
	v_div_scale_f32 v3, s[22:23], v2, v2, v1
	v_div_scale_f32 v4, vcc, v1, v2, v1
	v_rcp_f32_e32 v8, v3
	v_fma_f32 v9, -v3, v8, 1.0
	v_fmac_f32_e32 v8, v9, v8
	v_mul_f32_e32 v9, v4, v8
	v_fma_f32 v10, -v3, v9, v4
	v_fmac_f32_e32 v9, v10, v8
	v_fma_f32 v3, -v3, v9, v4
	v_div_fmas_f32 v3, v3, v8, v9
	v_div_fixup_f32 v3, v3, v2, v1
	v_fmac_f32_e32 v2, v1, v3
	v_div_scale_f32 v1, s[22:23], v2, v2, 1.0
	v_div_scale_f32 v4, vcc, 1.0, v2, 1.0
	v_rcp_f32_e32 v8, v1
	v_fma_f32 v9, -v1, v8, 1.0
	v_fmac_f32_e32 v8, v9, v8
	v_mul_f32_e32 v9, v4, v8
	v_fma_f32 v10, -v1, v9, v4
	v_fmac_f32_e32 v9, v10, v8
	v_fma_f32 v1, -v1, v9, v4
	v_div_fmas_f32 v1, v1, v8, v9
	v_add_f32_e32 v4, 0, v3
	v_fma_f32 v8, v3, 0, -1.0
	v_div_fixup_f32 v1, v1, v2, 1.0
	v_mul_f32_e32 v3, v4, v1
	v_mul_f32_e32 v4, v8, v1
                                        ; implicit-def: $vgpr1_vgpr2
.LBB166_10:
	s_andn2_saveexec_b64 s[8:9], s[8:9]
	s_cbranch_execz .LBB166_12
; %bb.11:
	v_div_scale_f32 v3, s[22:23], v1, v1, v2
	v_div_scale_f32 v4, vcc, v2, v1, v2
	v_rcp_f32_e32 v8, v3
	v_fma_f32 v9, -v3, v8, 1.0
	v_fmac_f32_e32 v8, v9, v8
	v_mul_f32_e32 v9, v4, v8
	v_fma_f32 v10, -v3, v9, v4
	v_fmac_f32_e32 v9, v10, v8
	v_fma_f32 v3, -v3, v9, v4
	v_div_fmas_f32 v3, v3, v8, v9
	v_div_fixup_f32 v4, v3, v1, v2
	v_fmac_f32_e32 v1, v2, v4
	v_div_scale_f32 v2, s[22:23], v1, v1, 1.0
	v_div_scale_f32 v3, vcc, 1.0, v1, 1.0
	v_rcp_f32_e32 v8, v2
	v_fma_f32 v9, -v2, v8, 1.0
	v_fmac_f32_e32 v8, v9, v8
	v_mul_f32_e32 v9, v3, v8
	v_fma_f32 v10, -v2, v9, v3
	v_fmac_f32_e32 v9, v10, v8
	v_fma_f32 v2, -v2, v9, v3
	v_div_fmas_f32 v2, v2, v8, v9
	v_fma_f32 v3, v4, 0, 1.0
	v_div_fixup_f32 v1, v2, v1, 1.0
	v_mul_f32_e32 v3, v3, v1
	v_mul_f32_e64 v4, -v4, v1
.LBB166_12:
	s_or_b64 exec, exec, s[8:9]
	s_mov_b64 s[8:9], 0
	ds_write_b64 v7, v[3:4]
.LBB166_13:
	s_and_b64 vcc, exec, s[8:9]
	s_cbranch_vccz .LBB166_15
; %bb.14:
	v_add_u32_e32 v3, v5, v6
	v_mov_b32_e32 v1, 1.0
	v_mov_b32_e32 v2, 0
	ds_write_b64 v3, v[1:2]
.LBB166_15:
	s_or_b64 exec, exec, s[20:21]
	s_mul_i32 s8, s6, 0xffffffe4
	s_add_i32 s27, s27, -1
	s_add_i32 s8, s15, s8
	s_cmp_ge_u32 s6, s27
	s_cselect_b32 s8, s8, 28
	v_cmp_gt_i32_e32 vcc, s8, v0
	s_waitcnt lgkmcnt(0)
	; wave barrier
	s_and_saveexec_b64 s[8:9], vcc
	s_cbranch_execz .LBB166_58
; %bb.16:
	s_load_dwordx2 s[8:9], s[4:5], 0x58
	s_load_dword s13, s[4:5], 0x50
	s_waitcnt lgkmcnt(0)
	s_mul_i32 s5, s9, s7
	s_mul_hi_u32 s9, s8, s7
	s_mul_i32 s4, s8, s7
	v_mad_u64_u32 v[0:1], s[6:7], s6, 28, v[0:1]
	s_add_i32 s5, s9, s5
	s_lshl_b64 s[4:5], s[4:5], 3
	v_mad_i64_i32 v[0:1], s[6:7], s13, v0, 0
	s_add_u32 s8, s10, s4
	s_addc_u32 s9, s11, s5
	s_lshl_b64 s[6:7], s[18:19], 3
	s_add_u32 s8, s8, s6
	v_lshlrev_b64 v[0:1], 3, v[0:1]
	s_addc_u32 s9, s9, s7
	v_mov_b32_e32 v2, s9
	v_add_co_u32_e32 v4, vcc, s8, v0
	v_addc_co_u32_e32 v5, vcc, v2, v1, vcc
	s_cmpk_eq_i32 s12, 0x6f
	s_mov_b64 s[8:9], -1
	s_cbranch_scc1 .LBB166_37
; %bb.17:
	s_add_i32 s22, s26, -1
	s_add_u32 s8, s10, s6
	s_addc_u32 s9, s11, s7
	s_add_u32 s8, s8, s4
	s_addc_u32 s9, s9, s5
	v_mov_b32_e32 v2, s9
	v_add_co_u32_e32 v3, vcc, s8, v0
	v_addc_co_u32_e32 v2, vcc, v2, v1, vcc
	v_add_co_u32_e32 v6, vcc, 4, v3
	s_lshl_b32 s23, s26, 3
	s_mov_b32 s9, 0
	v_addc_co_u32_e32 v7, vcc, 0, v2, vcc
	s_add_i32 s23, s23, -8
	s_mov_b32 s8, s9
	s_mov_b32 s12, s22
	s_branch .LBB166_19
.LBB166_18:                             ;   in Loop: Header=BB166_19 Depth=1
	s_cmp_lt_i32 s12, 0
	s_cselect_b64 s[14:15], -1, 0
	s_add_i32 s8, s8, 1
	s_cmp_eq_u32 s8, 3
	s_cselect_b64 s[18:19], -1, 0
	s_or_b64 s[14:15], s[14:15], s[18:19]
	s_andn2_b64 vcc, exec, s[14:15]
	s_cbranch_vccz .LBB166_36
.LBB166_19:                             ; =>This Loop Header: Depth=1
                                        ;     Child Loop BB166_22 Depth 2
                                        ;       Child Loop BB166_23 Depth 3
                                        ;       Child Loop BB166_25 Depth 3
                                        ;         Child Loop BB166_26 Depth 4
                                        ;       Child Loop BB166_30 Depth 3
                                        ;         Child Loop BB166_32 Depth 4
	s_lshl_b64 s[14:15], s[8:9], 2
	s_getpc_b64 s[18:19]
	s_add_u32 s18, s18, __const._ZL30rocblas_trsm_small_left_deviceILi28ELi28ELb1E19rocblas_complex_numIfES1_PKS1_PS1_Ev13rocblas_fill_18rocblas_operation_17rocblas_diagonal_iiT3_T4_lilT5_lili.step_sizes@rel32@lo+4
	s_addc_u32 s19, s19, __const._ZL30rocblas_trsm_small_left_deviceILi28ELi28ELb1E19rocblas_complex_numIfES1_PKS1_PS1_Ev13rocblas_fill_18rocblas_operation_17rocblas_diagonal_iiT3_T4_lilT5_lili.step_sizes@rel32@hi+12
	s_add_u32 s14, s18, s14
	s_addc_u32 s15, s19, s15
	s_load_dword s24, s[14:15], 0x0
	s_waitcnt lgkmcnt(0)
	s_add_i32 s25, s24, -1
	s_cmp_lt_i32 s12, s25
	s_cbranch_scc1 .LBB166_18
; %bb.20:                               ;   in Loop: Header=BB166_19 Depth=1
	s_mul_i32 s13, s12, 0xe0
	s_max_i32 s27, s24, 1
	s_add_i32 s28, s23, s13
	s_mul_i32 s29, s24, 0xffffff20
	s_mul_i32 s30, s12, 0xe8
	;; [unrolled: 1-line block ×3, first 2 shown]
	s_branch .LBB166_22
.LBB166_21:                             ;   in Loop: Header=BB166_22 Depth=2
	s_sub_i32 s12, s12, s24
	s_add_i32 s28, s28, s29
	s_add_i32 s30, s30, s31
	s_cmp_lt_i32 s12, s25
	s_cbranch_scc1 .LBB166_18
.LBB166_22:                             ;   Parent Loop BB166_19 Depth=1
                                        ; =>  This Loop Header: Depth=2
                                        ;       Child Loop BB166_23 Depth 3
                                        ;       Child Loop BB166_25 Depth 3
                                        ;         Child Loop BB166_26 Depth 4
                                        ;       Child Loop BB166_30 Depth 3
                                        ;         Child Loop BB166_32 Depth 4
	s_ashr_i32 s13, s12, 31
	s_lshl_b64 s[14:15], s[12:13], 3
	v_mov_b32_e32 v3, s15
	v_add_co_u32_e32 v2, vcc, s14, v6
	v_addc_co_u32_e32 v3, vcc, v7, v3, vcc
	s_mov_b32 s14, 0
	s_mov_b32 s15, s27
.LBB166_23:                             ;   Parent Loop BB166_19 Depth=1
                                        ;     Parent Loop BB166_22 Depth=2
                                        ; =>    This Inner Loop Header: Depth=3
	global_load_dwordx2 v[8:9], v[2:3], off offset:-4
	v_mov_b32_e32 v10, s14
	s_add_i32 s15, s15, -1
	v_add_co_u32_e32 v2, vcc, -8, v2
	s_add_i32 s14, s14, 8
	v_addc_co_u32_e32 v3, vcc, -1, v3, vcc
	s_cmp_eq_u32 s15, 0
	s_waitcnt vmcnt(0)
	v_mul_f32_e32 v11, s17, v9
	v_mul_f32_e32 v9, s16, v9
	v_fma_f32 v11, v8, s16, -v11
	v_fmac_f32_e32 v9, s17, v8
	buffer_store_dword v11, v10, s[0:3], 0 offen
	buffer_store_dword v9, v10, s[0:3], 0 offen offset:4
	s_cbranch_scc0 .LBB166_23
; %bb.24:                               ;   in Loop: Header=BB166_22 Depth=2
	s_cmp_le_i32 s22, s12
	s_mov_b32 s18, s28
	s_mov_b32 s14, s22
	s_cbranch_scc1 .LBB166_28
.LBB166_25:                             ;   Parent Loop BB166_19 Depth=1
                                        ;     Parent Loop BB166_22 Depth=2
                                        ; =>    This Loop Header: Depth=3
                                        ;         Child Loop BB166_26 Depth 4
	s_ashr_i32 s15, s14, 31
	s_lshl_b64 s[20:21], s[14:15], 3
	v_mov_b32_e32 v3, s21
	v_add_co_u32_e32 v2, vcc, s20, v4
	v_addc_co_u32_e32 v3, vcc, v5, v3, vcc
	global_load_dwordx2 v[2:3], v[2:3], off
	s_mov_b32 s15, 0
	s_mov_b32 s19, s18
	s_mov_b32 s20, s27
.LBB166_26:                             ;   Parent Loop BB166_19 Depth=1
                                        ;     Parent Loop BB166_22 Depth=2
                                        ;       Parent Loop BB166_25 Depth=3
                                        ; =>      This Inner Loop Header: Depth=4
	v_mov_b32_e32 v10, s15
	buffer_load_dword v11, v10, s[0:3], 0 offen
	buffer_load_dword v12, v10, s[0:3], 0 offen offset:4
	v_mov_b32_e32 v8, s19
	ds_read_b64 v[8:9], v8
	s_add_i32 s20, s20, -1
	s_addk_i32 s19, 0xff20
	s_add_i32 s15, s15, 8
	s_cmp_eq_u32 s20, 0
	s_waitcnt vmcnt(2) lgkmcnt(0)
	v_mul_f32_e32 v13, v9, v3
	v_mul_f32_e32 v9, v9, v2
	v_fma_f32 v13, v8, v2, -v13
	v_fmac_f32_e32 v9, v8, v3
	s_waitcnt vmcnt(1)
	v_sub_f32_e32 v8, v11, v13
	s_waitcnt vmcnt(0)
	v_sub_f32_e32 v9, v12, v9
	buffer_store_dword v8, v10, s[0:3], 0 offen
	buffer_store_dword v9, v10, s[0:3], 0 offen offset:4
	s_cbranch_scc0 .LBB166_26
; %bb.27:                               ;   in Loop: Header=BB166_25 Depth=3
	s_add_i32 s14, s14, -1
	s_add_i32 s18, s18, -8
	s_cmp_le_i32 s14, s12
	s_cbranch_scc0 .LBB166_25
.LBB166_28:                             ;   in Loop: Header=BB166_22 Depth=2
	s_mov_b32 s33, 0
	s_mov_b32 s34, s30
	s_branch .LBB166_30
.LBB166_29:                             ;   in Loop: Header=BB166_30 Depth=3
	s_mulk_i32 s18, 0xe8
	v_mov_b32_e32 v8, s18
	ds_read_b64 v[8:9], v8
	s_lshl_b64 s[14:15], s[14:15], 3
	s_lshl_b32 s18, s33, 3
	s_add_i32 s33, s33, 1
	s_addk_i32 s34, 0xff20
	s_waitcnt vmcnt(0) lgkmcnt(0)
	v_mul_f32_e32 v10, v9, v3
	v_mul_f32_e32 v11, v8, v3
	v_fma_f32 v10, v8, v2, -v10
	v_fmac_f32_e32 v11, v9, v2
	v_mov_b32_e32 v3, s15
	v_add_co_u32_e32 v2, vcc, s14, v4
	v_mov_b32_e32 v12, s18
	v_addc_co_u32_e32 v3, vcc, v5, v3, vcc
	s_cmp_eq_u32 s33, s27
	buffer_store_dword v10, v12, s[0:3], 0 offen
	buffer_store_dword v11, v12, s[0:3], 0 offen offset:4
	global_store_dwordx2 v[2:3], v[10:11], off
	s_cbranch_scc1 .LBB166_21
.LBB166_30:                             ;   Parent Loop BB166_19 Depth=1
                                        ;     Parent Loop BB166_22 Depth=2
                                        ; =>    This Loop Header: Depth=3
                                        ;         Child Loop BB166_32 Depth 4
	s_cmp_lg_u32 s33, 0
	s_cbranch_scc0 .LBB166_34
; %bb.31:                               ;   in Loop: Header=BB166_30 Depth=3
	s_lshl_b32 s14, s33, 3
	v_mov_b32_e32 v8, s14
	buffer_load_dword v2, v8, s[0:3], 0 offen
	buffer_load_dword v3, v8, s[0:3], 0 offen offset:4
	s_mov_b32 s14, 0
	s_mov_b32 s15, s34
	;; [unrolled: 1-line block ×3, first 2 shown]
.LBB166_32:                             ;   Parent Loop BB166_19 Depth=1
                                        ;     Parent Loop BB166_22 Depth=2
                                        ;       Parent Loop BB166_30 Depth=3
                                        ; =>      This Inner Loop Header: Depth=4
	v_mov_b32_e32 v9, s14
	buffer_load_dword v11, v9, s[0:3], 0 offen offset:4
	buffer_load_dword v12, v9, s[0:3], 0 offen
	v_mov_b32_e32 v9, s15
	ds_read_b64 v[9:10], v9
	s_add_i32 s18, s18, -1
	s_add_i32 s15, s15, -8
	s_add_i32 s14, s14, 8
	s_cmp_eq_u32 s18, 0
	s_waitcnt vmcnt(1) lgkmcnt(0)
	v_mul_f32_e32 v13, v10, v11
	v_mul_f32_e32 v11, v9, v11
	s_waitcnt vmcnt(0)
	v_fma_f32 v9, v9, v12, -v13
	v_fmac_f32_e32 v11, v10, v12
	v_sub_f32_e32 v2, v2, v9
	v_sub_f32_e32 v3, v3, v11
	buffer_store_dword v2, v8, s[0:3], 0 offen
	buffer_store_dword v3, v8, s[0:3], 0 offen offset:4
	s_cbranch_scc0 .LBB166_32
; %bb.33:                               ;   in Loop: Header=BB166_30 Depth=3
	s_sub_i32 s18, s12, s33
	s_ashr_i32 s19, s18, 31
	s_mov_b64 s[14:15], s[18:19]
	s_branch .LBB166_29
.LBB166_34:                             ;   in Loop: Header=BB166_30 Depth=3
                                        ; implicit-def: $vgpr2
                                        ; implicit-def: $vgpr3
                                        ; implicit-def: $sgpr18
                                        ; implicit-def: $sgpr14_sgpr15
	s_cbranch_execz .LBB166_29
; %bb.35:                               ;   in Loop: Header=BB166_30 Depth=3
	buffer_load_dword v2, off, s[0:3], 0
	buffer_load_dword v3, off, s[0:3], 0 offset:4
	s_mov_b64 s[14:15], s[12:13]
	s_mov_b32 s18, s12
	s_branch .LBB166_29
.LBB166_36:
	s_mov_b64 s[8:9], 0
.LBB166_37:
	s_and_b64 vcc, exec, s[8:9]
	s_cbranch_vccz .LBB166_58
; %bb.38:
	s_add_u32 s6, s10, s6
	s_addc_u32 s7, s11, s7
	s_add_u32 s4, s6, s4
	s_addc_u32 s5, s7, s5
	v_mov_b32_e32 v2, s5
	v_add_co_u32_e32 v0, vcc, s4, v0
	v_addc_co_u32_e32 v1, vcc, v2, v1, vcc
	v_add_co_u32_e32 v6, vcc, 4, v0
	s_mov_b32 s5, 0
	v_addc_co_u32_e32 v7, vcc, 0, v1, vcc
	s_mov_b32 s6, s5
	s_mov_b32 s8, s5
	s_branch .LBB166_40
.LBB166_39:                             ;   in Loop: Header=BB166_40 Depth=1
	s_cmp_ge_i32 s6, s26
	s_cselect_b64 s[10:11], -1, 0
	s_add_i32 s8, s8, 1
	s_cmp_eq_u32 s8, 3
	s_cselect_b64 s[12:13], -1, 0
	s_or_b64 s[10:11], s[10:11], s[12:13]
	s_and_b64 vcc, exec, s[10:11]
	s_cbranch_vccnz .LBB166_58
.LBB166_40:                             ; =>This Loop Header: Depth=1
                                        ;     Child Loop BB166_43 Depth 2
                                        ;       Child Loop BB166_44 Depth 3
                                        ;       Child Loop BB166_47 Depth 3
                                        ;         Child Loop BB166_48 Depth 4
                                        ;       Child Loop BB166_52 Depth 3
                                        ;         Child Loop BB166_54 Depth 4
	s_mov_b32 s9, s5
	s_lshl_b64 s[10:11], s[8:9], 2
	s_getpc_b64 s[12:13]
	s_add_u32 s12, s12, __const._ZL30rocblas_trsm_small_left_deviceILi28ELi28ELb1E19rocblas_complex_numIfES1_PKS1_PS1_Ev13rocblas_fill_18rocblas_operation_17rocblas_diagonal_iiT3_T4_lilT5_lili.step_sizes@rel32@lo+4
	s_addc_u32 s13, s13, __const._ZL30rocblas_trsm_small_left_deviceILi28ELi28ELb1E19rocblas_complex_numIfES1_PKS1_PS1_Ev13rocblas_fill_18rocblas_operation_17rocblas_diagonal_iiT3_T4_lilT5_lili.step_sizes@rel32@hi+12
	s_add_u32 s10, s12, s10
	s_addc_u32 s11, s13, s11
	s_load_dword s10, s[10:11], 0x0
	s_waitcnt lgkmcnt(0)
	s_add_i32 s9, s10, -1
	s_add_i32 s4, s9, s6
	s_cmp_ge_i32 s4, s26
	s_cbranch_scc1 .LBB166_39
; %bb.41:                               ;   in Loop: Header=BB166_40 Depth=1
	s_ashr_i32 s7, s6, 31
	s_lshl_b64 s[12:13], s[6:7], 3
	s_ashr_i32 s11, s10, 31
	v_mov_b32_e32 v1, s13
	v_add_co_u32_e32 v0, vcc, s12, v6
	s_lshl_b64 s[12:13], s[10:11], 3
	s_max_i32 s18, s10, 1
	v_addc_co_u32_e32 v1, vcc, v7, v1, vcc
	s_lshl_b32 s7, s6, 3
	s_lshl_b32 s11, s10, 3
	s_mul_i32 s19, s6, 0xe8
	s_mul_i32 s20, s10, 0xe8
	v_mov_b32_e32 v8, s13
	s_branch .LBB166_43
.LBB166_42:                             ;   in Loop: Header=BB166_43 Depth=2
	s_add_i32 s6, s6, s10
	s_add_i32 s4, s9, s6
	;; [unrolled: 1-line block ×4, first 2 shown]
	v_add_co_u32_e32 v0, vcc, s12, v0
	s_cmp_ge_i32 s4, s26
	v_addc_co_u32_e32 v1, vcc, v1, v8, vcc
	s_cbranch_scc1 .LBB166_39
.LBB166_43:                             ;   Parent Loop BB166_40 Depth=1
                                        ; =>  This Loop Header: Depth=2
                                        ;       Child Loop BB166_44 Depth 3
                                        ;       Child Loop BB166_47 Depth 3
                                        ;         Child Loop BB166_48 Depth 4
                                        ;       Child Loop BB166_52 Depth 3
                                        ;         Child Loop BB166_54 Depth 4
	v_mov_b32_e32 v3, v1
	s_mov_b32 s4, 0
	v_mov_b32_e32 v2, v0
	s_mov_b32 s13, s18
.LBB166_44:                             ;   Parent Loop BB166_40 Depth=1
                                        ;     Parent Loop BB166_43 Depth=2
                                        ; =>    This Inner Loop Header: Depth=3
	global_load_dwordx2 v[9:10], v[2:3], off offset:-4
	v_mov_b32_e32 v11, s4
	s_add_i32 s13, s13, -1
	v_add_co_u32_e32 v2, vcc, 8, v2
	s_add_i32 s4, s4, 8
	v_addc_co_u32_e32 v3, vcc, 0, v3, vcc
	s_cmp_eq_u32 s13, 0
	s_waitcnt vmcnt(0)
	v_mul_f32_e32 v12, s17, v10
	v_mul_f32_e32 v10, s16, v10
	v_fma_f32 v12, v9, s16, -v12
	v_fmac_f32_e32 v10, s17, v9
	buffer_store_dword v12, v11, s[0:3], 0 offen
	buffer_store_dword v10, v11, s[0:3], 0 offen offset:4
	s_cbranch_scc0 .LBB166_44
; %bb.45:                               ;   in Loop: Header=BB166_43 Depth=2
	s_cmp_lt_i32 s6, 1
	s_cbranch_scc1 .LBB166_50
; %bb.46:                               ;   in Loop: Header=BB166_43 Depth=2
	s_mov_b32 s4, 0
	s_mov_b32 s13, s7
.LBB166_47:                             ;   Parent Loop BB166_40 Depth=1
                                        ;     Parent Loop BB166_43 Depth=2
                                        ; =>    This Loop Header: Depth=3
                                        ;         Child Loop BB166_48 Depth 4
	s_lshl_b64 s[14:15], s[4:5], 3
	v_mov_b32_e32 v3, s15
	v_add_co_u32_e32 v2, vcc, s14, v4
	v_addc_co_u32_e32 v3, vcc, v5, v3, vcc
	global_load_dwordx2 v[2:3], v[2:3], off
	s_mov_b32 s14, 0
	s_mov_b32 s15, s13
	;; [unrolled: 1-line block ×3, first 2 shown]
.LBB166_48:                             ;   Parent Loop BB166_40 Depth=1
                                        ;     Parent Loop BB166_43 Depth=2
                                        ;       Parent Loop BB166_47 Depth=3
                                        ; =>      This Inner Loop Header: Depth=4
	v_mov_b32_e32 v11, s14
	buffer_load_dword v12, v11, s[0:3], 0 offen
	buffer_load_dword v13, v11, s[0:3], 0 offen offset:4
	v_mov_b32_e32 v9, s15
	ds_read_b64 v[9:10], v9
	s_add_i32 s21, s21, -1
	s_add_i32 s15, s15, 8
	s_add_i32 s14, s14, 8
	s_cmp_eq_u32 s21, 0
	s_waitcnt vmcnt(2) lgkmcnt(0)
	v_mul_f32_e32 v14, v10, v3
	v_mul_f32_e32 v10, v10, v2
	v_fma_f32 v14, v9, v2, -v14
	v_fmac_f32_e32 v10, v9, v3
	s_waitcnt vmcnt(1)
	v_sub_f32_e32 v9, v12, v14
	s_waitcnt vmcnt(0)
	v_sub_f32_e32 v10, v13, v10
	buffer_store_dword v9, v11, s[0:3], 0 offen
	buffer_store_dword v10, v11, s[0:3], 0 offen offset:4
	s_cbranch_scc0 .LBB166_48
; %bb.49:                               ;   in Loop: Header=BB166_47 Depth=3
	s_add_i32 s4, s4, 1
	s_addk_i32 s13, 0xe0
	s_cmp_eq_u32 s4, s6
	s_cbranch_scc0 .LBB166_47
.LBB166_50:                             ;   in Loop: Header=BB166_43 Depth=2
	s_mov_b32 s4, 0
	s_mov_b32 s13, s19
	s_branch .LBB166_52
.LBB166_51:                             ;   in Loop: Header=BB166_52 Depth=3
	s_add_i32 s14, s4, s6
	s_mul_i32 s15, s14, 0xe8
	v_mov_b32_e32 v9, s15
	ds_read_b64 v[9:10], v9
	s_lshl_b32 s15, s4, 3
	v_mov_b32_e32 v13, s15
	s_ashr_i32 s15, s14, 31
	s_lshl_b64 s[14:15], s[14:15], 3
	s_waitcnt vmcnt(0) lgkmcnt(0)
	v_mul_f32_e32 v11, v10, v3
	v_mul_f32_e32 v12, v9, v3
	v_fma_f32 v11, v9, v2, -v11
	v_fmac_f32_e32 v12, v10, v2
	v_mov_b32_e32 v3, s15
	v_add_co_u32_e32 v2, vcc, s14, v4
	s_add_i32 s4, s4, 1
	s_add_i32 s13, s13, 8
	v_addc_co_u32_e32 v3, vcc, v5, v3, vcc
	s_cmp_eq_u32 s4, s18
	buffer_store_dword v11, v13, s[0:3], 0 offen
	buffer_store_dword v12, v13, s[0:3], 0 offen offset:4
	global_store_dwordx2 v[2:3], v[11:12], off
	s_cbranch_scc1 .LBB166_42
.LBB166_52:                             ;   Parent Loop BB166_40 Depth=1
                                        ;     Parent Loop BB166_43 Depth=2
                                        ; =>    This Loop Header: Depth=3
                                        ;         Child Loop BB166_54 Depth 4
	s_cmp_lg_u32 s4, 0
	s_cbranch_scc0 .LBB166_56
; %bb.53:                               ;   in Loop: Header=BB166_52 Depth=3
	s_lshl_b32 s14, s4, 3
	v_mov_b32_e32 v9, s14
	buffer_load_dword v2, v9, s[0:3], 0 offen
	buffer_load_dword v3, v9, s[0:3], 0 offen offset:4
	s_mov_b32 s14, 0
	s_mov_b32 s15, s13
	;; [unrolled: 1-line block ×3, first 2 shown]
.LBB166_54:                             ;   Parent Loop BB166_40 Depth=1
                                        ;     Parent Loop BB166_43 Depth=2
                                        ;       Parent Loop BB166_52 Depth=3
                                        ; =>      This Inner Loop Header: Depth=4
	v_mov_b32_e32 v10, s14
	buffer_load_dword v12, v10, s[0:3], 0 offen offset:4
	buffer_load_dword v13, v10, s[0:3], 0 offen
	v_mov_b32_e32 v10, s15
	ds_read_b64 v[10:11], v10
	s_add_i32 s21, s21, -1
	s_addk_i32 s15, 0xe0
	s_add_i32 s14, s14, 8
	s_cmp_eq_u32 s21, 0
	s_waitcnt vmcnt(1) lgkmcnt(0)
	v_mul_f32_e32 v14, v11, v12
	v_mul_f32_e32 v12, v10, v12
	s_waitcnt vmcnt(0)
	v_fma_f32 v10, v10, v13, -v14
	v_fmac_f32_e32 v12, v11, v13
	v_sub_f32_e32 v2, v2, v10
	v_sub_f32_e32 v3, v3, v12
	buffer_store_dword v2, v9, s[0:3], 0 offen
	buffer_store_dword v3, v9, s[0:3], 0 offen offset:4
	s_cbranch_scc0 .LBB166_54
; %bb.55:                               ;   in Loop: Header=BB166_52 Depth=3
	s_branch .LBB166_51
.LBB166_56:                             ;   in Loop: Header=BB166_52 Depth=3
                                        ; implicit-def: $vgpr2
                                        ; implicit-def: $vgpr3
	s_cbranch_execz .LBB166_51
; %bb.57:                               ;   in Loop: Header=BB166_52 Depth=3
	buffer_load_dword v2, off, s[0:3], 0
	buffer_load_dword v3, off, s[0:3], 0 offset:4
	s_branch .LBB166_51
.LBB166_58:
	s_endpgm
	.section	.rodata,"a",@progbits
	.p2align	6, 0x0
	.amdhsa_kernel _ZL30rocblas_trsm_small_left_deviceILi28ELi28ELb1E19rocblas_complex_numIfES1_PKS1_PS1_Ev13rocblas_fill_18rocblas_operation_17rocblas_diagonal_iiT3_T4_lilT5_lili
		.amdhsa_group_segment_fixed_size 6272
		.amdhsa_private_segment_fixed_size 240
		.amdhsa_kernarg_size 360
		.amdhsa_user_sgpr_count 6
		.amdhsa_user_sgpr_private_segment_buffer 1
		.amdhsa_user_sgpr_dispatch_ptr 0
		.amdhsa_user_sgpr_queue_ptr 0
		.amdhsa_user_sgpr_kernarg_segment_ptr 1
		.amdhsa_user_sgpr_dispatch_id 0
		.amdhsa_user_sgpr_flat_scratch_init 0
		.amdhsa_user_sgpr_private_segment_size 0
		.amdhsa_uses_dynamic_stack 0
		.amdhsa_system_sgpr_private_segment_wavefront_offset 1
		.amdhsa_system_sgpr_workgroup_id_x 1
		.amdhsa_system_sgpr_workgroup_id_y 0
		.amdhsa_system_sgpr_workgroup_id_z 1
		.amdhsa_system_sgpr_workgroup_info 0
		.amdhsa_system_vgpr_workitem_id 0
		.amdhsa_next_free_vgpr 65
		.amdhsa_next_free_sgpr 98
		.amdhsa_reserve_vcc 1
		.amdhsa_reserve_flat_scratch 0
		.amdhsa_float_round_mode_32 0
		.amdhsa_float_round_mode_16_64 0
		.amdhsa_float_denorm_mode_32 3
		.amdhsa_float_denorm_mode_16_64 3
		.amdhsa_dx10_clamp 1
		.amdhsa_ieee_mode 1
		.amdhsa_fp16_overflow 0
		.amdhsa_exception_fp_ieee_invalid_op 0
		.amdhsa_exception_fp_denorm_src 0
		.amdhsa_exception_fp_ieee_div_zero 0
		.amdhsa_exception_fp_ieee_overflow 0
		.amdhsa_exception_fp_ieee_underflow 0
		.amdhsa_exception_fp_ieee_inexact 0
		.amdhsa_exception_int_div_zero 0
	.end_amdhsa_kernel
	.section	.text._ZL30rocblas_trsm_small_left_deviceILi28ELi28ELb1E19rocblas_complex_numIfES1_PKS1_PS1_Ev13rocblas_fill_18rocblas_operation_17rocblas_diagonal_iiT3_T4_lilT5_lili,"axG",@progbits,_ZL30rocblas_trsm_small_left_deviceILi28ELi28ELb1E19rocblas_complex_numIfES1_PKS1_PS1_Ev13rocblas_fill_18rocblas_operation_17rocblas_diagonal_iiT3_T4_lilT5_lili,comdat
.Lfunc_end166:
	.size	_ZL30rocblas_trsm_small_left_deviceILi28ELi28ELb1E19rocblas_complex_numIfES1_PKS1_PS1_Ev13rocblas_fill_18rocblas_operation_17rocblas_diagonal_iiT3_T4_lilT5_lili, .Lfunc_end166-_ZL30rocblas_trsm_small_left_deviceILi28ELi28ELb1E19rocblas_complex_numIfES1_PKS1_PS1_Ev13rocblas_fill_18rocblas_operation_17rocblas_diagonal_iiT3_T4_lilT5_lili
                                        ; -- End function
	.set _ZL30rocblas_trsm_small_left_deviceILi28ELi28ELb1E19rocblas_complex_numIfES1_PKS1_PS1_Ev13rocblas_fill_18rocblas_operation_17rocblas_diagonal_iiT3_T4_lilT5_lili.num_vgpr, 15
	.set _ZL30rocblas_trsm_small_left_deviceILi28ELi28ELb1E19rocblas_complex_numIfES1_PKS1_PS1_Ev13rocblas_fill_18rocblas_operation_17rocblas_diagonal_iiT3_T4_lilT5_lili.num_agpr, 0
	.set _ZL30rocblas_trsm_small_left_deviceILi28ELi28ELb1E19rocblas_complex_numIfES1_PKS1_PS1_Ev13rocblas_fill_18rocblas_operation_17rocblas_diagonal_iiT3_T4_lilT5_lili.numbered_sgpr, 35
	.set _ZL30rocblas_trsm_small_left_deviceILi28ELi28ELb1E19rocblas_complex_numIfES1_PKS1_PS1_Ev13rocblas_fill_18rocblas_operation_17rocblas_diagonal_iiT3_T4_lilT5_lili.num_named_barrier, 0
	.set _ZL30rocblas_trsm_small_left_deviceILi28ELi28ELb1E19rocblas_complex_numIfES1_PKS1_PS1_Ev13rocblas_fill_18rocblas_operation_17rocblas_diagonal_iiT3_T4_lilT5_lili.private_seg_size, 240
	.set _ZL30rocblas_trsm_small_left_deviceILi28ELi28ELb1E19rocblas_complex_numIfES1_PKS1_PS1_Ev13rocblas_fill_18rocblas_operation_17rocblas_diagonal_iiT3_T4_lilT5_lili.uses_vcc, 1
	.set _ZL30rocblas_trsm_small_left_deviceILi28ELi28ELb1E19rocblas_complex_numIfES1_PKS1_PS1_Ev13rocblas_fill_18rocblas_operation_17rocblas_diagonal_iiT3_T4_lilT5_lili.uses_flat_scratch, 0
	.set _ZL30rocblas_trsm_small_left_deviceILi28ELi28ELb1E19rocblas_complex_numIfES1_PKS1_PS1_Ev13rocblas_fill_18rocblas_operation_17rocblas_diagonal_iiT3_T4_lilT5_lili.has_dyn_sized_stack, 0
	.set _ZL30rocblas_trsm_small_left_deviceILi28ELi28ELb1E19rocblas_complex_numIfES1_PKS1_PS1_Ev13rocblas_fill_18rocblas_operation_17rocblas_diagonal_iiT3_T4_lilT5_lili.has_recursion, 0
	.set _ZL30rocblas_trsm_small_left_deviceILi28ELi28ELb1E19rocblas_complex_numIfES1_PKS1_PS1_Ev13rocblas_fill_18rocblas_operation_17rocblas_diagonal_iiT3_T4_lilT5_lili.has_indirect_call, 0
	.section	.AMDGPU.csdata,"",@progbits
; Kernel info:
; codeLenInByte = 2528
; TotalNumSgprs: 39
; NumVgprs: 15
; ScratchSize: 240
; MemoryBound: 0
; FloatMode: 240
; IeeeMode: 1
; LDSByteSize: 6272 bytes/workgroup (compile time only)
; SGPRBlocks: 12
; VGPRBlocks: 16
; NumSGPRsForWavesPerEU: 102
; NumVGPRsForWavesPerEU: 65
; Occupancy: 3
; WaveLimiterHint : 0
; COMPUTE_PGM_RSRC2:SCRATCH_EN: 1
; COMPUTE_PGM_RSRC2:USER_SGPR: 6
; COMPUTE_PGM_RSRC2:TRAP_HANDLER: 0
; COMPUTE_PGM_RSRC2:TGID_X_EN: 1
; COMPUTE_PGM_RSRC2:TGID_Y_EN: 0
; COMPUTE_PGM_RSRC2:TGID_Z_EN: 1
; COMPUTE_PGM_RSRC2:TIDIG_COMP_CNT: 0
	.section	.text._ZL31rocblas_trsm_small_right_deviceI19rocblas_complex_numIfES1_PKS1_PS1_Li28EEv13rocblas_fill_18rocblas_operation_17rocblas_diagonal_iiT0_T1_lilT2_lili,"axG",@progbits,_ZL31rocblas_trsm_small_right_deviceI19rocblas_complex_numIfES1_PKS1_PS1_Li28EEv13rocblas_fill_18rocblas_operation_17rocblas_diagonal_iiT0_T1_lilT2_lili,comdat
	.globl	_ZL31rocblas_trsm_small_right_deviceI19rocblas_complex_numIfES1_PKS1_PS1_Li28EEv13rocblas_fill_18rocblas_operation_17rocblas_diagonal_iiT0_T1_lilT2_lili ; -- Begin function _ZL31rocblas_trsm_small_right_deviceI19rocblas_complex_numIfES1_PKS1_PS1_Li28EEv13rocblas_fill_18rocblas_operation_17rocblas_diagonal_iiT0_T1_lilT2_lili
	.p2align	8
	.type	_ZL31rocblas_trsm_small_right_deviceI19rocblas_complex_numIfES1_PKS1_PS1_Li28EEv13rocblas_fill_18rocblas_operation_17rocblas_diagonal_iiT0_T1_lilT2_lili,@function
_ZL31rocblas_trsm_small_right_deviceI19rocblas_complex_numIfES1_PKS1_PS1_Li28EEv13rocblas_fill_18rocblas_operation_17rocblas_diagonal_iiT0_T1_lilT2_lili: ; @_ZL31rocblas_trsm_small_right_deviceI19rocblas_complex_numIfES1_PKS1_PS1_Li28EEv13rocblas_fill_18rocblas_operation_17rocblas_diagonal_iiT0_T1_lilT2_lili
; %bb.0:
	s_load_dwordx8 s[8:15], s[4:5], 0x0
	s_load_dwordx4 s[0:3], s[4:5], 0x38
	s_load_dwordx2 s[16:17], s[4:5], 0x48
	s_waitcnt lgkmcnt(0)
	s_min_i32 s24, s12, 28
	v_cmp_gt_i32_e32 vcc, s24, v0
	s_and_saveexec_b64 s[18:19], vcc
	s_cbranch_execz .LBB167_9
; %bb.1:
	s_load_dword s22, s[4:5], 0x30
	s_load_dwordx4 s[28:31], s[4:5], 0x20
	s_mul_i32 s1, s1, s7
	s_mul_hi_u32 s15, s0, s7
	s_mul_i32 s0, s0, s7
	s_waitcnt lgkmcnt(0)
	s_ashr_i32 s23, s22, 31
	s_cmpk_lg_i32 s9, 0x71
	s_cselect_b64 s[20:21], -1, 0
	s_add_i32 s1, s15, s1
	s_lshl_b64 s[0:1], s[0:1], 3
	s_lshl_b64 s[26:27], s[30:31], 3
	s_add_u32 s0, s0, s26
	s_addc_u32 s1, s1, s27
	s_add_u32 s0, s28, s0
	v_lshlrev_b32_e32 v5, 3, v0
	s_addc_u32 s1, s29, s1
	v_mov_b32_e32 v1, s1
	v_add_co_u32_e32 v2, vcc, s0, v5
	v_addc_co_u32_e32 v3, vcc, 0, v1, vcc
	v_add_co_u32_e32 v1, vcc, 4, v2
	s_lshl_b64 s[0:1], s[22:23], 3
	v_addc_co_u32_e32 v2, vcc, 0, v3, vcc
	v_mov_b32_e32 v6, s1
	v_mov_b32_e32 v7, v5
	s_mov_b32 s1, s24
	s_branch .LBB167_3
.LBB167_2:                              ;   in Loop: Header=BB167_3 Depth=1
	global_load_dword v3, v[1:2], off offset:-4
	s_add_i32 s1, s1, -1
	v_add_co_u32_e32 v1, vcc, s0, v1
	v_addc_co_u32_e32 v2, vcc, v2, v6, vcc
	s_cmp_eq_u32 s1, 0
	s_waitcnt vmcnt(0)
	ds_write_b64 v7, v[3:4]
	v_add_u32_e32 v7, 0xe0, v7
	s_cbranch_scc1 .LBB167_7
.LBB167_3:                              ; =>This Inner Loop Header: Depth=1
	s_mov_b64 s[22:23], -1
	s_and_b64 vcc, exec, s[20:21]
                                        ; implicit-def: $vgpr4
	s_cbranch_vccz .LBB167_5
; %bb.4:                                ;   in Loop: Header=BB167_3 Depth=1
	global_load_dword v4, v[1:2], off
	s_mov_b64 s[22:23], 0
.LBB167_5:                              ;   in Loop: Header=BB167_3 Depth=1
	s_andn2_b64 vcc, exec, s[22:23]
	s_cbranch_vccnz .LBB167_2
; %bb.6:                                ;   in Loop: Header=BB167_3 Depth=1
	global_load_dword v3, v[1:2], off
	s_waitcnt vmcnt(0)
	v_xor_b32_e32 v4, 0x80000000, v3
	s_branch .LBB167_2
.LBB167_7:
	s_cmpk_eq_i32 s10, 0x84
	s_cbranch_scc0 .LBB167_9
; %bb.8:
	s_movk_i32 s0, 0xe0
	v_mad_u32_u24 v3, v0, s0, v5
	v_mov_b32_e32 v1, 1.0
	v_mov_b32_e32 v2, 0
	ds_write_b64 v3, v[1:2]
.LBB167_9:
	s_or_b64 exec, exec, s[18:19]
	s_load_dword s0, s[4:5], 0x68
	s_load_dwordx2 s[18:19], s[4:5], 0x58
	s_load_dword s10, s[4:5], 0x50
	s_mul_hi_i32 s20, s6, 0xe0
	s_mul_i32 s21, s6, 0xe0
	s_waitcnt lgkmcnt(0)
	s_add_i32 s0, s0, -1
	s_mul_i32 s1, s19, s7
	s_mul_hi_u32 s5, s18, s7
	s_add_i32 s5, s5, s1
	s_mul_i32 s1, s6, 0xffffffe4
	s_add_i32 s1, s11, s1
	s_cmp_ge_u32 s6, s0
	s_cselect_b32 s0, s1, 28
	s_mul_i32 s4, s18, s7
	v_cmp_gt_i32_e64 s[0:1], s0, v0
	s_and_saveexec_b64 s[6:7], s[0:1]
	s_cbranch_execz .LBB167_13
; %bb.10:
	s_cmp_lt_i32 s12, 1
	s_cbranch_scc1 .LBB167_13
; %bb.11:
	s_ashr_i32 s11, s10, 31
	s_lshl_b64 s[18:19], s[4:5], 3
	s_add_u32 s15, s18, s21
	s_addc_u32 s22, s19, s20
	s_lshl_b64 s[18:19], s[16:17], 3
	s_add_u32 s15, s15, s18
	s_addc_u32 s18, s22, s19
	s_add_u32 s15, s2, s15
	v_lshlrev_b32_e32 v3, 3, v0
	s_addc_u32 s18, s3, s18
	v_mov_b32_e32 v1, s18
	v_add_co_u32_e32 v2, vcc, s15, v3
	v_addc_co_u32_e32 v4, vcc, 0, v1, vcc
	v_add_co_u32_e32 v1, vcc, 4, v2
	s_lshl_b64 s[18:19], s[10:11], 3
	v_addc_co_u32_e32 v2, vcc, 0, v4, vcc
	v_add_u32_e32 v3, 0x1880, v3
	v_mov_b32_e32 v4, s19
	s_mov_b32 s11, s12
.LBB167_12:                             ; =>This Inner Loop Header: Depth=1
	global_load_dwordx2 v[5:6], v[1:2], off offset:-4
	s_add_i32 s11, s11, -1
	v_add_co_u32_e32 v1, vcc, s18, v1
	v_addc_co_u32_e32 v2, vcc, v2, v4, vcc
	s_cmp_lg_u32 s11, 0
	s_waitcnt vmcnt(0)
	v_mul_f32_e32 v8, s14, v6
	v_mul_f32_e32 v7, s13, v6
	v_fma_f32 v6, s13, v5, -v8
	v_fmac_f32_e32 v7, s14, v5
	ds_write_b64 v3, v[6:7]
	v_add_u32_e32 v3, 0xe0, v3
	s_cbranch_scc1 .LBB167_12
.LBB167_13:
	s_or_b64 exec, exec, s[6:7]
	s_cmpk_eq_i32 s9, 0x6f
	s_cselect_b64 s[6:7], -1, 0
	s_cmpk_lg_i32 s8, 0x79
	s_cselect_b64 s[14:15], -1, 0
	s_cmpk_eq_i32 s8, 0x79
	s_cselect_b64 s[18:19], -1, 0
	s_and_b64 s[18:19], s[18:19], s[6:7]
	s_andn2_b64 vcc, exec, s[18:19]
	s_mov_b64 s[18:19], -1
	s_waitcnt lgkmcnt(0)
	; wave barrier
	s_cbranch_vccz .LBB167_114
; %bb.14:
	s_cmpk_lg_i32 s8, 0x7a
	s_cselect_b64 s[18:19], -1, 0
	s_xor_b64 s[6:7], s[6:7], -1
	s_add_i32 s11, s24, -1
	s_or_b64 s[18:19], s[18:19], s[6:7]
	v_mov_b32_e32 v1, 0x1880
	s_cmp_gt_i32 s12, 3
	s_mov_b64 s[8:9], -1
	v_lshl_add_u32 v15, v0, 3, v1
	s_cselect_b64 s[6:7], -1, 0
	s_and_b64 vcc, exec, s[18:19]
	s_cbranch_vccz .LBB167_81
; %bb.15:
	s_andn2_b64 vcc, exec, s[14:15]
	s_cbranch_vccnz .LBB167_48
; %bb.16:
	s_andn2_b64 vcc, exec, s[6:7]
	s_mov_b32 s15, 0
	s_cbranch_vccnz .LBB167_38
; %bb.17:
	v_mov_b32_e32 v1, 0x1880
	v_lshl_add_u32 v16, v0, 3, v1
	s_mov_b32 s13, 0
	s_mov_b32 s14, 0
.LBB167_18:                             ; =>This Loop Header: Depth=1
                                        ;     Child Loop BB167_19 Depth 2
	s_or_b32 s9, s14, 3
	s_mul_i32 s8, s14, 0xe0
	v_add_u32_e32 v18, s8, v15
	s_mulk_i32 s9, 0xe0
	ds_read2_b64 v[1:4], v18 offset1:28
	v_add_u32_e32 v17, s9, v15
	ds_read_b64 v[11:12], v18 offset:448
	ds_read_b64 v[9:10], v17
	s_cmp_eq_u32 s14, 0
	v_mov_b32_e32 v5, v16
	s_mov_b32 s9, s13
	s_mov_b32 s15, s14
	s_cbranch_scc1 .LBB167_20
.LBB167_19:                             ;   Parent Loop BB167_18 Depth=1
                                        ; =>  This Inner Loop Header: Depth=2
	v_mov_b32_e32 v8, s9
	ds_read_b64 v[6:7], v5
	ds_read_b128 v[19:22], v8
	ds_read_b128 v[23:26], v8 offset:16
	s_add_i32 s15, s15, -1
	s_addk_i32 s9, 0xe0
	v_add_u32_e32 v5, 0xe0, v5
	s_waitcnt lgkmcnt(1)
	v_mul_f32_e32 v8, v20, v7
	v_mul_f32_e32 v13, v19, v7
	;; [unrolled: 1-line block ×4, first 2 shown]
	s_waitcnt lgkmcnt(0)
	v_mul_f32_e32 v27, v24, v7
	v_mul_f32_e32 v24, v24, v6
	;; [unrolled: 1-line block ×4, first 2 shown]
	v_fma_f32 v8, v19, v6, -v8
	v_fmac_f32_e32 v13, v20, v6
	v_fma_f32 v14, v21, v6, -v14
	v_fmac_f32_e32 v22, v21, v7
	;; [unrolled: 2-line block ×4, first 2 shown]
	s_cmp_eq_u32 s15, 0
	v_sub_f32_e32 v1, v1, v8
	v_sub_f32_e32 v2, v2, v13
	;; [unrolled: 1-line block ×8, first 2 shown]
	s_cbranch_scc0 .LBB167_19
.LBB167_20:                             ;   in Loop: Header=BB167_18 Depth=1
	s_lshl_b32 s15, s14, 3
	s_add_i32 s18, s15, s8
	v_mov_b32_e32 v5, s18
	ds_read_b64 v[5:6], v5
	s_mov_b64 s[8:9], -1
                                        ; implicit-def: $vgpr14
	s_waitcnt lgkmcnt(0)
	v_cmp_ngt_f32_e64 s[22:23], |v5|, |v6|
	s_and_b64 vcc, exec, s[22:23]
	s_cbranch_vccz .LBB167_22
; %bb.21:                               ;   in Loop: Header=BB167_18 Depth=1
	v_div_scale_f32 v7, s[8:9], v6, v6, v5
	v_div_scale_f32 v8, vcc, v5, v6, v5
	v_rcp_f32_e32 v13, v7
	v_fma_f32 v14, -v7, v13, 1.0
	v_fmac_f32_e32 v13, v14, v13
	v_mul_f32_e32 v14, v8, v13
	v_fma_f32 v19, -v7, v14, v8
	v_fmac_f32_e32 v14, v19, v13
	v_fma_f32 v7, -v7, v14, v8
	v_div_fmas_f32 v7, v7, v13, v14
	v_div_fixup_f32 v7, v7, v6, v5
	v_fma_f32 v8, v5, v7, v6
	v_div_scale_f32 v13, s[8:9], v8, v8, 1.0
	v_div_scale_f32 v14, vcc, 1.0, v8, 1.0
	s_mov_b64 s[8:9], 0
	v_rcp_f32_e32 v19, v13
	v_fma_f32 v20, -v13, v19, 1.0
	v_fmac_f32_e32 v19, v20, v19
	v_mul_f32_e32 v20, v14, v19
	v_fma_f32 v21, -v13, v20, v14
	v_fmac_f32_e32 v20, v21, v19
	v_fma_f32 v13, -v13, v20, v14
	v_div_fmas_f32 v13, v13, v19, v20
	v_fma_f32 v14, v1, v7, v2
	v_fma_f32 v7, v2, v7, -v1
	v_div_fixup_f32 v8, v13, v8, 1.0
	v_mul_f32_e32 v13, v14, v8
	v_mul_f32_e32 v14, v7, v8
.LBB167_22:                             ;   in Loop: Header=BB167_18 Depth=1
	s_andn2_b64 vcc, exec, s[8:9]
	s_cbranch_vccnz .LBB167_24
; %bb.23:                               ;   in Loop: Header=BB167_18 Depth=1
	v_div_scale_f32 v7, s[8:9], v5, v5, v6
	v_div_scale_f32 v8, vcc, v6, v5, v6
	v_rcp_f32_e32 v13, v7
	v_fma_f32 v14, -v7, v13, 1.0
	v_fmac_f32_e32 v13, v14, v13
	v_mul_f32_e32 v14, v8, v13
	v_fma_f32 v19, -v7, v14, v8
	v_fmac_f32_e32 v14, v19, v13
	v_fma_f32 v7, -v7, v14, v8
	v_div_fmas_f32 v7, v7, v13, v14
	v_div_fixup_f32 v7, v7, v5, v6
	v_fmac_f32_e32 v5, v6, v7
	v_div_scale_f32 v6, s[8:9], v5, v5, 1.0
	v_div_scale_f32 v8, vcc, 1.0, v5, 1.0
	v_rcp_f32_e32 v13, v6
	v_fma_f32 v14, -v6, v13, 1.0
	v_fmac_f32_e32 v13, v14, v13
	v_mul_f32_e32 v14, v8, v13
	v_fma_f32 v19, -v6, v14, v8
	v_fmac_f32_e32 v14, v19, v13
	v_fma_f32 v6, -v6, v14, v8
	v_div_fmas_f32 v6, v6, v13, v14
	v_fma_f32 v8, v2, v7, v1
	v_fma_f32 v1, -v1, v7, v2
	v_div_fixup_f32 v2, v6, v5, 1.0
	v_mul_f32_e32 v13, v8, v2
	v_mul_f32_e32 v14, v1, v2
.LBB167_24:                             ;   in Loop: Header=BB167_18 Depth=1
	v_mov_b32_e32 v1, s18
	ds_read2_b64 v[5:8], v1 offset0:1 offset1:29
	s_mov_b64 s[8:9], -1
	ds_write_b64 v18, v[13:14]
	s_waitcnt lgkmcnt(1)
	v_mul_f32_e32 v1, v14, v6
	v_mul_f32_e32 v2, v13, v6
	v_fma_f32 v1, v13, v5, -v1
	v_fmac_f32_e32 v2, v14, v5
	v_cmp_ngt_f32_e64 s[22:23], |v7|, |v8|
	v_sub_f32_e32 v1, v3, v1
	v_sub_f32_e32 v2, v4, v2
	s_and_b64 vcc, exec, s[22:23]
                                        ; implicit-def: $vgpr6
	s_cbranch_vccz .LBB167_26
; %bb.25:                               ;   in Loop: Header=BB167_18 Depth=1
	v_div_scale_f32 v3, s[8:9], v8, v8, v7
	v_div_scale_f32 v4, vcc, v7, v8, v7
	v_rcp_f32_e32 v5, v3
	v_fma_f32 v6, -v3, v5, 1.0
	v_fmac_f32_e32 v5, v6, v5
	v_mul_f32_e32 v6, v4, v5
	v_fma_f32 v19, -v3, v6, v4
	v_fmac_f32_e32 v6, v19, v5
	v_fma_f32 v3, -v3, v6, v4
	v_div_fmas_f32 v3, v3, v5, v6
	v_div_fixup_f32 v3, v3, v8, v7
	v_fma_f32 v4, v7, v3, v8
	v_div_scale_f32 v5, s[8:9], v4, v4, 1.0
	v_div_scale_f32 v6, vcc, 1.0, v4, 1.0
	s_mov_b64 s[8:9], 0
	v_rcp_f32_e32 v19, v5
	v_fma_f32 v20, -v5, v19, 1.0
	v_fmac_f32_e32 v19, v20, v19
	v_mul_f32_e32 v20, v6, v19
	v_fma_f32 v21, -v5, v20, v6
	v_fmac_f32_e32 v20, v21, v19
	v_fma_f32 v5, -v5, v20, v6
	v_div_fmas_f32 v5, v5, v19, v20
	v_fma_f32 v6, v3, v1, v2
	v_fma_f32 v3, v3, v2, -v1
	v_div_fixup_f32 v4, v5, v4, 1.0
	v_mul_f32_e32 v5, v6, v4
	v_mul_f32_e32 v6, v3, v4
.LBB167_26:                             ;   in Loop: Header=BB167_18 Depth=1
	s_andn2_b64 vcc, exec, s[8:9]
	s_cbranch_vccnz .LBB167_28
; %bb.27:                               ;   in Loop: Header=BB167_18 Depth=1
	v_div_scale_f32 v3, s[8:9], v7, v7, v8
	v_div_scale_f32 v4, vcc, v8, v7, v8
	v_rcp_f32_e32 v5, v3
	v_fma_f32 v6, -v3, v5, 1.0
	v_fmac_f32_e32 v5, v6, v5
	v_mul_f32_e32 v6, v4, v5
	v_fma_f32 v19, -v3, v6, v4
	v_fmac_f32_e32 v6, v19, v5
	v_fma_f32 v3, -v3, v6, v4
	v_div_fmas_f32 v3, v3, v5, v6
	v_div_fixup_f32 v3, v3, v7, v8
	v_fmac_f32_e32 v7, v8, v3
	v_div_scale_f32 v4, s[8:9], v7, v7, 1.0
	v_div_scale_f32 v5, vcc, 1.0, v7, 1.0
	v_rcp_f32_e32 v6, v4
	v_fma_f32 v8, -v4, v6, 1.0
	v_fmac_f32_e32 v6, v8, v6
	v_mul_f32_e32 v8, v5, v6
	v_fma_f32 v19, -v4, v8, v5
	v_fmac_f32_e32 v8, v19, v6
	v_fma_f32 v4, -v4, v8, v5
	v_div_fmas_f32 v4, v4, v6, v8
	v_fma_f32 v5, v3, v2, v1
	v_fma_f32 v1, -v3, v1, v2
	v_div_fixup_f32 v2, v4, v7, 1.0
	v_mul_f32_e32 v5, v5, v2
	v_mul_f32_e32 v6, v1, v2
.LBB167_28:                             ;   in Loop: Header=BB167_18 Depth=1
	v_mov_b32_e32 v1, s18
	ds_read2_b64 v[1:4], v1 offset0:2 offset1:58
	s_add_i32 s19, s18, 0xe8
	s_or_b32 s8, s15, 8
	s_sub_i32 s22, s19, s8
	s_add_i32 s22, s22, s15
	s_waitcnt lgkmcnt(0)
	v_mul_f32_e32 v7, v14, v2
	v_fma_f32 v19, v13, v1, -v7
	v_mov_b32_e32 v7, s22
	ds_read_b64 v[7:8], v7 offset:16
	v_mul_f32_e32 v2, v13, v2
	v_fmac_f32_e32 v2, v14, v1
	v_sub_f32_e32 v1, v11, v19
	v_sub_f32_e32 v2, v12, v2
	s_waitcnt lgkmcnt(0)
	v_mul_f32_e32 v11, v6, v8
	v_mul_f32_e32 v8, v5, v8
	v_fma_f32 v11, v5, v7, -v11
	v_fmac_f32_e32 v8, v6, v7
	v_cmp_ngt_f32_e64 s[26:27], |v3|, |v4|
	v_sub_f32_e32 v1, v1, v11
	v_sub_f32_e32 v2, v2, v8
	s_mov_b64 s[8:9], -1
	s_and_b64 vcc, exec, s[26:27]
	ds_write_b64 v18, v[5:6] offset:224
                                        ; implicit-def: $vgpr8
	s_cbranch_vccz .LBB167_30
; %bb.29:                               ;   in Loop: Header=BB167_18 Depth=1
	v_div_scale_f32 v7, s[8:9], v4, v4, v3
	v_div_scale_f32 v8, vcc, v3, v4, v3
	v_rcp_f32_e32 v11, v7
	v_fma_f32 v12, -v7, v11, 1.0
	v_fmac_f32_e32 v11, v12, v11
	v_mul_f32_e32 v12, v8, v11
	v_fma_f32 v19, -v7, v12, v8
	v_fmac_f32_e32 v12, v19, v11
	v_fma_f32 v7, -v7, v12, v8
	v_div_fmas_f32 v7, v7, v11, v12
	v_div_fixup_f32 v7, v7, v4, v3
	v_fma_f32 v8, v3, v7, v4
	v_div_scale_f32 v11, s[8:9], v8, v8, 1.0
	v_div_scale_f32 v12, vcc, 1.0, v8, 1.0
	s_mov_b64 s[8:9], 0
	v_rcp_f32_e32 v19, v11
	v_fma_f32 v20, -v11, v19, 1.0
	v_fmac_f32_e32 v19, v20, v19
	v_mul_f32_e32 v20, v12, v19
	v_fma_f32 v21, -v11, v20, v12
	v_fmac_f32_e32 v20, v21, v19
	v_fma_f32 v11, -v11, v20, v12
	v_div_fmas_f32 v11, v11, v19, v20
	v_fma_f32 v12, v7, v1, v2
	v_fma_f32 v19, v7, v2, -v1
	v_div_fixup_f32 v8, v11, v8, 1.0
	v_mul_f32_e32 v7, v12, v8
	v_mul_f32_e32 v8, v19, v8
.LBB167_30:                             ;   in Loop: Header=BB167_18 Depth=1
	s_andn2_b64 vcc, exec, s[8:9]
	s_cbranch_vccnz .LBB167_32
; %bb.31:                               ;   in Loop: Header=BB167_18 Depth=1
	v_div_scale_f32 v7, s[8:9], v3, v3, v4
	v_div_scale_f32 v8, vcc, v4, v3, v4
	v_rcp_f32_e32 v11, v7
	v_fma_f32 v12, -v7, v11, 1.0
	v_fmac_f32_e32 v11, v12, v11
	v_mul_f32_e32 v12, v8, v11
	v_fma_f32 v19, -v7, v12, v8
	v_fmac_f32_e32 v12, v19, v11
	v_fma_f32 v7, -v7, v12, v8
	v_div_fmas_f32 v7, v7, v11, v12
	v_div_fixup_f32 v7, v7, v3, v4
	v_fmac_f32_e32 v3, v4, v7
	v_div_scale_f32 v4, s[8:9], v3, v3, 1.0
	v_div_scale_f32 v8, vcc, 1.0, v3, 1.0
	v_rcp_f32_e32 v11, v4
	v_fma_f32 v12, -v4, v11, 1.0
	v_fmac_f32_e32 v11, v12, v11
	v_mul_f32_e32 v12, v8, v11
	v_fma_f32 v19, -v4, v12, v8
	v_fmac_f32_e32 v12, v19, v11
	v_fma_f32 v4, -v4, v12, v8
	v_div_fmas_f32 v4, v4, v11, v12
	v_fma_f32 v8, v7, v2, v1
	v_fma_f32 v1, -v7, v1, v2
	v_div_fixup_f32 v2, v4, v3, 1.0
	v_mul_f32_e32 v7, v8, v2
	v_mul_f32_e32 v8, v1, v2
.LBB167_32:                             ;   in Loop: Header=BB167_18 Depth=1
	v_mov_b32_e32 v1, s18
	ds_read2_b64 v[1:4], v1 offset0:3 offset1:87
	s_or_b32 s8, s15, 16
	s_sub_i32 s8, s19, s8
	s_add_i32 s8, s8, s15
	ds_write_b64 v18, v[7:8] offset:448
	s_waitcnt lgkmcnt(1)
	v_mul_f32_e32 v11, v14, v2
	v_mul_f32_e32 v12, v13, v2
	v_fma_f32 v2, v13, v1, -v11
	v_fmac_f32_e32 v12, v14, v1
	v_mov_b32_e32 v1, s22
	v_sub_f32_e32 v11, v9, v2
	ds_read_b64 v[1:2], v1 offset:24
	v_mov_b32_e32 v9, s8
	v_sub_f32_e32 v12, v10, v12
	ds_read_b64 v[9:10], v9 offset:256
	v_cmp_ngt_f32_e64 s[18:19], |v3|, |v4|
	s_waitcnt lgkmcnt(1)
	v_mul_f32_e32 v13, v6, v2
	v_mul_f32_e32 v2, v5, v2
	v_fma_f32 v13, v5, v1, -v13
	v_fmac_f32_e32 v2, v6, v1
	s_waitcnt lgkmcnt(0)
	v_mul_f32_e32 v5, v8, v10
	v_mul_f32_e32 v6, v7, v10
	v_sub_f32_e32 v1, v11, v13
	v_sub_f32_e32 v2, v12, v2
	v_fma_f32 v5, v7, v9, -v5
	v_fmac_f32_e32 v6, v8, v9
	v_sub_f32_e32 v5, v1, v5
	v_sub_f32_e32 v6, v2, v6
	s_mov_b64 s[8:9], -1
	s_and_b64 vcc, exec, s[18:19]
                                        ; implicit-def: $vgpr2
	s_cbranch_vccz .LBB167_34
; %bb.33:                               ;   in Loop: Header=BB167_18 Depth=1
	v_div_scale_f32 v1, s[8:9], v4, v4, v3
	v_div_scale_f32 v2, vcc, v3, v4, v3
	v_rcp_f32_e32 v7, v1
	v_fma_f32 v8, -v1, v7, 1.0
	v_fmac_f32_e32 v7, v8, v7
	v_mul_f32_e32 v8, v2, v7
	v_fma_f32 v9, -v1, v8, v2
	v_fmac_f32_e32 v8, v9, v7
	v_fma_f32 v1, -v1, v8, v2
	v_div_fmas_f32 v1, v1, v7, v8
	v_div_fixup_f32 v1, v1, v4, v3
	v_fma_f32 v2, v3, v1, v4
	v_div_scale_f32 v7, s[8:9], v2, v2, 1.0
	v_div_scale_f32 v8, vcc, 1.0, v2, 1.0
	s_mov_b64 s[8:9], 0
	v_rcp_f32_e32 v9, v7
	v_fma_f32 v10, -v7, v9, 1.0
	v_fmac_f32_e32 v9, v10, v9
	v_mul_f32_e32 v10, v8, v9
	v_fma_f32 v11, -v7, v10, v8
	v_fmac_f32_e32 v10, v11, v9
	v_fma_f32 v7, -v7, v10, v8
	v_div_fmas_f32 v7, v7, v9, v10
	v_fma_f32 v8, v1, v5, v6
	v_fma_f32 v9, v1, v6, -v5
	v_div_fixup_f32 v2, v7, v2, 1.0
	v_mul_f32_e32 v1, v8, v2
	v_mul_f32_e32 v2, v9, v2
.LBB167_34:                             ;   in Loop: Header=BB167_18 Depth=1
	s_andn2_b64 vcc, exec, s[8:9]
	s_cbranch_vccnz .LBB167_36
; %bb.35:                               ;   in Loop: Header=BB167_18 Depth=1
	v_div_scale_f32 v1, s[8:9], v3, v3, v4
	v_div_scale_f32 v2, vcc, v4, v3, v4
	v_rcp_f32_e32 v7, v1
	v_fma_f32 v8, -v1, v7, 1.0
	v_fmac_f32_e32 v7, v8, v7
	v_mul_f32_e32 v8, v2, v7
	v_fma_f32 v9, -v1, v8, v2
	v_fmac_f32_e32 v8, v9, v7
	v_fma_f32 v1, -v1, v8, v2
	v_div_fmas_f32 v1, v1, v7, v8
	v_div_fixup_f32 v1, v1, v3, v4
	v_fmac_f32_e32 v3, v4, v1
	v_div_scale_f32 v2, s[8:9], v3, v3, 1.0
	v_div_scale_f32 v4, vcc, 1.0, v3, 1.0
	v_rcp_f32_e32 v7, v2
	v_fma_f32 v8, -v2, v7, 1.0
	v_fmac_f32_e32 v7, v8, v7
	v_mul_f32_e32 v8, v4, v7
	v_fma_f32 v9, -v2, v8, v4
	v_fmac_f32_e32 v8, v9, v7
	v_fma_f32 v2, -v2, v8, v4
	v_div_fmas_f32 v2, v2, v7, v8
	v_fma_f32 v4, v1, v6, v5
	v_fma_f32 v5, -v1, v5, v6
	v_div_fixup_f32 v2, v2, v3, 1.0
	v_mul_f32_e32 v1, v4, v2
	v_mul_f32_e32 v2, v5, v2
.LBB167_36:                             ;   in Loop: Header=BB167_18 Depth=1
	s_add_i32 s15, s14, 4
	s_add_i32 s8, s14, 7
	s_add_i32 s13, s13, 32
	s_cmp_ge_i32 s8, s24
	ds_write_b64 v17, v[1:2]
	s_cbranch_scc1 .LBB167_38
; %bb.37:                               ;   in Loop: Header=BB167_18 Depth=1
	s_mov_b32 s14, s15
	s_branch .LBB167_18
.LBB167_38:
	s_cmp_ge_i32 s15, s24
	s_cbranch_scc1 .LBB167_47
; %bb.39:
	v_mov_b32_e32 v1, 0x1880
	s_lshl_b32 s13, s15, 3
	v_lshl_add_u32 v7, v0, 3, v1
	s_branch .LBB167_41
.LBB167_40:                             ;   in Loop: Header=BB167_41 Depth=1
	s_add_i32 s15, s15, 1
	s_add_i32 s13, s13, 8
	s_cmp_ge_i32 s15, s24
	ds_write_b64 v8, v[5:6]
	s_cbranch_scc1 .LBB167_47
.LBB167_41:                             ; =>This Loop Header: Depth=1
                                        ;     Child Loop BB167_42 Depth 2
	s_mul_i32 s8, s15, 0xe0
	v_add_u32_e32 v8, s8, v15
	ds_read_b64 v[1:2], v8
	s_cmp_eq_u32 s15, 0
	v_mov_b32_e32 v3, v7
	s_mov_b32 s9, s13
	s_mov_b32 s14, s15
	s_cbranch_scc1 .LBB167_43
.LBB167_42:                             ;   Parent Loop BB167_41 Depth=1
                                        ; =>  This Inner Loop Header: Depth=2
	v_mov_b32_e32 v6, s9
	ds_read_b64 v[4:5], v3
	ds_read_b64 v[9:10], v6
	s_add_i32 s14, s14, -1
	s_addk_i32 s9, 0xe0
	v_add_u32_e32 v3, 0xe0, v3
	s_cmp_eq_u32 s14, 0
	s_waitcnt lgkmcnt(0)
	v_mul_f32_e32 v6, v10, v5
	v_mul_f32_e32 v5, v9, v5
	v_fma_f32 v6, v9, v4, -v6
	v_fmac_f32_e32 v5, v10, v4
	v_sub_f32_e32 v1, v1, v6
	v_sub_f32_e32 v2, v2, v5
	s_cbranch_scc0 .LBB167_42
.LBB167_43:                             ;   in Loop: Header=BB167_41 Depth=1
	s_lshl_b32 s9, s15, 3
	s_add_i32 s8, s9, s8
	v_mov_b32_e32 v3, s8
	ds_read_b64 v[3:4], v3
	s_mov_b64 s[8:9], -1
                                        ; implicit-def: $vgpr5
	s_waitcnt lgkmcnt(0)
	v_cmp_ngt_f32_e64 s[18:19], |v3|, |v4|
	s_and_b64 vcc, exec, s[18:19]
	s_cbranch_vccz .LBB167_45
; %bb.44:                               ;   in Loop: Header=BB167_41 Depth=1
	v_div_scale_f32 v5, s[8:9], v4, v4, v3
	v_div_scale_f32 v6, vcc, v3, v4, v3
	v_rcp_f32_e32 v9, v5
	v_fma_f32 v10, -v5, v9, 1.0
	v_fmac_f32_e32 v9, v10, v9
	v_mul_f32_e32 v10, v6, v9
	v_fma_f32 v11, -v5, v10, v6
	v_fmac_f32_e32 v10, v11, v9
	v_fma_f32 v5, -v5, v10, v6
	v_div_fmas_f32 v5, v5, v9, v10
	v_div_fixup_f32 v5, v5, v4, v3
	v_fma_f32 v6, v3, v5, v4
	v_div_scale_f32 v9, s[8:9], v6, v6, 1.0
	v_div_scale_f32 v10, vcc, 1.0, v6, 1.0
	s_mov_b64 s[8:9], 0
	v_rcp_f32_e32 v11, v9
	v_fma_f32 v12, -v9, v11, 1.0
	v_fmac_f32_e32 v11, v12, v11
	v_mul_f32_e32 v12, v10, v11
	v_fma_f32 v13, -v9, v12, v10
	v_fmac_f32_e32 v12, v13, v11
	v_fma_f32 v9, -v9, v12, v10
	v_div_fmas_f32 v9, v9, v11, v12
	v_fma_f32 v10, v1, v5, v2
	v_fma_f32 v11, v2, v5, -v1
	v_div_fixup_f32 v6, v9, v6, 1.0
	v_mul_f32_e32 v5, v10, v6
	v_mul_f32_e32 v6, v11, v6
.LBB167_45:                             ;   in Loop: Header=BB167_41 Depth=1
	s_andn2_b64 vcc, exec, s[8:9]
	s_cbranch_vccnz .LBB167_40
; %bb.46:                               ;   in Loop: Header=BB167_41 Depth=1
	v_div_scale_f32 v5, s[8:9], v3, v3, v4
	v_div_scale_f32 v6, vcc, v4, v3, v4
	v_rcp_f32_e32 v9, v5
	v_fma_f32 v10, -v5, v9, 1.0
	v_fmac_f32_e32 v9, v10, v9
	v_mul_f32_e32 v10, v6, v9
	v_fma_f32 v11, -v5, v10, v6
	v_fmac_f32_e32 v10, v11, v9
	v_fma_f32 v5, -v5, v10, v6
	v_div_fmas_f32 v5, v5, v9, v10
	v_div_fixup_f32 v5, v5, v3, v4
	v_fmac_f32_e32 v3, v4, v5
	v_div_scale_f32 v4, s[8:9], v3, v3, 1.0
	v_div_scale_f32 v6, vcc, 1.0, v3, 1.0
	v_rcp_f32_e32 v9, v4
	v_fma_f32 v10, -v4, v9, 1.0
	v_fmac_f32_e32 v9, v10, v9
	v_mul_f32_e32 v10, v6, v9
	v_fma_f32 v11, -v4, v10, v6
	v_fmac_f32_e32 v10, v11, v9
	v_fma_f32 v4, -v4, v10, v6
	v_div_fmas_f32 v4, v4, v9, v10
	v_fma_f32 v6, v2, v5, v1
	v_fma_f32 v1, -v1, v5, v2
	v_div_fixup_f32 v2, v4, v3, 1.0
	v_mul_f32_e32 v5, v6, v2
	v_mul_f32_e32 v6, v1, v2
	s_branch .LBB167_40
.LBB167_47:
	s_mov_b64 s[8:9], 0
.LBB167_48:
	s_and_b64 vcc, exec, s[8:9]
	s_cbranch_vccz .LBB167_80
; %bb.49:
	s_andn2_b64 vcc, exec, s[6:7]
	s_mov_b32 s15, s11
	s_cbranch_vccnz .LBB167_71
; %bb.50:
	s_mul_i32 s8, s24, 0xe8
	s_add_i32 s13, s8, 0xffffff00
	s_mul_i32 s8, s24, 0xe0
	v_lshl_add_u32 v1, v0, 3, s8
	v_add_u32_e32 v13, 0x17a0, v1
	s_mov_b32 s14, s11
.LBB167_51:                             ; =>This Loop Header: Depth=1
                                        ;     Child Loop BB167_52 Depth 2
	s_mul_i32 s8, s14, 0xe0
	v_add_u32_e32 v18, s8, v15
	s_add_i32 s9, s8, 0xfffffd60
	v_add_u32_e32 v17, 0xffffff20, v18
	v_add_u32_e32 v16, 0xfffffe40, v18
	;; [unrolled: 1-line block ×3, first 2 shown]
	ds_read_b64 v[9:10], v18
	ds_read_b64 v[7:8], v17
	;; [unrolled: 1-line block ×4, first 2 shown]
	s_cmp_le_i32 s11, s14
	v_mov_b32_e32 v5, v13
	s_mov_b32 s9, s13
	s_mov_b32 s15, s11
	s_cbranch_scc1 .LBB167_53
.LBB167_52:                             ;   Parent Loop BB167_51 Depth=1
                                        ; =>  This Inner Loop Header: Depth=2
	v_mov_b32_e32 v6, s9
	ds_read_b64 v[11:12], v5
	ds_read2_b64 v[19:22], v6 offset0:2 offset1:3
	ds_read2_b64 v[23:26], v6 offset1:1
	s_add_i32 s15, s15, -1
	s_addk_i32 s9, 0xff20
	v_add_u32_e32 v5, 0xffffff20, v5
	s_waitcnt lgkmcnt(1)
	v_mul_f32_e32 v6, v22, v12
	v_mul_f32_e32 v27, v21, v12
	;; [unrolled: 1-line block ×4, first 2 shown]
	s_waitcnt lgkmcnt(0)
	v_mul_f32_e32 v29, v26, v12
	v_mul_f32_e32 v26, v26, v11
	;; [unrolled: 1-line block ×4, first 2 shown]
	v_fma_f32 v6, v21, v11, -v6
	v_fmac_f32_e32 v27, v22, v11
	v_fma_f32 v21, v19, v11, -v28
	v_fmac_f32_e32 v20, v19, v12
	;; [unrolled: 2-line block ×4, first 2 shown]
	s_cmp_le_i32 s15, s14
	v_sub_f32_e32 v9, v9, v6
	v_sub_f32_e32 v10, v10, v27
	;; [unrolled: 1-line block ×8, first 2 shown]
	s_cbranch_scc0 .LBB167_52
.LBB167_53:                             ;   in Loop: Header=BB167_51 Depth=1
	s_lshl_b32 s18, s14, 3
	s_add_i32 s18, s18, s8
	v_mov_b32_e32 v5, s18
	ds_read_b64 v[11:12], v5
	s_add_i32 s15, s14, -3
	s_mov_b64 s[8:9], -1
                                        ; implicit-def: $vgpr6
	s_waitcnt lgkmcnt(0)
	v_cmp_ngt_f32_e64 s[22:23], |v11|, |v12|
	s_and_b64 vcc, exec, s[22:23]
	s_cbranch_vccz .LBB167_55
; %bb.54:                               ;   in Loop: Header=BB167_51 Depth=1
	v_div_scale_f32 v5, s[8:9], v12, v12, v11
	v_div_scale_f32 v6, vcc, v11, v12, v11
	v_rcp_f32_e32 v19, v5
	v_fma_f32 v20, -v5, v19, 1.0
	v_fmac_f32_e32 v19, v20, v19
	v_mul_f32_e32 v20, v6, v19
	v_fma_f32 v21, -v5, v20, v6
	v_fmac_f32_e32 v20, v21, v19
	v_fma_f32 v5, -v5, v20, v6
	v_div_fmas_f32 v5, v5, v19, v20
	v_div_fixup_f32 v5, v5, v12, v11
	v_fma_f32 v6, v11, v5, v12
	v_div_scale_f32 v19, s[8:9], v6, v6, 1.0
	v_div_scale_f32 v20, vcc, 1.0, v6, 1.0
	s_mov_b64 s[8:9], 0
	v_rcp_f32_e32 v21, v19
	v_fma_f32 v22, -v19, v21, 1.0
	v_fmac_f32_e32 v21, v22, v21
	v_mul_f32_e32 v22, v20, v21
	v_fma_f32 v23, -v19, v22, v20
	v_fmac_f32_e32 v22, v23, v21
	v_fma_f32 v19, -v19, v22, v20
	v_div_fmas_f32 v19, v19, v21, v22
	v_fma_f32 v20, v9, v5, v10
	v_fma_f32 v21, v10, v5, -v9
	v_div_fixup_f32 v6, v19, v6, 1.0
	v_mul_f32_e32 v5, v20, v6
	v_mul_f32_e32 v6, v21, v6
.LBB167_55:                             ;   in Loop: Header=BB167_51 Depth=1
	s_andn2_b64 vcc, exec, s[8:9]
	s_cbranch_vccnz .LBB167_57
; %bb.56:                               ;   in Loop: Header=BB167_51 Depth=1
	v_div_scale_f32 v5, s[8:9], v11, v11, v12
	v_div_scale_f32 v6, vcc, v12, v11, v12
	v_rcp_f32_e32 v19, v5
	v_fma_f32 v20, -v5, v19, 1.0
	v_fmac_f32_e32 v19, v20, v19
	v_mul_f32_e32 v20, v6, v19
	v_fma_f32 v21, -v5, v20, v6
	v_fmac_f32_e32 v20, v21, v19
	v_fma_f32 v5, -v5, v20, v6
	v_div_fmas_f32 v5, v5, v19, v20
	v_div_fixup_f32 v5, v5, v11, v12
	v_fmac_f32_e32 v11, v12, v5
	v_div_scale_f32 v6, s[8:9], v11, v11, 1.0
	v_div_scale_f32 v12, vcc, 1.0, v11, 1.0
	v_rcp_f32_e32 v19, v6
	v_fma_f32 v20, -v6, v19, 1.0
	v_fmac_f32_e32 v19, v20, v19
	v_mul_f32_e32 v20, v12, v19
	v_fma_f32 v21, -v6, v20, v12
	v_fmac_f32_e32 v20, v21, v19
	v_fma_f32 v6, -v6, v20, v12
	v_div_fmas_f32 v6, v6, v19, v20
	v_fma_f32 v12, v10, v5, v9
	v_fma_f32 v9, -v9, v5, v10
	v_div_fixup_f32 v6, v6, v11, 1.0
	v_mul_f32_e32 v5, v12, v6
	v_mul_f32_e32 v6, v9, v6
.LBB167_57:                             ;   in Loop: Header=BB167_51 Depth=1
	s_add_i32 s8, s18, -8
	v_mov_b32_e32 v9, s8
	s_add_i32 s19, s18, 0xffffff18
	ds_read_b64 v[11:12], v9
	v_mov_b32_e32 v9, s19
	ds_read_b64 v[9:10], v9
	ds_write_b64 v18, v[5:6]
	s_mov_b64 s[8:9], -1
	s_waitcnt lgkmcnt(2)
	v_mul_f32_e32 v18, v6, v12
	v_mul_f32_e32 v12, v5, v12
	v_fma_f32 v18, v5, v11, -v18
	v_fmac_f32_e32 v12, v6, v11
	s_waitcnt lgkmcnt(1)
	v_cmp_ngt_f32_e64 s[22:23], |v9|, |v10|
	v_sub_f32_e32 v11, v7, v18
	v_sub_f32_e32 v12, v8, v12
	s_and_b64 vcc, exec, s[22:23]
                                        ; implicit-def: $vgpr8
	s_cbranch_vccz .LBB167_59
; %bb.58:                               ;   in Loop: Header=BB167_51 Depth=1
	v_div_scale_f32 v7, s[8:9], v10, v10, v9
	v_div_scale_f32 v8, vcc, v9, v10, v9
	v_rcp_f32_e32 v18, v7
	v_fma_f32 v19, -v7, v18, 1.0
	v_fmac_f32_e32 v18, v19, v18
	v_mul_f32_e32 v19, v8, v18
	v_fma_f32 v20, -v7, v19, v8
	v_fmac_f32_e32 v19, v20, v18
	v_fma_f32 v7, -v7, v19, v8
	v_div_fmas_f32 v7, v7, v18, v19
	v_div_fixup_f32 v7, v7, v10, v9
	v_fma_f32 v8, v9, v7, v10
	v_div_scale_f32 v18, s[8:9], v8, v8, 1.0
	v_div_scale_f32 v19, vcc, 1.0, v8, 1.0
	s_mov_b64 s[8:9], 0
	v_rcp_f32_e32 v20, v18
	v_fma_f32 v21, -v18, v20, 1.0
	v_fmac_f32_e32 v20, v21, v20
	v_mul_f32_e32 v21, v19, v20
	v_fma_f32 v22, -v18, v21, v19
	v_fmac_f32_e32 v21, v22, v20
	v_fma_f32 v18, -v18, v21, v19
	v_div_fmas_f32 v18, v18, v20, v21
	v_fma_f32 v19, v7, v11, v12
	v_fma_f32 v20, v7, v12, -v11
	v_div_fixup_f32 v8, v18, v8, 1.0
	v_mul_f32_e32 v7, v19, v8
	v_mul_f32_e32 v8, v20, v8
.LBB167_59:                             ;   in Loop: Header=BB167_51 Depth=1
	s_andn2_b64 vcc, exec, s[8:9]
	s_cbranch_vccnz .LBB167_61
; %bb.60:                               ;   in Loop: Header=BB167_51 Depth=1
	v_div_scale_f32 v7, s[8:9], v9, v9, v10
	v_div_scale_f32 v8, vcc, v10, v9, v10
	v_rcp_f32_e32 v18, v7
	v_fma_f32 v19, -v7, v18, 1.0
	v_fmac_f32_e32 v18, v19, v18
	v_mul_f32_e32 v19, v8, v18
	v_fma_f32 v20, -v7, v19, v8
	v_fmac_f32_e32 v19, v20, v18
	v_fma_f32 v7, -v7, v19, v8
	v_div_fmas_f32 v7, v7, v18, v19
	v_div_fixup_f32 v7, v7, v9, v10
	v_fmac_f32_e32 v9, v10, v7
	v_div_scale_f32 v8, s[8:9], v9, v9, 1.0
	v_div_scale_f32 v10, vcc, 1.0, v9, 1.0
	v_rcp_f32_e32 v18, v8
	v_fma_f32 v19, -v8, v18, 1.0
	v_fmac_f32_e32 v18, v19, v18
	v_mul_f32_e32 v19, v10, v18
	v_fma_f32 v20, -v8, v19, v10
	v_fmac_f32_e32 v19, v20, v18
	v_fma_f32 v8, -v8, v19, v10
	v_div_fmas_f32 v8, v8, v18, v19
	v_fma_f32 v10, v7, v12, v11
	v_fma_f32 v11, -v7, v11, v12
	v_div_fixup_f32 v8, v8, v9, 1.0
	v_mul_f32_e32 v7, v10, v8
	v_mul_f32_e32 v8, v11, v8
.LBB167_61:                             ;   in Loop: Header=BB167_51 Depth=1
	s_add_i32 s8, s14, -1
	s_add_i32 s22, s18, -16
	;; [unrolled: 1-line block ×3, first 2 shown]
	v_mov_b32_e32 v9, s22
	s_lshl_b32 s8, s8, 3
	ds_read_b64 v[11:12], v9
	s_sub_i32 s23, s19, s8
	s_lshl_b32 s22, s9, 3
	s_add_i32 s8, s23, s22
	s_add_i32 s19, s18, 0xfffffe30
	ds_write_b64 v17, v[7:8]
	v_mov_b32_e32 v9, s8
	v_mov_b32_e32 v10, s19
	ds_read_b64 v[17:18], v9
	ds_read_b64 v[9:10], v10
	s_waitcnt lgkmcnt(3)
	v_mul_f32_e32 v19, v6, v12
	v_mul_f32_e32 v12, v5, v12
	v_fmac_f32_e32 v12, v6, v11
	v_fma_f32 v19, v5, v11, -v19
	v_sub_f32_e32 v4, v4, v12
	s_waitcnt lgkmcnt(1)
	v_mul_f32_e32 v11, v8, v18
	v_mul_f32_e32 v12, v7, v18
	v_sub_f32_e32 v3, v3, v19
	v_fma_f32 v11, v7, v17, -v11
	v_fmac_f32_e32 v12, v8, v17
	s_waitcnt lgkmcnt(0)
	v_cmp_ngt_f32_e64 s[26:27], |v9|, |v10|
	v_sub_f32_e32 v3, v3, v11
	v_sub_f32_e32 v4, v4, v12
	s_mov_b64 s[8:9], -1
	s_and_b64 vcc, exec, s[26:27]
                                        ; implicit-def: $vgpr12
	s_cbranch_vccz .LBB167_63
; %bb.62:                               ;   in Loop: Header=BB167_51 Depth=1
	v_div_scale_f32 v11, s[8:9], v10, v10, v9
	v_div_scale_f32 v12, vcc, v9, v10, v9
	v_rcp_f32_e32 v17, v11
	v_fma_f32 v18, -v11, v17, 1.0
	v_fmac_f32_e32 v17, v18, v17
	v_mul_f32_e32 v18, v12, v17
	v_fma_f32 v19, -v11, v18, v12
	v_fmac_f32_e32 v18, v19, v17
	v_fma_f32 v11, -v11, v18, v12
	v_div_fmas_f32 v11, v11, v17, v18
	v_div_fixup_f32 v11, v11, v10, v9
	v_fma_f32 v12, v9, v11, v10
	v_div_scale_f32 v17, s[8:9], v12, v12, 1.0
	v_div_scale_f32 v18, vcc, 1.0, v12, 1.0
	s_mov_b64 s[8:9], 0
	v_rcp_f32_e32 v19, v17
	v_fma_f32 v20, -v17, v19, 1.0
	v_fmac_f32_e32 v19, v20, v19
	v_mul_f32_e32 v20, v18, v19
	v_fma_f32 v21, -v17, v20, v18
	v_fmac_f32_e32 v20, v21, v19
	v_fma_f32 v17, -v17, v20, v18
	v_div_fmas_f32 v17, v17, v19, v20
	v_fma_f32 v18, v11, v3, v4
	v_fma_f32 v19, v11, v4, -v3
	v_div_fixup_f32 v12, v17, v12, 1.0
	v_mul_f32_e32 v11, v18, v12
	v_mul_f32_e32 v12, v19, v12
.LBB167_63:                             ;   in Loop: Header=BB167_51 Depth=1
	s_andn2_b64 vcc, exec, s[8:9]
	s_cbranch_vccnz .LBB167_65
; %bb.64:                               ;   in Loop: Header=BB167_51 Depth=1
	v_div_scale_f32 v11, s[8:9], v9, v9, v10
	v_div_scale_f32 v12, vcc, v10, v9, v10
	v_rcp_f32_e32 v17, v11
	v_fma_f32 v18, -v11, v17, 1.0
	v_fmac_f32_e32 v17, v18, v17
	v_mul_f32_e32 v18, v12, v17
	v_fma_f32 v19, -v11, v18, v12
	v_fmac_f32_e32 v18, v19, v17
	v_fma_f32 v11, -v11, v18, v12
	v_div_fmas_f32 v11, v11, v17, v18
	v_div_fixup_f32 v11, v11, v9, v10
	v_fmac_f32_e32 v9, v10, v11
	v_div_scale_f32 v10, s[8:9], v9, v9, 1.0
	v_div_scale_f32 v12, vcc, 1.0, v9, 1.0
	v_rcp_f32_e32 v17, v10
	v_fma_f32 v18, -v10, v17, 1.0
	v_fmac_f32_e32 v17, v18, v17
	v_mul_f32_e32 v18, v12, v17
	v_fma_f32 v19, -v10, v18, v12
	v_fmac_f32_e32 v18, v19, v17
	v_fma_f32 v10, -v10, v18, v12
	v_div_fmas_f32 v10, v10, v17, v18
	v_fma_f32 v12, v11, v4, v3
	v_fma_f32 v3, -v11, v3, v4
	v_div_fixup_f32 v4, v10, v9, 1.0
	v_mul_f32_e32 v11, v12, v4
	v_mul_f32_e32 v12, v3, v4
.LBB167_65:                             ;   in Loop: Header=BB167_51 Depth=1
	s_sub_i32 s8, s18, 24
	v_mov_b32_e32 v3, s8
	s_lshl_b32 s8, s15, 3
	ds_read_b64 v[9:10], v3
	s_add_i32 s9, s23, s8
	v_mov_b32_e32 v3, s9
	s_sub_i32 s9, s19, s22
	s_add_i32 s8, s9, s8
	v_mov_b32_e32 v4, s8
	s_add_i32 s8, s19, 0xffffff18
	ds_write_b64 v16, v[11:12]
	v_mov_b32_e32 v20, s8
	ds_read_b64 v[16:17], v3
	ds_read_b64 v[18:19], v4
	;; [unrolled: 1-line block ×3, first 2 shown]
	s_waitcnt lgkmcnt(4)
	v_mul_f32_e32 v20, v6, v10
	v_fma_f32 v20, v5, v9, -v20
	v_mul_f32_e32 v5, v5, v10
	v_fmac_f32_e32 v5, v6, v9
	v_sub_f32_e32 v2, v2, v5
	s_waitcnt lgkmcnt(2)
	v_mul_f32_e32 v5, v8, v17
	v_mul_f32_e32 v6, v7, v17
	v_sub_f32_e32 v1, v1, v20
	v_fma_f32 v5, v7, v16, -v5
	v_fmac_f32_e32 v6, v8, v16
	v_sub_f32_e32 v1, v1, v5
	v_sub_f32_e32 v2, v2, v6
	s_waitcnt lgkmcnt(1)
	v_mul_f32_e32 v5, v12, v19
	v_mul_f32_e32 v6, v11, v19
	v_fma_f32 v5, v11, v18, -v5
	v_fmac_f32_e32 v6, v12, v18
	s_waitcnt lgkmcnt(0)
	v_cmp_ngt_f32_e64 s[18:19], |v3|, |v4|
	v_sub_f32_e32 v5, v1, v5
	v_sub_f32_e32 v6, v2, v6
	s_mov_b64 s[8:9], -1
	s_and_b64 vcc, exec, s[18:19]
                                        ; implicit-def: $vgpr2
	s_cbranch_vccz .LBB167_67
; %bb.66:                               ;   in Loop: Header=BB167_51 Depth=1
	v_div_scale_f32 v1, s[8:9], v4, v4, v3
	v_div_scale_f32 v2, vcc, v3, v4, v3
	v_rcp_f32_e32 v7, v1
	v_fma_f32 v8, -v1, v7, 1.0
	v_fmac_f32_e32 v7, v8, v7
	v_mul_f32_e32 v8, v2, v7
	v_fma_f32 v9, -v1, v8, v2
	v_fmac_f32_e32 v8, v9, v7
	v_fma_f32 v1, -v1, v8, v2
	v_div_fmas_f32 v1, v1, v7, v8
	v_div_fixup_f32 v1, v1, v4, v3
	v_fma_f32 v2, v3, v1, v4
	v_div_scale_f32 v7, s[8:9], v2, v2, 1.0
	v_div_scale_f32 v8, vcc, 1.0, v2, 1.0
	s_mov_b64 s[8:9], 0
	v_rcp_f32_e32 v9, v7
	v_fma_f32 v10, -v7, v9, 1.0
	v_fmac_f32_e32 v9, v10, v9
	v_mul_f32_e32 v10, v8, v9
	v_fma_f32 v11, -v7, v10, v8
	v_fmac_f32_e32 v10, v11, v9
	v_fma_f32 v7, -v7, v10, v8
	v_div_fmas_f32 v7, v7, v9, v10
	v_fma_f32 v8, v1, v5, v6
	v_fma_f32 v9, v1, v6, -v5
	v_div_fixup_f32 v2, v7, v2, 1.0
	v_mul_f32_e32 v1, v8, v2
	v_mul_f32_e32 v2, v9, v2
.LBB167_67:                             ;   in Loop: Header=BB167_51 Depth=1
	s_andn2_b64 vcc, exec, s[8:9]
	s_cbranch_vccnz .LBB167_69
; %bb.68:                               ;   in Loop: Header=BB167_51 Depth=1
	v_div_scale_f32 v1, s[8:9], v3, v3, v4
	v_div_scale_f32 v2, vcc, v4, v3, v4
	v_rcp_f32_e32 v7, v1
	v_fma_f32 v8, -v1, v7, 1.0
	v_fmac_f32_e32 v7, v8, v7
	v_mul_f32_e32 v8, v2, v7
	v_fma_f32 v9, -v1, v8, v2
	v_fmac_f32_e32 v8, v9, v7
	v_fma_f32 v1, -v1, v8, v2
	v_div_fmas_f32 v1, v1, v7, v8
	v_div_fixup_f32 v1, v1, v3, v4
	v_fmac_f32_e32 v3, v4, v1
	v_div_scale_f32 v2, s[8:9], v3, v3, 1.0
	v_div_scale_f32 v4, vcc, 1.0, v3, 1.0
	v_rcp_f32_e32 v7, v2
	v_fma_f32 v8, -v2, v7, 1.0
	v_fmac_f32_e32 v7, v8, v7
	v_mul_f32_e32 v8, v4, v7
	v_fma_f32 v9, -v2, v8, v4
	v_fmac_f32_e32 v8, v9, v7
	v_fma_f32 v2, -v2, v8, v4
	v_div_fmas_f32 v2, v2, v7, v8
	v_fma_f32 v4, v1, v6, v5
	v_fma_f32 v5, -v1, v5, v6
	v_div_fixup_f32 v2, v2, v3, 1.0
	v_mul_f32_e32 v1, v4, v2
	v_mul_f32_e32 v2, v5, v2
.LBB167_69:                             ;   in Loop: Header=BB167_51 Depth=1
	s_add_i32 s15, s14, -4
	s_sub_i32 s13, s13, 32
	s_cmp_lt_i32 s14, 7
	ds_write_b64 v14, v[1:2]
	s_cbranch_scc1 .LBB167_71
; %bb.70:                               ;   in Loop: Header=BB167_51 Depth=1
	s_mov_b32 s14, s15
	s_branch .LBB167_51
.LBB167_71:
	s_cmp_lt_i32 s15, 0
	s_cbranch_scc1 .LBB167_80
; %bb.72:
	s_mul_i32 s8, s24, 0xe0
	s_lshl_b32 s9, s15, 3
	s_add_i32 s9, s8, s9
	v_lshl_add_u32 v1, v0, 3, s8
	s_add_i32 s13, s9, 0xffffff20
	v_add_u32_e32 v7, 0x17a0, v1
	s_branch .LBB167_74
.LBB167_73:                             ;   in Loop: Header=BB167_74 Depth=1
	v_sub_co_u32_e64 v1, s[8:9], s15, 1
	v_readfirstlane_b32 s15, v1
	s_add_i32 s13, s13, -8
	s_and_b64 vcc, exec, s[8:9]
	ds_write_b64 v8, v[5:6]
	s_cbranch_vccnz .LBB167_80
.LBB167_74:                             ; =>This Loop Header: Depth=1
                                        ;     Child Loop BB167_75 Depth 2
	s_mul_i32 s8, s15, 0xe0
	v_add_u32_e32 v8, s8, v15
	ds_read_b64 v[1:2], v8
	s_cmp_le_i32 s11, s15
	v_mov_b32_e32 v3, v7
	s_mov_b32 s9, s13
	s_mov_b32 s14, s11
	s_cbranch_scc1 .LBB167_76
.LBB167_75:                             ;   Parent Loop BB167_74 Depth=1
                                        ; =>  This Inner Loop Header: Depth=2
	v_mov_b32_e32 v6, s9
	ds_read_b64 v[4:5], v3
	ds_read_b64 v[9:10], v6
	s_add_i32 s14, s14, -1
	s_addk_i32 s9, 0xff20
	v_add_u32_e32 v3, 0xffffff20, v3
	s_cmp_le_u32 s14, s15
	s_waitcnt lgkmcnt(0)
	v_mul_f32_e32 v6, v10, v5
	v_mul_f32_e32 v5, v9, v5
	v_fma_f32 v6, v9, v4, -v6
	v_fmac_f32_e32 v5, v10, v4
	v_sub_f32_e32 v1, v1, v6
	v_sub_f32_e32 v2, v2, v5
	s_cbranch_scc0 .LBB167_75
.LBB167_76:                             ;   in Loop: Header=BB167_74 Depth=1
	s_lshl_b32 s9, s15, 3
	s_add_i32 s8, s9, s8
	v_mov_b32_e32 v3, s8
	ds_read_b64 v[3:4], v3
	s_mov_b64 s[8:9], -1
                                        ; implicit-def: $vgpr5
	s_waitcnt lgkmcnt(0)
	v_cmp_ngt_f32_e64 s[18:19], |v3|, |v4|
	s_and_b64 vcc, exec, s[18:19]
	s_cbranch_vccz .LBB167_78
; %bb.77:                               ;   in Loop: Header=BB167_74 Depth=1
	v_div_scale_f32 v5, s[8:9], v4, v4, v3
	v_div_scale_f32 v6, vcc, v3, v4, v3
	v_rcp_f32_e32 v9, v5
	v_fma_f32 v10, -v5, v9, 1.0
	v_fmac_f32_e32 v9, v10, v9
	v_mul_f32_e32 v10, v6, v9
	v_fma_f32 v11, -v5, v10, v6
	v_fmac_f32_e32 v10, v11, v9
	v_fma_f32 v5, -v5, v10, v6
	v_div_fmas_f32 v5, v5, v9, v10
	v_div_fixup_f32 v5, v5, v4, v3
	v_fma_f32 v6, v3, v5, v4
	v_div_scale_f32 v9, s[8:9], v6, v6, 1.0
	v_div_scale_f32 v10, vcc, 1.0, v6, 1.0
	s_mov_b64 s[8:9], 0
	v_rcp_f32_e32 v11, v9
	v_fma_f32 v12, -v9, v11, 1.0
	v_fmac_f32_e32 v11, v12, v11
	v_mul_f32_e32 v12, v10, v11
	v_fma_f32 v13, -v9, v12, v10
	v_fmac_f32_e32 v12, v13, v11
	v_fma_f32 v9, -v9, v12, v10
	v_div_fmas_f32 v9, v9, v11, v12
	v_fma_f32 v10, v1, v5, v2
	v_fma_f32 v11, v2, v5, -v1
	v_div_fixup_f32 v6, v9, v6, 1.0
	v_mul_f32_e32 v5, v10, v6
	v_mul_f32_e32 v6, v11, v6
.LBB167_78:                             ;   in Loop: Header=BB167_74 Depth=1
	s_andn2_b64 vcc, exec, s[8:9]
	s_cbranch_vccnz .LBB167_73
; %bb.79:                               ;   in Loop: Header=BB167_74 Depth=1
	v_div_scale_f32 v5, s[8:9], v3, v3, v4
	v_div_scale_f32 v6, vcc, v4, v3, v4
	v_rcp_f32_e32 v9, v5
	v_fma_f32 v10, -v5, v9, 1.0
	v_fmac_f32_e32 v9, v10, v9
	v_mul_f32_e32 v10, v6, v9
	v_fma_f32 v11, -v5, v10, v6
	v_fmac_f32_e32 v10, v11, v9
	v_fma_f32 v5, -v5, v10, v6
	v_div_fmas_f32 v5, v5, v9, v10
	v_div_fixup_f32 v5, v5, v3, v4
	v_fmac_f32_e32 v3, v4, v5
	v_div_scale_f32 v4, s[8:9], v3, v3, 1.0
	v_div_scale_f32 v6, vcc, 1.0, v3, 1.0
	v_rcp_f32_e32 v9, v4
	v_fma_f32 v10, -v4, v9, 1.0
	v_fmac_f32_e32 v9, v10, v9
	v_mul_f32_e32 v10, v6, v9
	v_fma_f32 v11, -v4, v10, v6
	v_fmac_f32_e32 v10, v11, v9
	v_fma_f32 v4, -v4, v10, v6
	v_div_fmas_f32 v4, v4, v9, v10
	v_fma_f32 v6, v2, v5, v1
	v_fma_f32 v1, -v1, v5, v2
	v_div_fixup_f32 v2, v4, v3, 1.0
	v_mul_f32_e32 v5, v6, v2
	v_mul_f32_e32 v6, v1, v2
	s_branch .LBB167_73
.LBB167_80:
	s_mov_b64 s[8:9], 0
.LBB167_81:
	s_andn2_b64 vcc, exec, s[8:9]
	s_cbranch_vccnz .LBB167_113
; %bb.82:
	s_andn2_b64 vcc, exec, s[6:7]
	s_mul_i32 s8, s24, 0xe0
	s_mov_b32 s14, s11
	s_cbranch_vccnz .LBB167_104
; %bb.83:
	v_lshl_add_u32 v1, v0, 3, s8
	s_mul_i32 s6, s24, 0xe8
	v_add_u32_e32 v13, 0x17a0, v1
	s_add_i32 s9, s6, 0xfffffc78
	s_mov_b32 s13, s11
.LBB167_84:                             ; =>This Loop Header: Depth=1
                                        ;     Child Loop BB167_85 Depth 2
	s_mul_i32 s14, s13, 28
	v_lshl_add_u32 v18, s14, 3, v15
	v_add_u32_e32 v17, 0xffffff20, v18
	v_add_u32_e32 v16, 0xfffffe40, v18
	;; [unrolled: 1-line block ×3, first 2 shown]
	ds_read_b64 v[1:2], v18
	ds_read_b64 v[11:12], v17
	;; [unrolled: 1-line block ×4, first 2 shown]
	s_cmp_le_i32 s11, s13
	s_mov_b32 s6, s9
	v_mov_b32_e32 v3, v13
	s_mov_b32 s7, s11
	s_cbranch_scc1 .LBB167_86
.LBB167_85:                             ;   Parent Loop BB167_84 Depth=1
                                        ; =>  This Inner Loop Header: Depth=2
	v_mov_b32_e32 v4, s6
	ds_read_b64 v[9:10], v3
	ds_read2_b64 v[19:22], v4 offset0:56 offset1:84
	ds_read2_b64 v[23:26], v4 offset1:28
	s_add_i32 s7, s7, -1
	s_add_i32 s6, s6, -8
	v_add_u32_e32 v3, 0xffffff20, v3
	s_waitcnt lgkmcnt(1)
	v_mul_f32_e32 v4, v22, v10
	v_mul_f32_e32 v27, v21, v10
	;; [unrolled: 1-line block ×4, first 2 shown]
	s_waitcnt lgkmcnt(0)
	v_mul_f32_e32 v29, v26, v10
	v_mul_f32_e32 v26, v26, v9
	;; [unrolled: 1-line block ×4, first 2 shown]
	v_fma_f32 v4, v21, v9, -v4
	v_fmac_f32_e32 v27, v22, v9
	v_fma_f32 v21, v19, v9, -v28
	v_fmac_f32_e32 v20, v19, v10
	;; [unrolled: 2-line block ×4, first 2 shown]
	s_cmp_le_i32 s7, s13
	v_sub_f32_e32 v1, v1, v4
	v_sub_f32_e32 v2, v2, v27
	;; [unrolled: 1-line block ×8, first 2 shown]
	s_cbranch_scc0 .LBB167_85
.LBB167_86:                             ;   in Loop: Header=BB167_84 Depth=1
	s_mul_i32 s6, s13, 0xe8
	v_mov_b32_e32 v3, s6
	ds_read_b64 v[3:4], v3
	s_mov_b64 s[6:7], -1
                                        ; implicit-def: $vgpr10
	s_waitcnt lgkmcnt(0)
	v_cmp_ngt_f32_e64 s[18:19], |v3|, |v4|
	s_and_b64 vcc, exec, s[18:19]
	s_cbranch_vccz .LBB167_88
; %bb.87:                               ;   in Loop: Header=BB167_84 Depth=1
	v_div_scale_f32 v9, s[6:7], v4, v4, v3
	v_div_scale_f32 v10, vcc, v3, v4, v3
	v_rcp_f32_e32 v19, v9
	v_fma_f32 v20, -v9, v19, 1.0
	v_fmac_f32_e32 v19, v20, v19
	v_mul_f32_e32 v20, v10, v19
	v_fma_f32 v21, -v9, v20, v10
	v_fmac_f32_e32 v20, v21, v19
	v_fma_f32 v9, -v9, v20, v10
	v_div_fmas_f32 v9, v9, v19, v20
	v_div_fixup_f32 v9, v9, v4, v3
	v_fma_f32 v10, v3, v9, v4
	v_div_scale_f32 v19, s[6:7], v10, v10, 1.0
	v_div_scale_f32 v20, vcc, 1.0, v10, 1.0
	s_mov_b64 s[6:7], 0
	v_rcp_f32_e32 v21, v19
	v_fma_f32 v22, -v19, v21, 1.0
	v_fmac_f32_e32 v21, v22, v21
	v_mul_f32_e32 v22, v20, v21
	v_fma_f32 v23, -v19, v22, v20
	v_fmac_f32_e32 v22, v23, v21
	v_fma_f32 v19, -v19, v22, v20
	v_div_fmas_f32 v19, v19, v21, v22
	v_fma_f32 v20, v1, v9, v2
	v_fma_f32 v21, v2, v9, -v1
	v_div_fixup_f32 v10, v19, v10, 1.0
	v_mul_f32_e32 v9, v20, v10
	v_mul_f32_e32 v10, v21, v10
.LBB167_88:                             ;   in Loop: Header=BB167_84 Depth=1
	s_andn2_b64 vcc, exec, s[6:7]
	s_cbranch_vccnz .LBB167_90
; %bb.89:                               ;   in Loop: Header=BB167_84 Depth=1
	v_div_scale_f32 v9, s[6:7], v3, v3, v4
	v_div_scale_f32 v10, vcc, v4, v3, v4
	v_rcp_f32_e32 v19, v9
	v_fma_f32 v20, -v9, v19, 1.0
	v_fmac_f32_e32 v19, v20, v19
	v_mul_f32_e32 v20, v10, v19
	v_fma_f32 v21, -v9, v20, v10
	v_fmac_f32_e32 v20, v21, v19
	v_fma_f32 v9, -v9, v20, v10
	v_div_fmas_f32 v9, v9, v19, v20
	v_div_fixup_f32 v9, v9, v3, v4
	v_fmac_f32_e32 v3, v4, v9
	v_div_scale_f32 v4, s[6:7], v3, v3, 1.0
	v_div_scale_f32 v10, vcc, 1.0, v3, 1.0
	v_rcp_f32_e32 v19, v4
	v_fma_f32 v20, -v4, v19, 1.0
	v_fmac_f32_e32 v19, v20, v19
	v_mul_f32_e32 v20, v10, v19
	v_fma_f32 v21, -v4, v20, v10
	v_fmac_f32_e32 v20, v21, v19
	v_fma_f32 v4, -v4, v20, v10
	v_div_fmas_f32 v4, v4, v19, v20
	v_fma_f32 v10, v2, v9, v1
	v_fma_f32 v1, -v1, v9, v2
	v_div_fixup_f32 v2, v4, v3, 1.0
	v_mul_f32_e32 v9, v10, v2
	v_mul_f32_e32 v10, v1, v2
.LBB167_90:                             ;   in Loop: Header=BB167_84 Depth=1
	s_lshl_b32 s14, s14, 3
	s_lshl_b32 s15, s13, 3
	s_addk_i32 s14, 0xff20
	s_add_i32 s6, s15, s14
	s_add_i32 s6, s6, -8
	v_mov_b32_e32 v1, s6
	ds_read2_b64 v[1:4], v1 offset1:1
	ds_write_b64 v18, v[9:10]
	s_mov_b64 s[6:7], -1
	s_waitcnt lgkmcnt(1)
	v_mul_f32_e32 v18, v10, v4
	v_mul_f32_e32 v4, v9, v4
	v_fma_f32 v18, v9, v3, -v18
	v_fmac_f32_e32 v4, v10, v3
	v_cmp_ngt_f32_e64 s[18:19], |v1|, |v2|
	v_sub_f32_e32 v3, v11, v18
	v_sub_f32_e32 v4, v12, v4
	s_and_b64 vcc, exec, s[18:19]
                                        ; implicit-def: $vgpr12
	s_cbranch_vccz .LBB167_92
; %bb.91:                               ;   in Loop: Header=BB167_84 Depth=1
	v_div_scale_f32 v11, s[6:7], v2, v2, v1
	v_div_scale_f32 v12, vcc, v1, v2, v1
	v_rcp_f32_e32 v18, v11
	v_fma_f32 v19, -v11, v18, 1.0
	v_fmac_f32_e32 v18, v19, v18
	v_mul_f32_e32 v19, v12, v18
	v_fma_f32 v20, -v11, v19, v12
	v_fmac_f32_e32 v19, v20, v18
	v_fma_f32 v11, -v11, v19, v12
	v_div_fmas_f32 v11, v11, v18, v19
	v_div_fixup_f32 v11, v11, v2, v1
	v_fma_f32 v12, v1, v11, v2
	v_div_scale_f32 v18, s[6:7], v12, v12, 1.0
	v_div_scale_f32 v19, vcc, 1.0, v12, 1.0
	s_mov_b64 s[6:7], 0
	v_rcp_f32_e32 v20, v18
	v_fma_f32 v21, -v18, v20, 1.0
	v_fmac_f32_e32 v20, v21, v20
	v_mul_f32_e32 v21, v19, v20
	v_fma_f32 v22, -v18, v21, v19
	v_fmac_f32_e32 v21, v22, v20
	v_fma_f32 v18, -v18, v21, v19
	v_div_fmas_f32 v18, v18, v20, v21
	v_fma_f32 v19, v11, v3, v4
	v_fma_f32 v20, v11, v4, -v3
	v_div_fixup_f32 v12, v18, v12, 1.0
	v_mul_f32_e32 v11, v19, v12
	v_mul_f32_e32 v12, v20, v12
.LBB167_92:                             ;   in Loop: Header=BB167_84 Depth=1
	s_andn2_b64 vcc, exec, s[6:7]
	s_cbranch_vccnz .LBB167_94
; %bb.93:                               ;   in Loop: Header=BB167_84 Depth=1
	v_div_scale_f32 v11, s[6:7], v1, v1, v2
	v_div_scale_f32 v12, vcc, v2, v1, v2
	v_rcp_f32_e32 v18, v11
	v_fma_f32 v19, -v11, v18, 1.0
	v_fmac_f32_e32 v18, v19, v18
	v_mul_f32_e32 v19, v12, v18
	v_fma_f32 v20, -v11, v19, v12
	v_fmac_f32_e32 v19, v20, v18
	v_fma_f32 v11, -v11, v19, v12
	v_div_fmas_f32 v11, v11, v18, v19
	v_div_fixup_f32 v11, v11, v1, v2
	v_fmac_f32_e32 v1, v2, v11
	v_div_scale_f32 v2, s[6:7], v1, v1, 1.0
	v_div_scale_f32 v12, vcc, 1.0, v1, 1.0
	v_rcp_f32_e32 v18, v2
	v_fma_f32 v19, -v2, v18, 1.0
	v_fmac_f32_e32 v18, v19, v18
	v_mul_f32_e32 v19, v12, v18
	v_fma_f32 v20, -v2, v19, v12
	v_fmac_f32_e32 v19, v20, v18
	v_fma_f32 v2, -v2, v19, v12
	v_div_fmas_f32 v2, v2, v18, v19
	v_fma_f32 v12, v11, v4, v3
	v_fma_f32 v3, -v11, v3, v4
	v_div_fixup_f32 v1, v2, v1, 1.0
	v_mul_f32_e32 v11, v12, v1
	v_mul_f32_e32 v12, v3, v1
.LBB167_94:                             ;   in Loop: Header=BB167_84 Depth=1
	s_addk_i32 s14, 0xff20
	s_add_i32 s14, s14, s15
	v_mov_b32_e32 v1, s14
	ds_read_b64 v[18:19], v1
	s_add_i32 s6, s14, -16
	v_mov_b32_e32 v1, s6
	ds_read2_b64 v[1:4], v1 offset1:1
	ds_write_b64 v17, v[11:12]
	s_waitcnt lgkmcnt(2)
	v_mul_f32_e32 v17, v10, v19
	v_fma_f32 v17, v9, v18, -v17
	v_mul_f32_e32 v19, v9, v19
	v_fmac_f32_e32 v19, v10, v18
	v_sub_f32_e32 v7, v7, v17
	s_waitcnt lgkmcnt(1)
	v_mul_f32_e32 v17, v12, v4
	v_mul_f32_e32 v4, v11, v4
	v_sub_f32_e32 v8, v8, v19
	v_fma_f32 v17, v11, v3, -v17
	v_fmac_f32_e32 v4, v12, v3
	v_cmp_ngt_f32_e64 s[18:19], |v1|, |v2|
	v_sub_f32_e32 v3, v7, v17
	v_sub_f32_e32 v4, v8, v4
	s_mov_b64 s[6:7], -1
	s_and_b64 vcc, exec, s[18:19]
                                        ; implicit-def: $vgpr8
	s_cbranch_vccz .LBB167_96
; %bb.95:                               ;   in Loop: Header=BB167_84 Depth=1
	v_div_scale_f32 v7, s[6:7], v2, v2, v1
	v_div_scale_f32 v8, vcc, v1, v2, v1
	v_rcp_f32_e32 v17, v7
	v_fma_f32 v18, -v7, v17, 1.0
	v_fmac_f32_e32 v17, v18, v17
	v_mul_f32_e32 v18, v8, v17
	v_fma_f32 v19, -v7, v18, v8
	v_fmac_f32_e32 v18, v19, v17
	v_fma_f32 v7, -v7, v18, v8
	v_div_fmas_f32 v7, v7, v17, v18
	v_div_fixup_f32 v7, v7, v2, v1
	v_fma_f32 v8, v1, v7, v2
	v_div_scale_f32 v17, s[6:7], v8, v8, 1.0
	v_div_scale_f32 v18, vcc, 1.0, v8, 1.0
	s_mov_b64 s[6:7], 0
	v_rcp_f32_e32 v19, v17
	v_fma_f32 v20, -v17, v19, 1.0
	v_fmac_f32_e32 v19, v20, v19
	v_mul_f32_e32 v20, v18, v19
	v_fma_f32 v21, -v17, v20, v18
	v_fmac_f32_e32 v20, v21, v19
	v_fma_f32 v17, -v17, v20, v18
	v_div_fmas_f32 v17, v17, v19, v20
	v_fma_f32 v18, v7, v3, v4
	v_fma_f32 v19, v7, v4, -v3
	v_div_fixup_f32 v8, v17, v8, 1.0
	v_mul_f32_e32 v7, v18, v8
	v_mul_f32_e32 v8, v19, v8
.LBB167_96:                             ;   in Loop: Header=BB167_84 Depth=1
	s_andn2_b64 vcc, exec, s[6:7]
	s_cbranch_vccnz .LBB167_98
; %bb.97:                               ;   in Loop: Header=BB167_84 Depth=1
	v_div_scale_f32 v7, s[6:7], v1, v1, v2
	v_div_scale_f32 v8, vcc, v2, v1, v2
	v_rcp_f32_e32 v17, v7
	v_fma_f32 v18, -v7, v17, 1.0
	v_fmac_f32_e32 v17, v18, v17
	v_mul_f32_e32 v18, v8, v17
	v_fma_f32 v19, -v7, v18, v8
	v_fmac_f32_e32 v18, v19, v17
	v_fma_f32 v7, -v7, v18, v8
	v_div_fmas_f32 v7, v7, v17, v18
	v_div_fixup_f32 v7, v7, v1, v2
	v_fmac_f32_e32 v1, v2, v7
	v_div_scale_f32 v2, s[6:7], v1, v1, 1.0
	v_div_scale_f32 v8, vcc, 1.0, v1, 1.0
	v_rcp_f32_e32 v17, v2
	v_fma_f32 v18, -v2, v17, 1.0
	v_fmac_f32_e32 v17, v18, v17
	v_mul_f32_e32 v18, v8, v17
	v_fma_f32 v19, -v2, v18, v8
	v_fmac_f32_e32 v18, v19, v17
	v_fma_f32 v2, -v2, v18, v8
	v_div_fmas_f32 v2, v2, v17, v18
	v_fma_f32 v8, v7, v4, v3
	v_fma_f32 v3, -v7, v3, v4
	v_div_fixup_f32 v1, v2, v1, 1.0
	v_mul_f32_e32 v7, v8, v1
	v_mul_f32_e32 v8, v3, v1
.LBB167_98:                             ;   in Loop: Header=BB167_84 Depth=1
	s_add_i32 s6, s14, 0xffffff18
	v_mov_b32_e32 v1, s6
	ds_read2_b64 v[17:20], v1 offset1:1
	s_add_i32 s6, s14, 0xffffff08
	v_mov_b32_e32 v1, s6
	ds_write_b64 v16, v[7:8]
	ds_read2_b64 v[1:4], v1 offset1:1
	s_waitcnt lgkmcnt(2)
	v_mul_f32_e32 v16, v10, v20
	v_fma_f32 v16, v9, v19, -v16
	v_mul_f32_e32 v9, v9, v20
	v_fmac_f32_e32 v9, v10, v19
	v_sub_f32_e32 v6, v6, v9
	v_mul_f32_e32 v9, v12, v18
	v_sub_f32_e32 v5, v5, v16
	v_fma_f32 v9, v11, v17, -v9
	v_mul_f32_e32 v10, v11, v18
	v_fmac_f32_e32 v10, v12, v17
	v_sub_f32_e32 v5, v5, v9
	s_waitcnt lgkmcnt(0)
	v_mul_f32_e32 v9, v8, v4
	v_mul_f32_e32 v4, v7, v4
	v_sub_f32_e32 v6, v6, v10
	v_fma_f32 v9, v7, v3, -v9
	v_fmac_f32_e32 v4, v8, v3
	v_cmp_ngt_f32_e64 s[14:15], |v1|, |v2|
	v_sub_f32_e32 v5, v5, v9
	v_sub_f32_e32 v6, v6, v4
	s_mov_b64 s[6:7], -1
	s_and_b64 vcc, exec, s[14:15]
                                        ; implicit-def: $vgpr4
	s_cbranch_vccz .LBB167_100
; %bb.99:                               ;   in Loop: Header=BB167_84 Depth=1
	v_div_scale_f32 v3, s[6:7], v2, v2, v1
	v_div_scale_f32 v4, vcc, v1, v2, v1
	v_rcp_f32_e32 v7, v3
	v_fma_f32 v8, -v3, v7, 1.0
	v_fmac_f32_e32 v7, v8, v7
	v_mul_f32_e32 v8, v4, v7
	v_fma_f32 v9, -v3, v8, v4
	v_fmac_f32_e32 v8, v9, v7
	v_fma_f32 v3, -v3, v8, v4
	v_div_fmas_f32 v3, v3, v7, v8
	v_div_fixup_f32 v3, v3, v2, v1
	v_fma_f32 v4, v1, v3, v2
	v_div_scale_f32 v7, s[6:7], v4, v4, 1.0
	v_div_scale_f32 v8, vcc, 1.0, v4, 1.0
	s_mov_b64 s[6:7], 0
	v_rcp_f32_e32 v9, v7
	v_fma_f32 v10, -v7, v9, 1.0
	v_fmac_f32_e32 v9, v10, v9
	v_mul_f32_e32 v10, v8, v9
	v_fma_f32 v11, -v7, v10, v8
	v_fmac_f32_e32 v10, v11, v9
	v_fma_f32 v7, -v7, v10, v8
	v_div_fmas_f32 v7, v7, v9, v10
	v_fma_f32 v8, v3, v5, v6
	v_fma_f32 v9, v3, v6, -v5
	v_div_fixup_f32 v4, v7, v4, 1.0
	v_mul_f32_e32 v3, v8, v4
	v_mul_f32_e32 v4, v9, v4
.LBB167_100:                            ;   in Loop: Header=BB167_84 Depth=1
	s_andn2_b64 vcc, exec, s[6:7]
	s_cbranch_vccnz .LBB167_102
; %bb.101:                              ;   in Loop: Header=BB167_84 Depth=1
	v_div_scale_f32 v3, s[6:7], v1, v1, v2
	v_div_scale_f32 v4, vcc, v2, v1, v2
	v_rcp_f32_e32 v7, v3
	v_fma_f32 v8, -v3, v7, 1.0
	v_fmac_f32_e32 v7, v8, v7
	v_mul_f32_e32 v8, v4, v7
	v_fma_f32 v9, -v3, v8, v4
	v_fmac_f32_e32 v8, v9, v7
	v_fma_f32 v3, -v3, v8, v4
	v_div_fmas_f32 v3, v3, v7, v8
	v_div_fixup_f32 v3, v3, v1, v2
	v_fmac_f32_e32 v1, v2, v3
	v_div_scale_f32 v2, s[6:7], v1, v1, 1.0
	v_div_scale_f32 v4, vcc, 1.0, v1, 1.0
	v_rcp_f32_e32 v7, v2
	v_fma_f32 v8, -v2, v7, 1.0
	v_fmac_f32_e32 v7, v8, v7
	v_mul_f32_e32 v8, v4, v7
	v_fma_f32 v9, -v2, v8, v4
	v_fmac_f32_e32 v8, v9, v7
	v_fma_f32 v2, -v2, v8, v4
	v_div_fmas_f32 v2, v2, v7, v8
	v_fma_f32 v4, v3, v6, v5
	v_fma_f32 v5, -v3, v5, v6
	v_div_fixup_f32 v1, v2, v1, 1.0
	v_mul_f32_e32 v3, v4, v1
	v_mul_f32_e32 v4, v5, v1
.LBB167_102:                            ;   in Loop: Header=BB167_84 Depth=1
	s_add_i32 s14, s13, -4
	s_addk_i32 s9, 0xfc80
	s_cmp_lt_i32 s13, 7
	ds_write_b64 v14, v[3:4]
	s_cbranch_scc1 .LBB167_104
; %bb.103:                              ;   in Loop: Header=BB167_84 Depth=1
	s_mov_b32 s13, s14
	s_branch .LBB167_84
.LBB167_104:
	s_cmp_lt_i32 s14, 0
	s_cbranch_scc1 .LBB167_113
; %bb.105:
	s_mul_i32 s6, s14, 0xe0
	s_lshl_b32 s7, s24, 3
	v_lshl_add_u32 v1, v0, 3, s8
	s_add_i32 s6, s6, s7
	v_add_u32_e32 v7, 0x17a0, v1
	s_add_i32 s8, s6, -8
	s_branch .LBB167_107
.LBB167_106:                            ;   in Loop: Header=BB167_107 Depth=1
	v_sub_co_u32_e64 v1, s[6:7], s14, 1
	v_readfirstlane_b32 s14, v1
	s_addk_i32 s8, 0xff20
	s_and_b64 vcc, exec, s[6:7]
	ds_write_b64 v8, v[5:6]
	s_cbranch_vccnz .LBB167_113
.LBB167_107:                            ; =>This Loop Header: Depth=1
                                        ;     Child Loop BB167_108 Depth 2
	s_mul_i32 s6, s14, 0xe0
	v_add_u32_e32 v8, s6, v15
	ds_read_b64 v[1:2], v8
	s_cmp_le_i32 s11, s14
	s_mov_b32 s6, s8
	v_mov_b32_e32 v3, v7
	s_mov_b32 s7, s11
	s_cbranch_scc1 .LBB167_109
.LBB167_108:                            ;   Parent Loop BB167_107 Depth=1
                                        ; =>  This Inner Loop Header: Depth=2
	v_mov_b32_e32 v6, s6
	ds_read_b64 v[4:5], v3
	ds_read_b64 v[9:10], v6
	s_add_i32 s7, s7, -1
	s_add_i32 s6, s6, -8
	v_add_u32_e32 v3, 0xffffff20, v3
	s_cmp_le_u32 s7, s14
	s_waitcnt lgkmcnt(0)
	v_mul_f32_e32 v6, v10, v5
	v_mul_f32_e32 v5, v9, v5
	v_fma_f32 v6, v9, v4, -v6
	v_fmac_f32_e32 v5, v10, v4
	v_sub_f32_e32 v1, v1, v6
	v_sub_f32_e32 v2, v2, v5
	s_cbranch_scc0 .LBB167_108
.LBB167_109:                            ;   in Loop: Header=BB167_107 Depth=1
	s_mul_i32 s6, s14, 0xe8
	v_mov_b32_e32 v3, s6
	ds_read_b64 v[3:4], v3
	s_mov_b64 s[6:7], -1
                                        ; implicit-def: $vgpr5
	s_waitcnt lgkmcnt(0)
	v_cmp_ngt_f32_e64 s[18:19], |v3|, |v4|
	s_and_b64 vcc, exec, s[18:19]
	s_cbranch_vccz .LBB167_111
; %bb.110:                              ;   in Loop: Header=BB167_107 Depth=1
	v_div_scale_f32 v5, s[6:7], v4, v4, v3
	v_div_scale_f32 v6, vcc, v3, v4, v3
	v_rcp_f32_e32 v9, v5
	v_fma_f32 v10, -v5, v9, 1.0
	v_fmac_f32_e32 v9, v10, v9
	v_mul_f32_e32 v10, v6, v9
	v_fma_f32 v11, -v5, v10, v6
	v_fmac_f32_e32 v10, v11, v9
	v_fma_f32 v5, -v5, v10, v6
	v_div_fmas_f32 v5, v5, v9, v10
	v_div_fixup_f32 v5, v5, v4, v3
	v_fma_f32 v6, v3, v5, v4
	v_div_scale_f32 v9, s[6:7], v6, v6, 1.0
	v_div_scale_f32 v10, vcc, 1.0, v6, 1.0
	s_mov_b64 s[6:7], 0
	v_rcp_f32_e32 v11, v9
	v_fma_f32 v12, -v9, v11, 1.0
	v_fmac_f32_e32 v11, v12, v11
	v_mul_f32_e32 v12, v10, v11
	v_fma_f32 v13, -v9, v12, v10
	v_fmac_f32_e32 v12, v13, v11
	v_fma_f32 v9, -v9, v12, v10
	v_div_fmas_f32 v9, v9, v11, v12
	v_fma_f32 v10, v1, v5, v2
	v_fma_f32 v11, v2, v5, -v1
	v_div_fixup_f32 v6, v9, v6, 1.0
	v_mul_f32_e32 v5, v10, v6
	v_mul_f32_e32 v6, v11, v6
.LBB167_111:                            ;   in Loop: Header=BB167_107 Depth=1
	s_andn2_b64 vcc, exec, s[6:7]
	s_cbranch_vccnz .LBB167_106
; %bb.112:                              ;   in Loop: Header=BB167_107 Depth=1
	v_div_scale_f32 v5, s[6:7], v3, v3, v4
	v_div_scale_f32 v6, vcc, v4, v3, v4
	v_rcp_f32_e32 v9, v5
	v_fma_f32 v10, -v5, v9, 1.0
	v_fmac_f32_e32 v9, v10, v9
	v_mul_f32_e32 v10, v6, v9
	v_fma_f32 v11, -v5, v10, v6
	v_fmac_f32_e32 v10, v11, v9
	v_fma_f32 v5, -v5, v10, v6
	v_div_fmas_f32 v5, v5, v9, v10
	v_div_fixup_f32 v5, v5, v3, v4
	v_fmac_f32_e32 v3, v4, v5
	v_div_scale_f32 v4, s[6:7], v3, v3, 1.0
	v_div_scale_f32 v6, vcc, 1.0, v3, 1.0
	v_rcp_f32_e32 v9, v4
	v_fma_f32 v10, -v4, v9, 1.0
	v_fmac_f32_e32 v9, v10, v9
	v_mul_f32_e32 v10, v6, v9
	v_fma_f32 v11, -v4, v10, v6
	v_fmac_f32_e32 v10, v11, v9
	v_fma_f32 v4, -v4, v10, v6
	v_div_fmas_f32 v4, v4, v9, v10
	v_fma_f32 v6, v2, v5, v1
	v_fma_f32 v1, -v1, v5, v2
	v_div_fixup_f32 v2, v4, v3, 1.0
	v_mul_f32_e32 v5, v6, v2
	v_mul_f32_e32 v6, v1, v2
	s_branch .LBB167_106
.LBB167_113:
	s_mov_b64 s[18:19], 0
.LBB167_114:
	s_andn2_b64 vcc, exec, s[18:19]
	s_cbranch_vccnz .LBB167_146
; %bb.115:
	v_mov_b32_e32 v1, 0x1880
	v_lshl_add_u32 v15, v0, 3, v1
	s_cmp_lt_i32 s12, 4
	s_mov_b32 s11, 0
	s_cbranch_scc1 .LBB167_137
; %bb.116:
	s_mov_b32 s8, 0
	s_mov_b32 s9, 0
.LBB167_117:                            ; =>This Loop Header: Depth=1
                                        ;     Child Loop BB167_118 Depth 2
	s_mul_i32 s11, s9, 28
	v_lshl_add_u32 v16, s11, 3, v15
	ds_read2_b64 v[5:8], v16 offset1:28
	ds_read2_b64 v[1:4], v16 offset0:56 offset1:84
	s_cmp_eq_u32 s9, 0
	s_mov_b32 s6, s8
	v_mov_b32_e32 v9, v15
	s_mov_b32 s7, s9
	s_cbranch_scc1 .LBB167_119
.LBB167_118:                            ;   Parent Loop BB167_117 Depth=1
                                        ; =>  This Inner Loop Header: Depth=2
	v_mov_b32_e32 v14, s6
	ds_read_b64 v[21:22], v9
	ds_read2_b64 v[10:13], v14 offset1:28
	ds_read2_b64 v[17:20], v14 offset0:56 offset1:84
	s_add_i32 s7, s7, -1
	s_add_i32 s6, s6, 8
	v_add_u32_e32 v9, 0xe0, v9
	s_waitcnt lgkmcnt(1)
	v_mul_f32_e32 v14, v11, v22
	v_mul_f32_e32 v23, v10, v22
	;; [unrolled: 1-line block ×4, first 2 shown]
	s_waitcnt lgkmcnt(0)
	v_mul_f32_e32 v25, v18, v22
	v_mul_f32_e32 v18, v18, v21
	;; [unrolled: 1-line block ×4, first 2 shown]
	v_fma_f32 v10, v10, v21, -v14
	v_fmac_f32_e32 v23, v11, v21
	v_fma_f32 v11, v12, v21, -v24
	v_fmac_f32_e32 v13, v12, v22
	;; [unrolled: 2-line block ×4, first 2 shown]
	s_cmp_eq_u32 s7, 0
	v_sub_f32_e32 v5, v5, v10
	v_sub_f32_e32 v6, v6, v23
	;; [unrolled: 1-line block ×8, first 2 shown]
	s_cbranch_scc0 .LBB167_118
.LBB167_119:                            ;   in Loop: Header=BB167_117 Depth=1
	s_mul_i32 s6, s9, 0xe8
	v_mov_b32_e32 v9, s6
	ds_read_b64 v[9:10], v9
	s_mov_b64 s[6:7], -1
                                        ; implicit-def: $vgpr14
	s_waitcnt lgkmcnt(0)
	v_cmp_ngt_f32_e64 s[14:15], |v9|, |v10|
	s_and_b64 vcc, exec, s[14:15]
	s_cbranch_vccz .LBB167_121
; %bb.120:                              ;   in Loop: Header=BB167_117 Depth=1
	v_div_scale_f32 v11, s[6:7], v10, v10, v9
	v_div_scale_f32 v12, vcc, v9, v10, v9
	v_rcp_f32_e32 v13, v11
	v_fma_f32 v14, -v11, v13, 1.0
	v_fmac_f32_e32 v13, v14, v13
	v_mul_f32_e32 v14, v12, v13
	v_fma_f32 v17, -v11, v14, v12
	v_fmac_f32_e32 v14, v17, v13
	v_fma_f32 v11, -v11, v14, v12
	v_div_fmas_f32 v11, v11, v13, v14
	v_div_fixup_f32 v11, v11, v10, v9
	v_fma_f32 v12, v9, v11, v10
	v_div_scale_f32 v13, s[6:7], v12, v12, 1.0
	v_div_scale_f32 v14, vcc, 1.0, v12, 1.0
	s_mov_b64 s[6:7], 0
	v_rcp_f32_e32 v17, v13
	v_fma_f32 v18, -v13, v17, 1.0
	v_fmac_f32_e32 v17, v18, v17
	v_mul_f32_e32 v18, v14, v17
	v_fma_f32 v19, -v13, v18, v14
	v_fmac_f32_e32 v18, v19, v17
	v_fma_f32 v13, -v13, v18, v14
	v_div_fmas_f32 v13, v13, v17, v18
	v_fma_f32 v14, v5, v11, v6
	v_fma_f32 v11, v6, v11, -v5
	v_div_fixup_f32 v12, v13, v12, 1.0
	v_mul_f32_e32 v13, v14, v12
	v_mul_f32_e32 v14, v11, v12
.LBB167_121:                            ;   in Loop: Header=BB167_117 Depth=1
	s_andn2_b64 vcc, exec, s[6:7]
	s_cbranch_vccnz .LBB167_123
; %bb.122:                              ;   in Loop: Header=BB167_117 Depth=1
	v_div_scale_f32 v11, s[6:7], v9, v9, v10
	v_div_scale_f32 v12, vcc, v10, v9, v10
	v_rcp_f32_e32 v13, v11
	v_fma_f32 v14, -v11, v13, 1.0
	v_fmac_f32_e32 v13, v14, v13
	v_mul_f32_e32 v14, v12, v13
	v_fma_f32 v17, -v11, v14, v12
	v_fmac_f32_e32 v14, v17, v13
	v_fma_f32 v11, -v11, v14, v12
	v_div_fmas_f32 v11, v11, v13, v14
	v_div_fixup_f32 v11, v11, v9, v10
	v_fmac_f32_e32 v9, v10, v11
	v_div_scale_f32 v10, s[6:7], v9, v9, 1.0
	v_div_scale_f32 v12, vcc, 1.0, v9, 1.0
	v_rcp_f32_e32 v13, v10
	v_fma_f32 v14, -v10, v13, 1.0
	v_fmac_f32_e32 v13, v14, v13
	v_mul_f32_e32 v14, v12, v13
	v_fma_f32 v17, -v10, v14, v12
	v_fmac_f32_e32 v14, v17, v13
	v_fma_f32 v10, -v10, v14, v12
	v_div_fmas_f32 v10, v10, v13, v14
	v_fma_f32 v12, v6, v11, v5
	v_fma_f32 v5, -v5, v11, v6
	v_div_fixup_f32 v6, v10, v9, 1.0
	v_mul_f32_e32 v13, v12, v6
	v_mul_f32_e32 v14, v5, v6
.LBB167_123:                            ;   in Loop: Header=BB167_117 Depth=1
	s_lshl_b32 s11, s11, 3
	s_addk_i32 s11, 0xe0
	s_lshl_b32 s13, s9, 3
	s_add_i32 s6, s11, s13
	v_mov_b32_e32 v5, s6
	ds_read_b128 v[9:12], v5
	s_mov_b64 s[6:7], -1
	ds_write_b64 v16, v[13:14]
	s_waitcnt lgkmcnt(1)
	v_mul_f32_e32 v5, v14, v10
	v_mul_f32_e32 v6, v13, v10
	v_fma_f32 v5, v13, v9, -v5
	v_fmac_f32_e32 v6, v14, v9
	v_cmp_ngt_f32_e64 s[14:15], |v11|, |v12|
	v_sub_f32_e32 v5, v7, v5
	v_sub_f32_e32 v6, v8, v6
	s_and_b64 vcc, exec, s[14:15]
                                        ; implicit-def: $vgpr10
	s_cbranch_vccz .LBB167_125
; %bb.124:                              ;   in Loop: Header=BB167_117 Depth=1
	v_div_scale_f32 v7, s[6:7], v12, v12, v11
	v_div_scale_f32 v8, vcc, v11, v12, v11
	v_rcp_f32_e32 v9, v7
	v_fma_f32 v10, -v7, v9, 1.0
	v_fmac_f32_e32 v9, v10, v9
	v_mul_f32_e32 v10, v8, v9
	v_fma_f32 v17, -v7, v10, v8
	v_fmac_f32_e32 v10, v17, v9
	v_fma_f32 v7, -v7, v10, v8
	v_div_fmas_f32 v7, v7, v9, v10
	v_div_fixup_f32 v7, v7, v12, v11
	v_fma_f32 v8, v11, v7, v12
	v_div_scale_f32 v9, s[6:7], v8, v8, 1.0
	v_div_scale_f32 v10, vcc, 1.0, v8, 1.0
	s_mov_b64 s[6:7], 0
	v_rcp_f32_e32 v17, v9
	v_fma_f32 v18, -v9, v17, 1.0
	v_fmac_f32_e32 v17, v18, v17
	v_mul_f32_e32 v18, v10, v17
	v_fma_f32 v19, -v9, v18, v10
	v_fmac_f32_e32 v18, v19, v17
	v_fma_f32 v9, -v9, v18, v10
	v_div_fmas_f32 v9, v9, v17, v18
	v_fma_f32 v10, v7, v5, v6
	v_fma_f32 v7, v7, v6, -v5
	v_div_fixup_f32 v8, v9, v8, 1.0
	v_mul_f32_e32 v9, v10, v8
	v_mul_f32_e32 v10, v7, v8
.LBB167_125:                            ;   in Loop: Header=BB167_117 Depth=1
	s_andn2_b64 vcc, exec, s[6:7]
	s_cbranch_vccnz .LBB167_127
; %bb.126:                              ;   in Loop: Header=BB167_117 Depth=1
	v_div_scale_f32 v7, s[6:7], v11, v11, v12
	v_div_scale_f32 v8, vcc, v12, v11, v12
	v_rcp_f32_e32 v9, v7
	v_fma_f32 v10, -v7, v9, 1.0
	v_fmac_f32_e32 v9, v10, v9
	v_mul_f32_e32 v10, v8, v9
	v_fma_f32 v17, -v7, v10, v8
	v_fmac_f32_e32 v10, v17, v9
	v_fma_f32 v7, -v7, v10, v8
	v_div_fmas_f32 v7, v7, v9, v10
	v_div_fixup_f32 v7, v7, v11, v12
	v_fmac_f32_e32 v11, v12, v7
	v_div_scale_f32 v8, s[6:7], v11, v11, 1.0
	v_div_scale_f32 v9, vcc, 1.0, v11, 1.0
	v_rcp_f32_e32 v10, v8
	v_fma_f32 v12, -v8, v10, 1.0
	v_fmac_f32_e32 v10, v12, v10
	v_mul_f32_e32 v12, v9, v10
	v_fma_f32 v17, -v8, v12, v9
	v_fmac_f32_e32 v12, v17, v10
	v_fma_f32 v8, -v8, v12, v9
	v_div_fmas_f32 v8, v8, v10, v12
	v_fma_f32 v9, v7, v6, v5
	v_fma_f32 v5, -v7, v5, v6
	v_div_fixup_f32 v6, v8, v11, 1.0
	v_mul_f32_e32 v9, v9, v6
	v_mul_f32_e32 v10, v5, v6
.LBB167_127:                            ;   in Loop: Header=BB167_117 Depth=1
	s_addk_i32 s11, 0xe0
	s_add_i32 s11, s11, s13
	v_mov_b32_e32 v5, s11
	ds_read_b128 v[17:20], v5
	ds_read_b64 v[5:6], v5 offset:16
	s_mov_b64 s[6:7], -1
	ds_write_b64 v16, v[9:10] offset:224
	s_waitcnt lgkmcnt(2)
	v_mul_f32_e32 v7, v14, v18
	v_mul_f32_e32 v8, v13, v18
	v_fma_f32 v7, v13, v17, -v7
	v_fmac_f32_e32 v8, v14, v17
	v_sub_f32_e32 v1, v1, v7
	v_sub_f32_e32 v2, v2, v8
	v_mul_f32_e32 v7, v10, v20
	v_mul_f32_e32 v8, v9, v20
	v_fma_f32 v7, v9, v19, -v7
	v_fmac_f32_e32 v8, v10, v19
	s_waitcnt lgkmcnt(1)
	v_cmp_ngt_f32_e64 s[14:15], |v5|, |v6|
	v_sub_f32_e32 v7, v1, v7
	v_sub_f32_e32 v8, v2, v8
	s_and_b64 vcc, exec, s[14:15]
                                        ; implicit-def: $vgpr2
	s_cbranch_vccz .LBB167_129
; %bb.128:                              ;   in Loop: Header=BB167_117 Depth=1
	v_div_scale_f32 v1, s[6:7], v6, v6, v5
	v_div_scale_f32 v2, vcc, v5, v6, v5
	v_rcp_f32_e32 v11, v1
	v_fma_f32 v12, -v1, v11, 1.0
	v_fmac_f32_e32 v11, v12, v11
	v_mul_f32_e32 v12, v2, v11
	v_fma_f32 v17, -v1, v12, v2
	v_fmac_f32_e32 v12, v17, v11
	v_fma_f32 v1, -v1, v12, v2
	v_div_fmas_f32 v1, v1, v11, v12
	v_div_fixup_f32 v1, v1, v6, v5
	v_fma_f32 v2, v5, v1, v6
	v_div_scale_f32 v11, s[6:7], v2, v2, 1.0
	v_div_scale_f32 v12, vcc, 1.0, v2, 1.0
	s_mov_b64 s[6:7], 0
	v_rcp_f32_e32 v17, v11
	v_fma_f32 v18, -v11, v17, 1.0
	v_fmac_f32_e32 v17, v18, v17
	v_mul_f32_e32 v18, v12, v17
	v_fma_f32 v19, -v11, v18, v12
	v_fmac_f32_e32 v18, v19, v17
	v_fma_f32 v11, -v11, v18, v12
	v_div_fmas_f32 v11, v11, v17, v18
	v_fma_f32 v12, v1, v7, v8
	v_fma_f32 v17, v1, v8, -v7
	v_div_fixup_f32 v2, v11, v2, 1.0
	v_mul_f32_e32 v1, v12, v2
	v_mul_f32_e32 v2, v17, v2
.LBB167_129:                            ;   in Loop: Header=BB167_117 Depth=1
	s_andn2_b64 vcc, exec, s[6:7]
	s_cbranch_vccnz .LBB167_131
; %bb.130:                              ;   in Loop: Header=BB167_117 Depth=1
	v_div_scale_f32 v1, s[6:7], v5, v5, v6
	v_div_scale_f32 v2, vcc, v6, v5, v6
	v_rcp_f32_e32 v11, v1
	v_fma_f32 v12, -v1, v11, 1.0
	v_fmac_f32_e32 v11, v12, v11
	v_mul_f32_e32 v12, v2, v11
	v_fma_f32 v17, -v1, v12, v2
	v_fmac_f32_e32 v12, v17, v11
	v_fma_f32 v1, -v1, v12, v2
	v_div_fmas_f32 v1, v1, v11, v12
	v_div_fixup_f32 v1, v1, v5, v6
	v_fmac_f32_e32 v5, v6, v1
	v_div_scale_f32 v2, s[6:7], v5, v5, 1.0
	v_div_scale_f32 v6, vcc, 1.0, v5, 1.0
	v_rcp_f32_e32 v11, v2
	v_fma_f32 v12, -v2, v11, 1.0
	v_fmac_f32_e32 v11, v12, v11
	v_mul_f32_e32 v12, v6, v11
	v_fma_f32 v17, -v2, v12, v6
	v_fmac_f32_e32 v12, v17, v11
	v_fma_f32 v2, -v2, v12, v6
	v_div_fmas_f32 v2, v2, v11, v12
	v_fma_f32 v6, v1, v8, v7
	v_fma_f32 v7, -v1, v7, v8
	v_div_fixup_f32 v2, v2, v5, 1.0
	v_mul_f32_e32 v1, v6, v2
	v_mul_f32_e32 v2, v7, v2
.LBB167_131:                            ;   in Loop: Header=BB167_117 Depth=1
	v_mov_b32_e32 v5, s11
	ds_read_b128 v[17:20], v5 offset:224
	ds_read_b128 v[5:8], v5 offset:240
	ds_write_b64 v16, v[1:2] offset:448
	s_mov_b64 s[6:7], -1
	s_waitcnt lgkmcnt(2)
	v_mul_f32_e32 v11, v14, v18
	v_fma_f32 v11, v13, v17, -v11
	v_mul_f32_e32 v12, v13, v18
	v_sub_f32_e32 v3, v3, v11
	v_mul_f32_e32 v11, v10, v20
	v_fmac_f32_e32 v12, v14, v17
	v_fma_f32 v11, v9, v19, -v11
	v_mul_f32_e32 v9, v9, v20
	v_sub_f32_e32 v4, v4, v12
	v_fmac_f32_e32 v9, v10, v19
	v_sub_f32_e32 v4, v4, v9
	s_waitcnt lgkmcnt(1)
	v_mul_f32_e32 v9, v2, v6
	v_fma_f32 v9, v1, v5, -v9
	v_mul_f32_e32 v1, v1, v6
	v_sub_f32_e32 v3, v3, v11
	v_fmac_f32_e32 v1, v2, v5
	v_cmp_ngt_f32_e64 s[14:15], |v7|, |v8|
	v_sub_f32_e32 v3, v3, v9
	v_sub_f32_e32 v4, v4, v1
	s_and_b64 vcc, exec, s[14:15]
                                        ; implicit-def: $vgpr2
	s_cbranch_vccz .LBB167_133
; %bb.132:                              ;   in Loop: Header=BB167_117 Depth=1
	v_div_scale_f32 v1, s[6:7], v8, v8, v7
	v_div_scale_f32 v2, vcc, v7, v8, v7
	v_rcp_f32_e32 v5, v1
	v_fma_f32 v6, -v1, v5, 1.0
	v_fmac_f32_e32 v5, v6, v5
	v_mul_f32_e32 v6, v2, v5
	v_fma_f32 v9, -v1, v6, v2
	v_fmac_f32_e32 v6, v9, v5
	v_fma_f32 v1, -v1, v6, v2
	v_div_fmas_f32 v1, v1, v5, v6
	v_div_fixup_f32 v1, v1, v8, v7
	v_fma_f32 v2, v7, v1, v8
	v_div_scale_f32 v5, s[6:7], v2, v2, 1.0
	v_div_scale_f32 v6, vcc, 1.0, v2, 1.0
	s_mov_b64 s[6:7], 0
	v_rcp_f32_e32 v9, v5
	v_fma_f32 v10, -v5, v9, 1.0
	v_fmac_f32_e32 v9, v10, v9
	v_mul_f32_e32 v10, v6, v9
	v_fma_f32 v11, -v5, v10, v6
	v_fmac_f32_e32 v10, v11, v9
	v_fma_f32 v5, -v5, v10, v6
	v_div_fmas_f32 v5, v5, v9, v10
	v_fma_f32 v6, v1, v3, v4
	v_fma_f32 v9, v1, v4, -v3
	v_div_fixup_f32 v2, v5, v2, 1.0
	v_mul_f32_e32 v1, v6, v2
	v_mul_f32_e32 v2, v9, v2
.LBB167_133:                            ;   in Loop: Header=BB167_117 Depth=1
	s_andn2_b64 vcc, exec, s[6:7]
	s_cbranch_vccnz .LBB167_135
; %bb.134:                              ;   in Loop: Header=BB167_117 Depth=1
	v_div_scale_f32 v1, s[6:7], v7, v7, v8
	v_div_scale_f32 v2, vcc, v8, v7, v8
	v_rcp_f32_e32 v5, v1
	v_fma_f32 v6, -v1, v5, 1.0
	v_fmac_f32_e32 v5, v6, v5
	v_mul_f32_e32 v6, v2, v5
	v_fma_f32 v9, -v1, v6, v2
	v_fmac_f32_e32 v6, v9, v5
	v_fma_f32 v1, -v1, v6, v2
	v_div_fmas_f32 v1, v1, v5, v6
	v_div_fixup_f32 v1, v1, v7, v8
	v_fmac_f32_e32 v7, v8, v1
	v_div_scale_f32 v2, s[6:7], v7, v7, 1.0
	v_div_scale_f32 v5, vcc, 1.0, v7, 1.0
	v_rcp_f32_e32 v6, v2
	v_fma_f32 v8, -v2, v6, 1.0
	v_fmac_f32_e32 v6, v8, v6
	v_mul_f32_e32 v8, v5, v6
	v_fma_f32 v9, -v2, v8, v5
	v_fmac_f32_e32 v8, v9, v6
	v_fma_f32 v2, -v2, v8, v5
	v_div_fmas_f32 v2, v2, v6, v8
	v_fma_f32 v5, v1, v4, v3
	v_fma_f32 v3, -v1, v3, v4
	v_div_fixup_f32 v2, v2, v7, 1.0
	v_mul_f32_e32 v1, v5, v2
	v_mul_f32_e32 v2, v3, v2
.LBB167_135:                            ;   in Loop: Header=BB167_117 Depth=1
	s_add_i32 s11, s9, 4
	s_add_i32 s6, s9, 7
	s_addk_i32 s8, 0x380
	s_cmp_ge_i32 s6, s24
	ds_write_b64 v16, v[1:2] offset:672
	s_cbranch_scc1 .LBB167_137
; %bb.136:                              ;   in Loop: Header=BB167_117 Depth=1
	s_mov_b32 s9, s11
	s_branch .LBB167_117
.LBB167_137:
	s_cmp_ge_i32 s11, s24
	s_cbranch_scc1 .LBB167_146
; %bb.138:
	v_mov_b32_e32 v1, 0x1880
	v_lshl_add_u32 v7, v0, 3, v1
	s_mul_i32 s8, s11, 0xe0
	s_branch .LBB167_140
.LBB167_139:                            ;   in Loop: Header=BB167_140 Depth=1
	s_add_i32 s11, s11, 1
	s_addk_i32 s8, 0xe0
	s_cmp_ge_i32 s11, s24
	ds_write_b64 v8, v[5:6]
	s_cbranch_scc1 .LBB167_146
.LBB167_140:                            ; =>This Loop Header: Depth=1
                                        ;     Child Loop BB167_141 Depth 2
	s_mul_i32 s6, s11, 0xe0
	v_add_u32_e32 v8, s6, v15
	ds_read_b64 v[1:2], v8
	s_cmp_eq_u32 s11, 0
	s_mov_b32 s6, s8
	v_mov_b32_e32 v3, v7
	s_mov_b32 s7, s11
	s_cbranch_scc1 .LBB167_142
.LBB167_141:                            ;   Parent Loop BB167_140 Depth=1
                                        ; =>  This Inner Loop Header: Depth=2
	v_mov_b32_e32 v6, s6
	ds_read_b64 v[4:5], v3
	ds_read_b64 v[9:10], v6
	s_add_i32 s7, s7, -1
	s_add_i32 s6, s6, 8
	v_add_u32_e32 v3, 0xe0, v3
	s_cmp_eq_u32 s7, 0
	s_waitcnt lgkmcnt(0)
	v_mul_f32_e32 v6, v10, v5
	v_mul_f32_e32 v5, v9, v5
	v_fma_f32 v6, v9, v4, -v6
	v_fmac_f32_e32 v5, v10, v4
	v_sub_f32_e32 v1, v1, v6
	v_sub_f32_e32 v2, v2, v5
	s_cbranch_scc0 .LBB167_141
.LBB167_142:                            ;   in Loop: Header=BB167_140 Depth=1
	s_mul_i32 s6, s11, 0xe8
	v_mov_b32_e32 v3, s6
	ds_read_b64 v[3:4], v3
	s_mov_b64 s[6:7], -1
                                        ; implicit-def: $vgpr5
	s_waitcnt lgkmcnt(0)
	v_cmp_ngt_f32_e64 s[14:15], |v3|, |v4|
	s_and_b64 vcc, exec, s[14:15]
	s_cbranch_vccz .LBB167_144
; %bb.143:                              ;   in Loop: Header=BB167_140 Depth=1
	v_div_scale_f32 v5, s[6:7], v4, v4, v3
	v_div_scale_f32 v6, vcc, v3, v4, v3
	v_rcp_f32_e32 v9, v5
	v_fma_f32 v10, -v5, v9, 1.0
	v_fmac_f32_e32 v9, v10, v9
	v_mul_f32_e32 v10, v6, v9
	v_fma_f32 v11, -v5, v10, v6
	v_fmac_f32_e32 v10, v11, v9
	v_fma_f32 v5, -v5, v10, v6
	v_div_fmas_f32 v5, v5, v9, v10
	v_div_fixup_f32 v5, v5, v4, v3
	v_fma_f32 v6, v3, v5, v4
	v_div_scale_f32 v9, s[6:7], v6, v6, 1.0
	v_div_scale_f32 v10, vcc, 1.0, v6, 1.0
	s_mov_b64 s[6:7], 0
	v_rcp_f32_e32 v11, v9
	v_fma_f32 v12, -v9, v11, 1.0
	v_fmac_f32_e32 v11, v12, v11
	v_mul_f32_e32 v12, v10, v11
	v_fma_f32 v13, -v9, v12, v10
	v_fmac_f32_e32 v12, v13, v11
	v_fma_f32 v9, -v9, v12, v10
	v_div_fmas_f32 v9, v9, v11, v12
	v_fma_f32 v10, v1, v5, v2
	v_fma_f32 v11, v2, v5, -v1
	v_div_fixup_f32 v6, v9, v6, 1.0
	v_mul_f32_e32 v5, v10, v6
	v_mul_f32_e32 v6, v11, v6
.LBB167_144:                            ;   in Loop: Header=BB167_140 Depth=1
	s_andn2_b64 vcc, exec, s[6:7]
	s_cbranch_vccnz .LBB167_139
; %bb.145:                              ;   in Loop: Header=BB167_140 Depth=1
	v_div_scale_f32 v5, s[6:7], v3, v3, v4
	v_div_scale_f32 v6, vcc, v4, v3, v4
	v_rcp_f32_e32 v9, v5
	v_fma_f32 v10, -v5, v9, 1.0
	v_fmac_f32_e32 v9, v10, v9
	v_mul_f32_e32 v10, v6, v9
	v_fma_f32 v11, -v5, v10, v6
	v_fmac_f32_e32 v10, v11, v9
	v_fma_f32 v5, -v5, v10, v6
	v_div_fmas_f32 v5, v5, v9, v10
	v_div_fixup_f32 v5, v5, v3, v4
	v_fmac_f32_e32 v3, v4, v5
	v_div_scale_f32 v4, s[6:7], v3, v3, 1.0
	v_div_scale_f32 v6, vcc, 1.0, v3, 1.0
	v_rcp_f32_e32 v9, v4
	v_fma_f32 v10, -v4, v9, 1.0
	v_fmac_f32_e32 v9, v10, v9
	v_mul_f32_e32 v10, v6, v9
	v_fma_f32 v11, -v4, v10, v6
	v_fmac_f32_e32 v10, v11, v9
	v_fma_f32 v4, -v4, v10, v6
	v_div_fmas_f32 v4, v4, v9, v10
	v_fma_f32 v6, v2, v5, v1
	v_fma_f32 v1, -v1, v5, v2
	v_div_fixup_f32 v2, v4, v3, 1.0
	v_mul_f32_e32 v5, v6, v2
	v_mul_f32_e32 v6, v1, v2
	s_branch .LBB167_139
.LBB167_146:
	s_and_saveexec_b64 s[6:7], s[0:1]
	s_cbranch_execz .LBB167_150
; %bb.147:
	s_cmp_lt_i32 s12, 1
	s_cbranch_scc1 .LBB167_150
; %bb.148:
	s_lshl_b64 s[0:1], s[4:5], 3
	s_add_u32 s2, s2, s0
	s_addc_u32 s3, s3, s1
	s_lshl_b64 s[0:1], s[16:17], 3
	s_add_u32 s0, s2, s0
	s_addc_u32 s1, s3, s1
	s_add_u32 s0, s0, s21
	s_addc_u32 s1, s1, s20
	s_ashr_i32 s11, s10, 31
	v_lshlrev_b32_e32 v2, 3, v0
	v_mov_b32_e32 v1, s1
	v_add_co_u32_e32 v0, vcc, s0, v2
	s_lshl_b64 s[0:1], s[10:11], 3
	v_addc_co_u32_e32 v1, vcc, 0, v1, vcc
	v_add_u32_e32 v2, 0x1880, v2
	v_mov_b32_e32 v3, s1
.LBB167_149:                            ; =>This Inner Loop Header: Depth=1
	ds_read_b64 v[4:5], v2
	s_add_i32 s12, s12, -1
	v_add_u32_e32 v2, 0xe0, v2
	s_cmp_lg_u32 s12, 0
	s_waitcnt lgkmcnt(0)
	global_store_dwordx2 v[0:1], v[4:5], off
	v_add_co_u32_e32 v0, vcc, s0, v0
	v_addc_co_u32_e32 v1, vcc, v1, v3, vcc
	s_cbranch_scc1 .LBB167_149
.LBB167_150:
	s_endpgm
	.section	.rodata,"a",@progbits
	.p2align	6, 0x0
	.amdhsa_kernel _ZL31rocblas_trsm_small_right_deviceI19rocblas_complex_numIfES1_PKS1_PS1_Li28EEv13rocblas_fill_18rocblas_operation_17rocblas_diagonal_iiT0_T1_lilT2_lili
		.amdhsa_group_segment_fixed_size 12544
		.amdhsa_private_segment_fixed_size 0
		.amdhsa_kernarg_size 360
		.amdhsa_user_sgpr_count 6
		.amdhsa_user_sgpr_private_segment_buffer 1
		.amdhsa_user_sgpr_dispatch_ptr 0
		.amdhsa_user_sgpr_queue_ptr 0
		.amdhsa_user_sgpr_kernarg_segment_ptr 1
		.amdhsa_user_sgpr_dispatch_id 0
		.amdhsa_user_sgpr_flat_scratch_init 0
		.amdhsa_user_sgpr_private_segment_size 0
		.amdhsa_uses_dynamic_stack 0
		.amdhsa_system_sgpr_private_segment_wavefront_offset 0
		.amdhsa_system_sgpr_workgroup_id_x 1
		.amdhsa_system_sgpr_workgroup_id_y 0
		.amdhsa_system_sgpr_workgroup_id_z 1
		.amdhsa_system_sgpr_workgroup_info 0
		.amdhsa_system_vgpr_workitem_id 0
		.amdhsa_next_free_vgpr 85
		.amdhsa_next_free_sgpr 98
		.amdhsa_reserve_vcc 1
		.amdhsa_reserve_flat_scratch 0
		.amdhsa_float_round_mode_32 0
		.amdhsa_float_round_mode_16_64 0
		.amdhsa_float_denorm_mode_32 3
		.amdhsa_float_denorm_mode_16_64 3
		.amdhsa_dx10_clamp 1
		.amdhsa_ieee_mode 1
		.amdhsa_fp16_overflow 0
		.amdhsa_exception_fp_ieee_invalid_op 0
		.amdhsa_exception_fp_denorm_src 0
		.amdhsa_exception_fp_ieee_div_zero 0
		.amdhsa_exception_fp_ieee_overflow 0
		.amdhsa_exception_fp_ieee_underflow 0
		.amdhsa_exception_fp_ieee_inexact 0
		.amdhsa_exception_int_div_zero 0
	.end_amdhsa_kernel
	.section	.text._ZL31rocblas_trsm_small_right_deviceI19rocblas_complex_numIfES1_PKS1_PS1_Li28EEv13rocblas_fill_18rocblas_operation_17rocblas_diagonal_iiT0_T1_lilT2_lili,"axG",@progbits,_ZL31rocblas_trsm_small_right_deviceI19rocblas_complex_numIfES1_PKS1_PS1_Li28EEv13rocblas_fill_18rocblas_operation_17rocblas_diagonal_iiT0_T1_lilT2_lili,comdat
.Lfunc_end167:
	.size	_ZL31rocblas_trsm_small_right_deviceI19rocblas_complex_numIfES1_PKS1_PS1_Li28EEv13rocblas_fill_18rocblas_operation_17rocblas_diagonal_iiT0_T1_lilT2_lili, .Lfunc_end167-_ZL31rocblas_trsm_small_right_deviceI19rocblas_complex_numIfES1_PKS1_PS1_Li28EEv13rocblas_fill_18rocblas_operation_17rocblas_diagonal_iiT0_T1_lilT2_lili
                                        ; -- End function
	.set _ZL31rocblas_trsm_small_right_deviceI19rocblas_complex_numIfES1_PKS1_PS1_Li28EEv13rocblas_fill_18rocblas_operation_17rocblas_diagonal_iiT0_T1_lilT2_lili.num_vgpr, 31
	.set _ZL31rocblas_trsm_small_right_deviceI19rocblas_complex_numIfES1_PKS1_PS1_Li28EEv13rocblas_fill_18rocblas_operation_17rocblas_diagonal_iiT0_T1_lilT2_lili.num_agpr, 0
	.set _ZL31rocblas_trsm_small_right_deviceI19rocblas_complex_numIfES1_PKS1_PS1_Li28EEv13rocblas_fill_18rocblas_operation_17rocblas_diagonal_iiT0_T1_lilT2_lili.numbered_sgpr, 32
	.set _ZL31rocblas_trsm_small_right_deviceI19rocblas_complex_numIfES1_PKS1_PS1_Li28EEv13rocblas_fill_18rocblas_operation_17rocblas_diagonal_iiT0_T1_lilT2_lili.num_named_barrier, 0
	.set _ZL31rocblas_trsm_small_right_deviceI19rocblas_complex_numIfES1_PKS1_PS1_Li28EEv13rocblas_fill_18rocblas_operation_17rocblas_diagonal_iiT0_T1_lilT2_lili.private_seg_size, 0
	.set _ZL31rocblas_trsm_small_right_deviceI19rocblas_complex_numIfES1_PKS1_PS1_Li28EEv13rocblas_fill_18rocblas_operation_17rocblas_diagonal_iiT0_T1_lilT2_lili.uses_vcc, 1
	.set _ZL31rocblas_trsm_small_right_deviceI19rocblas_complex_numIfES1_PKS1_PS1_Li28EEv13rocblas_fill_18rocblas_operation_17rocblas_diagonal_iiT0_T1_lilT2_lili.uses_flat_scratch, 0
	.set _ZL31rocblas_trsm_small_right_deviceI19rocblas_complex_numIfES1_PKS1_PS1_Li28EEv13rocblas_fill_18rocblas_operation_17rocblas_diagonal_iiT0_T1_lilT2_lili.has_dyn_sized_stack, 0
	.set _ZL31rocblas_trsm_small_right_deviceI19rocblas_complex_numIfES1_PKS1_PS1_Li28EEv13rocblas_fill_18rocblas_operation_17rocblas_diagonal_iiT0_T1_lilT2_lili.has_recursion, 0
	.set _ZL31rocblas_trsm_small_right_deviceI19rocblas_complex_numIfES1_PKS1_PS1_Li28EEv13rocblas_fill_18rocblas_operation_17rocblas_diagonal_iiT0_T1_lilT2_lili.has_indirect_call, 0
	.section	.AMDGPU.csdata,"",@progbits
; Kernel info:
; codeLenInByte = 12044
; TotalNumSgprs: 36
; NumVgprs: 31
; ScratchSize: 0
; MemoryBound: 0
; FloatMode: 240
; IeeeMode: 1
; LDSByteSize: 12544 bytes/workgroup (compile time only)
; SGPRBlocks: 12
; VGPRBlocks: 21
; NumSGPRsForWavesPerEU: 102
; NumVGPRsForWavesPerEU: 85
; Occupancy: 2
; WaveLimiterHint : 0
; COMPUTE_PGM_RSRC2:SCRATCH_EN: 0
; COMPUTE_PGM_RSRC2:USER_SGPR: 6
; COMPUTE_PGM_RSRC2:TRAP_HANDLER: 0
; COMPUTE_PGM_RSRC2:TGID_X_EN: 1
; COMPUTE_PGM_RSRC2:TGID_Y_EN: 0
; COMPUTE_PGM_RSRC2:TGID_Z_EN: 1
; COMPUTE_PGM_RSRC2:TIDIG_COMP_CNT: 0
	.section	.text._ZL38rocblas_trsm_small_left_device_sharedBILi32ELi32ELb0E19rocblas_complex_numIfES1_PKS1_PS1_Ev13rocblas_fill_18rocblas_operation_17rocblas_diagonal_iiT3_T4_lilT5_lili,"axG",@progbits,_ZL38rocblas_trsm_small_left_device_sharedBILi32ELi32ELb0E19rocblas_complex_numIfES1_PKS1_PS1_Ev13rocblas_fill_18rocblas_operation_17rocblas_diagonal_iiT3_T4_lilT5_lili,comdat
	.globl	_ZL38rocblas_trsm_small_left_device_sharedBILi32ELi32ELb0E19rocblas_complex_numIfES1_PKS1_PS1_Ev13rocblas_fill_18rocblas_operation_17rocblas_diagonal_iiT3_T4_lilT5_lili ; -- Begin function _ZL38rocblas_trsm_small_left_device_sharedBILi32ELi32ELb0E19rocblas_complex_numIfES1_PKS1_PS1_Ev13rocblas_fill_18rocblas_operation_17rocblas_diagonal_iiT3_T4_lilT5_lili
	.p2align	8
	.type	_ZL38rocblas_trsm_small_left_device_sharedBILi32ELi32ELb0E19rocblas_complex_numIfES1_PKS1_PS1_Ev13rocblas_fill_18rocblas_operation_17rocblas_diagonal_iiT3_T4_lilT5_lili,@function
_ZL38rocblas_trsm_small_left_device_sharedBILi32ELi32ELb0E19rocblas_complex_numIfES1_PKS1_PS1_Ev13rocblas_fill_18rocblas_operation_17rocblas_diagonal_iiT3_T4_lilT5_lili: ; @_ZL38rocblas_trsm_small_left_device_sharedBILi32ELi32ELb0E19rocblas_complex_numIfES1_PKS1_PS1_Ev13rocblas_fill_18rocblas_operation_17rocblas_diagonal_iiT3_T4_lilT5_lili
; %bb.0:
	s_add_u32 s0, s0, s8
	s_load_dwordx4 s[12:15], s[4:5], 0x4
	s_load_dwordx2 s[20:21], s[4:5], 0x14
	s_load_dwordx4 s[8:11], s[4:5], 0x38
	s_load_dwordx2 s[16:17], s[4:5], 0x48
	s_load_dword s27, s[4:5], 0x68
	s_addc_u32 s1, s1, 0
	s_waitcnt lgkmcnt(0)
	s_min_i32 s26, s14, 32
	v_cmp_gt_i32_e32 vcc, s26, v0
	s_and_saveexec_b64 s[18:19], vcc
	s_cbranch_execz .LBB168_15
; %bb.1:
	s_load_dword s24, s[4:5], 0x30
	s_load_dwordx4 s[28:31], s[4:5], 0x20
	s_mul_i32 s9, s9, s7
	s_mul_hi_u32 s33, s8, s7
	s_mul_i32 s8, s8, s7
	s_waitcnt lgkmcnt(0)
	s_ashr_i32 s25, s24, 31
	s_cmpk_lg_i32 s12, 0x71
	s_cselect_b64 s[22:23], -1, 0
	s_add_i32 s9, s33, s9
	s_lshl_b64 s[8:9], s[8:9], 3
	s_lshl_b64 s[30:31], s[30:31], 3
	s_add_u32 s8, s8, s30
	s_addc_u32 s9, s9, s31
	s_add_u32 s8, s28, s8
	v_lshlrev_b32_e32 v5, 3, v0
	s_addc_u32 s9, s29, s9
	v_mov_b32_e32 v1, s9
	v_add_co_u32_e32 v2, vcc, s8, v5
	v_addc_co_u32_e32 v3, vcc, 0, v1, vcc
	v_add_co_u32_e32 v1, vcc, 4, v2
	s_lshl_b64 s[8:9], s[24:25], 3
	v_addc_co_u32_e32 v2, vcc, 0, v3, vcc
	v_mov_b32_e32 v6, s9
	v_mov_b32_e32 v7, v5
	s_mov_b32 s9, s26
	s_branch .LBB168_3
.LBB168_2:                              ;   in Loop: Header=BB168_3 Depth=1
	global_load_dword v3, v[1:2], off offset:-4
	s_add_i32 s9, s9, -1
	v_add_co_u32_e32 v1, vcc, s8, v1
	v_addc_co_u32_e32 v2, vcc, v2, v6, vcc
	s_cmp_eq_u32 s9, 0
	s_waitcnt vmcnt(0)
	ds_write_b64 v7, v[3:4]
	v_add_u32_e32 v7, 0x100, v7
	s_cbranch_scc1 .LBB168_7
.LBB168_3:                              ; =>This Inner Loop Header: Depth=1
	s_mov_b64 s[24:25], -1
	s_and_b64 vcc, exec, s[22:23]
                                        ; implicit-def: $vgpr4
	s_cbranch_vccz .LBB168_5
; %bb.4:                                ;   in Loop: Header=BB168_3 Depth=1
	global_load_dword v4, v[1:2], off
	s_mov_b64 s[24:25], 0
.LBB168_5:                              ;   in Loop: Header=BB168_3 Depth=1
	s_andn2_b64 vcc, exec, s[24:25]
	s_cbranch_vccnz .LBB168_2
; %bb.6:                                ;   in Loop: Header=BB168_3 Depth=1
	global_load_dword v3, v[1:2], off
	s_waitcnt vmcnt(0)
	v_xor_b32_e32 v4, 0x80000000, v3
	s_branch .LBB168_2
.LBB168_7:
	v_lshlrev_b32_e32 v1, 8, v0
	s_cmpk_lg_i32 s13, 0x84
	s_mov_b64 s[8:9], -1
	v_add_u32_e32 v5, v5, v1
	s_cbranch_scc0 .LBB168_13
; %bb.8:
	ds_read_b64 v[1:2], v5
                                        ; implicit-def: $vgpr3
	s_waitcnt lgkmcnt(0)
	v_cmp_ngt_f32_e64 s[8:9], |v1|, |v2|
	s_and_saveexec_b64 s[22:23], s[8:9]
	s_xor_b64 s[8:9], exec, s[22:23]
	s_cbranch_execz .LBB168_10
; %bb.9:
	v_div_scale_f32 v3, s[22:23], v2, v2, v1
	v_div_scale_f32 v4, vcc, v1, v2, v1
	v_rcp_f32_e32 v6, v3
	v_fma_f32 v7, -v3, v6, 1.0
	v_fmac_f32_e32 v6, v7, v6
	v_mul_f32_e32 v7, v4, v6
	v_fma_f32 v8, -v3, v7, v4
	v_fmac_f32_e32 v7, v8, v6
	v_fma_f32 v3, -v3, v7, v4
	v_div_fmas_f32 v3, v3, v6, v7
	v_div_fixup_f32 v3, v3, v2, v1
	v_fmac_f32_e32 v2, v1, v3
	v_div_scale_f32 v1, s[22:23], v2, v2, 1.0
	v_div_scale_f32 v4, vcc, 1.0, v2, 1.0
	v_rcp_f32_e32 v6, v1
	v_fma_f32 v7, -v1, v6, 1.0
	v_fmac_f32_e32 v6, v7, v6
	v_mul_f32_e32 v7, v4, v6
	v_fma_f32 v8, -v1, v7, v4
	v_fmac_f32_e32 v7, v8, v6
	v_fma_f32 v1, -v1, v7, v4
	v_div_fmas_f32 v1, v1, v6, v7
	v_add_f32_e32 v4, 0, v3
	v_fma_f32 v6, v3, 0, -1.0
	v_div_fixup_f32 v1, v1, v2, 1.0
	v_mul_f32_e32 v3, v4, v1
	v_mul_f32_e32 v4, v6, v1
                                        ; implicit-def: $vgpr1_vgpr2
.LBB168_10:
	s_andn2_saveexec_b64 s[8:9], s[8:9]
	s_cbranch_execz .LBB168_12
; %bb.11:
	v_div_scale_f32 v3, s[22:23], v1, v1, v2
	v_div_scale_f32 v4, vcc, v2, v1, v2
	v_rcp_f32_e32 v6, v3
	v_fma_f32 v7, -v3, v6, 1.0
	v_fmac_f32_e32 v6, v7, v6
	v_mul_f32_e32 v7, v4, v6
	v_fma_f32 v8, -v3, v7, v4
	v_fmac_f32_e32 v7, v8, v6
	v_fma_f32 v3, -v3, v7, v4
	v_div_fmas_f32 v3, v3, v6, v7
	v_div_fixup_f32 v4, v3, v1, v2
	v_fmac_f32_e32 v1, v2, v4
	v_div_scale_f32 v2, s[22:23], v1, v1, 1.0
	v_div_scale_f32 v3, vcc, 1.0, v1, 1.0
	v_rcp_f32_e32 v6, v2
	v_fma_f32 v7, -v2, v6, 1.0
	v_fmac_f32_e32 v6, v7, v6
	v_mul_f32_e32 v7, v3, v6
	v_fma_f32 v8, -v2, v7, v3
	v_fmac_f32_e32 v7, v8, v6
	v_fma_f32 v2, -v2, v7, v3
	v_div_fmas_f32 v2, v2, v6, v7
	v_fma_f32 v3, v4, 0, 1.0
	v_div_fixup_f32 v1, v2, v1, 1.0
	v_mul_f32_e32 v3, v3, v1
	v_mul_f32_e64 v4, -v4, v1
.LBB168_12:
	s_or_b64 exec, exec, s[8:9]
	s_mov_b64 s[8:9], 0
	ds_write_b64 v5, v[3:4]
.LBB168_13:
	s_and_b64 vcc, exec, s[8:9]
	s_cbranch_vccz .LBB168_15
; %bb.14:
	v_mov_b32_e32 v1, 1.0
	v_mov_b32_e32 v2, 0
	ds_write_b64 v5, v[1:2]
.LBB168_15:
	s_or_b64 exec, exec, s[18:19]
	s_load_dword s24, s[4:5], 0x50
	s_load_dwordx2 s[8:9], s[4:5], 0x58
	s_add_i32 s27, s27, -1
	s_waitcnt lgkmcnt(0)
	s_ashr_i32 s13, s24, 31
	s_mul_i32 s4, s9, s7
	s_mul_hi_u32 s5, s8, s7
	s_mul_i32 s18, s8, s7
	s_lshl_b32 s8, s6, 5
	s_add_i32 s19, s5, s4
	s_sub_i32 s4, s15, s8
	s_cmp_ge_u32 s6, s27
	s_cselect_b32 s4, s4, 32
	s_ashr_i32 s9, s8, 31
	s_cmp_gt_i32 s14, 0
	v_cmp_gt_i32_e64 s[4:5], s4, v0
	s_cselect_b64 s[6:7], -1, 0
	s_and_b64 s[28:29], s[4:5], s[6:7]
	s_and_saveexec_b64 s[22:23], s[28:29]
	s_cbranch_execz .LBB168_18
; %bb.16:
	v_lshlrev_b32_e32 v3, 3, v0
	s_lshl_b64 s[30:31], s[8:9], 3
	s_lshl_b64 s[28:29], s[18:19], 3
	v_mov_b32_e32 v1, s31
	v_add_co_u32_e32 v4, vcc, s30, v3
	s_lshl_b64 s[30:31], s[16:17], 3
	s_add_u32 s9, s10, s30
	s_addc_u32 s15, s11, s31
	s_add_u32 s28, s9, s28
	v_addc_co_u32_e32 v5, vcc, 0, v1, vcc
	s_addc_u32 s29, s15, s29
	v_mov_b32_e32 v1, s28
	v_mov_b32_e32 v2, s29
	v_mad_u64_u32 v[1:2], s[28:29], v4, s24, v[1:2]
	v_mul_lo_u32 v4, v4, s13
	v_mul_lo_u32 v5, v5, s24
	v_add_co_u32_e32 v1, vcc, 4, v1
	v_or_b32_e32 v3, 0x2000, v3
	v_add3_u32 v2, v5, v2, v4
	v_addc_co_u32_e32 v2, vcc, 0, v2, vcc
	s_mov_b32 s9, s26
.LBB168_17:                             ; =>This Inner Loop Header: Depth=1
	global_load_dwordx2 v[4:5], v[1:2], off offset:-4
	s_add_i32 s9, s9, -1
	v_add_co_u32_e32 v1, vcc, 8, v1
	v_addc_co_u32_e32 v2, vcc, 0, v2, vcc
	s_cmp_lg_u32 s9, 0
	s_waitcnt vmcnt(0)
	v_mul_f32_e32 v7, s21, v5
	v_mul_f32_e32 v6, s20, v5
	v_fma_f32 v5, s20, v4, -v7
	v_fmac_f32_e32 v6, s21, v4
	ds_write_b64 v3, v[5:6]
	v_add_u32_e32 v3, 0x100, v3
	s_cbranch_scc1 .LBB168_17
.LBB168_18:
	s_or_b64 exec, exec, s[22:23]
	v_mov_b32_e32 v1, 0x2000
	s_cmpk_eq_i32 s12, 0x6f
	v_lshl_or_b32 v227, v0, 3, v1
	s_mov_b64 s[12:13], -1
	s_waitcnt lgkmcnt(0)
	; wave barrier
	s_cbranch_scc1 .LBB168_40
; %bb.19:
	s_mov_b32 s13, 0
	s_mov_b32 s12, s13
	;; [unrolled: 1-line block ×3, first 2 shown]
	s_branch .LBB168_21
.LBB168_20:                             ;   in Loop: Header=BB168_21 Depth=1
	s_cmp_ge_i32 s9, s26
	s_cselect_b64 s[20:21], -1, 0
	s_add_i32 s12, s12, 1
	s_cmp_eq_u32 s12, 3
	s_cselect_b64 s[22:23], -1, 0
	s_or_b64 s[20:21], s[20:21], s[22:23]
	s_andn2_b64 vcc, exec, s[20:21]
	s_cbranch_vccz .LBB168_39
.LBB168_21:                             ; =>This Loop Header: Depth=1
                                        ;     Child Loop BB168_24 Depth 2
                                        ;       Child Loop BB168_25 Depth 3
                                        ;       Child Loop BB168_28 Depth 3
                                        ;         Child Loop BB168_29 Depth 4
                                        ;       Child Loop BB168_33 Depth 3
                                        ;         Child Loop BB168_35 Depth 4
	s_lshl_b64 s[20:21], s[12:13], 2
	s_getpc_b64 s[22:23]
	s_add_u32 s22, s22, __const._ZL38rocblas_trsm_small_left_device_sharedBILi32ELi32ELb0E19rocblas_complex_numIfES1_PKS1_PS1_Ev13rocblas_fill_18rocblas_operation_17rocblas_diagonal_iiT3_T4_lilT5_lili.step_sizes@rel32@lo+4
	s_addc_u32 s23, s23, __const._ZL38rocblas_trsm_small_left_device_sharedBILi32ELi32ELb0E19rocblas_complex_numIfES1_PKS1_PS1_Ev13rocblas_fill_18rocblas_operation_17rocblas_diagonal_iiT3_T4_lilT5_lili.step_sizes@rel32@hi+12
	s_add_u32 s20, s22, s20
	s_addc_u32 s21, s23, s21
	s_load_dword s15, s[20:21], 0x0
	s_waitcnt lgkmcnt(0)
	s_add_i32 s22, s15, -1
	s_add_i32 s20, s22, s9
	s_cmp_ge_i32 s20, s26
	s_cbranch_scc1 .LBB168_20
; %bb.22:                               ;   in Loop: Header=BB168_21 Depth=1
	s_lshl_b32 s25, s9, 8
	s_max_i32 s23, s15, 1
	v_add_u32_e32 v3, s25, v227
	s_lshl_b32 s27, s15, 8
	s_mul_i32 s28, s9, 0x108
	s_mul_i32 s29, s15, 0x108
	s_branch .LBB168_24
.LBB168_23:                             ;   in Loop: Header=BB168_24 Depth=2
	s_add_i32 s9, s9, s15
	s_add_i32 s20, s22, s9
	;; [unrolled: 1-line block ×4, first 2 shown]
	s_cmp_ge_i32 s20, s26
	v_add_u32_e32 v3, s27, v3
	s_cbranch_scc1 .LBB168_20
.LBB168_24:                             ;   Parent Loop BB168_21 Depth=1
                                        ; =>  This Loop Header: Depth=2
                                        ;       Child Loop BB168_25 Depth 3
                                        ;       Child Loop BB168_28 Depth 3
                                        ;         Child Loop BB168_29 Depth 4
                                        ;       Child Loop BB168_33 Depth 3
                                        ;         Child Loop BB168_35 Depth 4
	s_mov_b32 s20, 0
	v_mov_b32_e32 v1, v3
	s_mov_b32 s21, s23
.LBB168_25:                             ;   Parent Loop BB168_21 Depth=1
                                        ;     Parent Loop BB168_24 Depth=2
                                        ; =>    This Inner Loop Header: Depth=3
	ds_read_b64 v[4:5], v1
	v_mov_b32_e32 v2, s20
	s_add_i32 s21, s21, -1
	s_add_i32 s20, s20, 8
	v_add_u32_e32 v1, 0x100, v1
	s_cmp_eq_u32 s21, 0
	s_waitcnt lgkmcnt(0)
	buffer_store_dword v5, v2, s[0:3], 0 offen offset:4
	buffer_store_dword v4, v2, s[0:3], 0 offen
	s_cbranch_scc0 .LBB168_25
; %bb.26:                               ;   in Loop: Header=BB168_24 Depth=2
	s_cmp_lt_i32 s9, 1
	s_cbranch_scc1 .LBB168_31
; %bb.27:                               ;   in Loop: Header=BB168_24 Depth=2
	s_mov_b32 s20, 0
	s_mov_b32 s21, s25
.LBB168_28:                             ;   Parent Loop BB168_21 Depth=1
                                        ;     Parent Loop BB168_24 Depth=2
                                        ; =>    This Loop Header: Depth=3
                                        ;         Child Loop BB168_29 Depth 4
	v_lshl_add_u32 v1, s20, 8, v227
	ds_read_b64 v[1:2], v1
	s_mov_b32 s30, 0
	s_mov_b32 s31, s21
	;; [unrolled: 1-line block ×3, first 2 shown]
.LBB168_29:                             ;   Parent Loop BB168_21 Depth=1
                                        ;     Parent Loop BB168_24 Depth=2
                                        ;       Parent Loop BB168_28 Depth=3
                                        ; =>      This Inner Loop Header: Depth=4
	v_mov_b32_e32 v6, s30
	buffer_load_dword v7, v6, s[0:3], 0 offen
	buffer_load_dword v8, v6, s[0:3], 0 offen offset:4
	v_mov_b32_e32 v4, s31
	ds_read_b64 v[4:5], v4
	s_add_i32 s33, s33, -1
	s_addk_i32 s31, 0x100
	s_add_i32 s30, s30, 8
	s_cmp_eq_u32 s33, 0
	s_waitcnt lgkmcnt(0)
	v_mul_f32_e32 v9, v5, v2
	v_mul_f32_e32 v5, v5, v1
	v_fma_f32 v9, v4, v1, -v9
	v_fmac_f32_e32 v5, v4, v2
	s_waitcnt vmcnt(1)
	v_sub_f32_e32 v4, v7, v9
	s_waitcnt vmcnt(0)
	v_sub_f32_e32 v5, v8, v5
	buffer_store_dword v4, v6, s[0:3], 0 offen
	buffer_store_dword v5, v6, s[0:3], 0 offen offset:4
	s_cbranch_scc0 .LBB168_29
; %bb.30:                               ;   in Loop: Header=BB168_28 Depth=3
	s_add_i32 s20, s20, 1
	s_add_i32 s21, s21, 8
	s_cmp_eq_u32 s20, s9
	s_cbranch_scc0 .LBB168_28
.LBB168_31:                             ;   in Loop: Header=BB168_24 Depth=2
	s_lshl_b32 s30, s9, 8
	s_mov_b32 s31, 0
	s_mov_b32 s33, s28
	s_branch .LBB168_33
.LBB168_32:                             ;   in Loop: Header=BB168_33 Depth=3
	s_mul_i32 s20, s35, 0x108
	v_mov_b32_e32 v4, s20
	ds_read_b64 v[4:5], v4
	s_lshl_b32 s20, s31, 3
	s_add_i32 s31, s31, 1
	s_addk_i32 s33, 0x100
	v_mov_b32_e32 v8, s20
	s_waitcnt vmcnt(0) lgkmcnt(0)
	v_mul_f32_e32 v6, v5, v2
	v_mul_f32_e32 v7, v4, v2
	v_fma_f32 v6, v4, v1, -v6
	v_fmac_f32_e32 v7, v5, v1
	v_add_u32_e32 v1, s34, v227
	s_cmp_eq_u32 s31, s23
	buffer_store_dword v6, v8, s[0:3], 0 offen
	buffer_store_dword v7, v8, s[0:3], 0 offen offset:4
	ds_write_b64 v1, v[6:7]
	s_cbranch_scc1 .LBB168_23
.LBB168_33:                             ;   Parent Loop BB168_21 Depth=1
                                        ;     Parent Loop BB168_24 Depth=2
                                        ; =>    This Loop Header: Depth=3
                                        ;         Child Loop BB168_35 Depth 4
	s_cmp_lg_u32 s31, 0
	s_cbranch_scc0 .LBB168_37
; %bb.34:                               ;   in Loop: Header=BB168_33 Depth=3
	s_lshl_b32 s20, s31, 3
	v_mov_b32_e32 v4, s20
	buffer_load_dword v1, v4, s[0:3], 0 offen
	buffer_load_dword v2, v4, s[0:3], 0 offen offset:4
	s_add_i32 s35, s31, s9
	s_lshl_b32 s34, s35, 8
	s_mov_b32 s20, 0
	s_mov_b32 s21, s33
	;; [unrolled: 1-line block ×3, first 2 shown]
.LBB168_35:                             ;   Parent Loop BB168_21 Depth=1
                                        ;     Parent Loop BB168_24 Depth=2
                                        ;       Parent Loop BB168_33 Depth=3
                                        ; =>      This Inner Loop Header: Depth=4
	v_mov_b32_e32 v5, s20
	buffer_load_dword v7, v5, s[0:3], 0 offen offset:4
	buffer_load_dword v8, v5, s[0:3], 0 offen
	v_mov_b32_e32 v5, s21
	ds_read_b64 v[5:6], v5
	s_add_i32 s36, s36, -1
	s_add_i32 s20, s20, 8
	s_add_i32 s21, s21, 8
	s_cmp_eq_u32 s36, 0
	s_waitcnt vmcnt(1) lgkmcnt(0)
	v_mul_f32_e32 v9, v6, v7
	v_mul_f32_e32 v7, v5, v7
	s_waitcnt vmcnt(0)
	v_fma_f32 v5, v5, v8, -v9
	v_fmac_f32_e32 v7, v6, v8
	v_sub_f32_e32 v1, v1, v5
	v_sub_f32_e32 v2, v2, v7
	buffer_store_dword v1, v4, s[0:3], 0 offen
	buffer_store_dword v2, v4, s[0:3], 0 offen offset:4
	s_cbranch_scc0 .LBB168_35
; %bb.36:                               ;   in Loop: Header=BB168_33 Depth=3
	s_branch .LBB168_32
.LBB168_37:                             ;   in Loop: Header=BB168_33 Depth=3
                                        ; implicit-def: $vgpr1
                                        ; implicit-def: $vgpr2
                                        ; implicit-def: $sgpr35
                                        ; implicit-def: $sgpr34
	s_cbranch_execz .LBB168_32
; %bb.38:                               ;   in Loop: Header=BB168_33 Depth=3
	buffer_load_dword v1, off, s[0:3], 0
	buffer_load_dword v2, off, s[0:3], 0 offset:4
	s_mov_b32 s34, s30
	s_mov_b32 s35, s9
	s_branch .LBB168_32
.LBB168_39:
	s_mov_b64 s[12:13], 0
.LBB168_40:
	s_and_b64 vcc, exec, s[12:13]
	s_cbranch_vccz .LBB168_68
; %bb.41:
	s_add_i32 s9, s26, -1
	s_cmp_gt_i32 s14, 31
	s_mov_b32 s14, s9
	s_cbranch_scc0 .LBB168_43
; %bb.42:
	v_add_u32_e32 v230, 0x1800, v227
	ds_read2_b64 v[1:4], v230 offset0:192 offset1:224
	v_mov_b32_e32 v228, 0
	s_movk_i32 s14, 0x1800
	v_add_u32_e64 v226, s14, 0
	v_add_u32_e32 v231, 0x1000, v227
	s_waitcnt lgkmcnt(0)
	buffer_store_dword v4, off, s[0:3], 0 offset:4
	buffer_load_dword v9, off, s[0:3], 0 offset:4
	v_add_u32_e32 v229, 0x800, v227
	buffer_store_dword v3, off, s[0:3], 0
	buffer_load_dword v10, off, s[0:3], 0
	ds_read2_b64 v[3:6], v230 offset0:128 offset1:160
	buffer_store_dword v2, off, s[0:3], 0 offset:12
	buffer_store_dword v1, off, s[0:3], 0 offset:8
	s_waitcnt lgkmcnt(0)
	buffer_store_dword v6, off, s[0:3], 0 offset:20
	buffer_store_dword v5, off, s[0:3], 0 offset:16
	buffer_load_dword v1, off, s[0:3], 0 offset:8
	buffer_load_dword v2, off, s[0:3], 0 offset:12
	;; [unrolled: 1-line block ×4, first 2 shown]
	ds_read_b128 v[5:8], v228 offset:8176
	ds_read_b128 v[39:42], v228 offset:8160
	;; [unrolled: 1-line block ×4, first 2 shown]
	ds_read2_b64 v[25:28], v226 offset0:156 offset1:222
	buffer_store_dword v4, off, s[0:3], 0 offset:28
	buffer_store_dword v3, off, s[0:3], 0 offset:24
	buffer_load_dword v233, off, s[0:3], 0 offset:24
	buffer_load_dword v234, off, s[0:3], 0 offset:28
	s_movk_i32 s13, 0x1000
	v_add_u32_e64 v232, s13, 0
	s_movk_i32 s12, 0x800
	s_mov_b32 s14, -1
	s_waitcnt vmcnt(14) lgkmcnt(4)
	v_mul_f32_e32 v222, v7, v9
	v_mul_f32_e32 v3, v8, v9
	s_waitcnt vmcnt(12)
	v_fmac_f32_e32 v222, v8, v10
	v_fma_f32 v221, v7, v10, -v3
	v_mul_f32_e32 v4, v5, v222
	v_mul_f32_e32 v3, v6, v222
	v_fmac_f32_e32 v4, v6, v221
	s_waitcnt lgkmcnt(3)
	v_mul_f32_e32 v7, v42, v222
	v_fma_f32 v3, v5, v221, -v3
	s_waitcnt vmcnt(6)
	v_sub_f32_e32 v2, v2, v4
	v_fma_f32 v5, v41, v221, -v7
	v_sub_f32_e32 v1, v1, v3
	s_waitcnt lgkmcnt(0)
	v_mul_f32_e32 v224, v27, v2
	v_mul_f32_e32 v8, v41, v222
	s_waitcnt vmcnt(5)
	v_sub_f32_e32 v3, v11, v5
	v_mul_f32_e32 v5, v28, v2
	v_fmac_f32_e32 v224, v28, v1
	v_fmac_f32_e32 v8, v42, v221
	v_fma_f32 v223, v27, v1, -v5
	v_mul_f32_e32 v2, v37, v224
	s_waitcnt vmcnt(4)
	v_sub_f32_e32 v4, v12, v8
	v_mul_f32_e32 v1, v38, v224
	v_fmac_f32_e32 v2, v38, v223
	v_fma_f32 v1, v37, v223, -v1
	v_sub_f32_e32 v236, v4, v2
	v_sub_f32_e32 v235, v3, v1
	v_mul_f32_e32 v1, v34, v236
	v_fma_f32 v1, v33, v235, -v1
	buffer_store_dword v1, off, s[0:3], 0 offset:16
	buffer_load_dword v225, off, s[0:3], 0 offset:16
	ds_read2_b64 v[85:88], v230 offset0:64 offset1:96
	ds_read2_b64 v[69:72], v230 offset1:32
	ds_read2_b64 v[65:68], v231 offset0:192 offset1:224
	ds_read2_b64 v[61:64], v231 offset0:128 offset1:160
	;; [unrolled: 1-line block ×3, first 2 shown]
	ds_read2_b64 v[53:56], v231 offset1:32
	ds_read2_b64 v[49:52], v229 offset0:192 offset1:224
	ds_read2_b64 v[41:44], v229 offset0:128 offset1:160
	;; [unrolled: 1-line block ×3, first 2 shown]
	ds_read_b128 v[81:84], v228 offset:8144
	ds_read_b128 v[45:48], v228 offset:7888
	ds_read_b128 v[9:12], v228 offset:7632
	ds_read_b128 v[73:76], v228 offset:7376
	ds_read_b128 v[77:80], v228 offset:7120
	ds_read_b128 v[117:120], v228 offset:8128
	ds_read_b128 v[105:108], v228 offset:7872
	ds_read_b128 v[5:8], v228 offset:7616
	ds_read_b128 v[27:30], v228 offset:7360
	ds_read_b128 v[17:20], v228 offset:7104
	ds_read_b128 v[13:16], v228 offset:6848
	ds_read_b128 v[21:24], v228 offset:6592
	ds_read_b128 v[125:128], v228 offset:8112
	ds_read_b128 v[129:132], v228 offset:7856
	ds_read_b128 v[121:124], v228 offset:7600
	ds_read_b128 v[113:116], v228 offset:7344
	ds_read_b128 v[109:112], v228 offset:7088
	ds_read_b128 v[101:104], v228 offset:6832
	ds_read_b128 v[97:100], v228 offset:6576
	ds_read_b128 v[93:96], v228 offset:6320
	ds_read_b128 v[89:92], v228 offset:6064
	ds_read_b128 v[217:220], v228 offset:8096
	ds_read_b128 v[213:216], v228 offset:7840
	ds_read_b128 v[193:196], v228 offset:7584
	ds_read_b128 v[185:188], v228 offset:7328
	ds_read_b128 v[145:148], v228 offset:7072
	ds_read_b128 v[137:140], v228 offset:6816
	ds_read_b128 v[133:136], v228 offset:6560
	ds_read_b128 v[157:160], v228 offset:6304
	ds_read_b128 v[153:156], v228 offset:6048
	ds_read_b128 v[149:152], v228 offset:5792
	ds_read_b128 v[141:144], v228 offset:5536
	ds_read_b128 v[181:184], v228 offset:8080
	ds_read_b128 v[189:192], v228 offset:7824
	ds_read_b128 v[201:204], v228 offset:7568
	ds_read_b128 v[205:208], v228 offset:7312
	ds_read_b128 v[197:200], v228 offset:7056
	ds_read_b128 v[209:212], v228 offset:6800
	ds_read_b128 v[169:172], v228 offset:6544
	ds_read_b128 v[165:168], v228 offset:6288
	ds_read_b128 v[173:176], v228 offset:6032
	ds_read_b128 v[177:180], v228 offset:5776
	ds_read_b128 v[161:164], v228 offset:5520
	ds_read2_b64 v[237:240], v226 offset0:24 offset1:90
	s_waitcnt lgkmcnt(14)
	buffer_store_dword v88, off, s[0:3], 0 offset:36
	buffer_store_dword v87, off, s[0:3], 0 offset:32
	;; [unrolled: 1-line block ×4, first 2 shown]
	v_mul_f32_e32 v85, v39, v222
	v_fmac_f32_e32 v85, v40, v221
	v_mul_f32_e32 v226, v35, v224
	s_waitcnt vmcnt(6)
	v_sub_f32_e32 v85, v234, v85
	v_fmac_f32_e32 v226, v36, v223
	v_mul_f32_e32 v88, v36, v224
	v_sub_f32_e32 v36, v85, v226
	v_mul_f32_e32 v226, v33, v236
	v_mul_f32_e32 v37, v40, v222
	v_fmac_f32_e32 v226, v34, v235
	v_fma_f32 v86, v39, v221, -v37
	v_mul_f32_e32 v34, v31, v226
	v_sub_f32_e32 v86, v233, v86
	v_fma_f32 v35, v35, v223, -v88
	v_mul_f32_e32 v33, v32, v226
	v_sub_f32_e32 v35, v86, v35
	buffer_store_dword v72, off, s[0:3], 0 offset:52
	ds_read2_b64 v[37:40], v232 offset0:148 offset1:214
	buffer_load_dword v72, off, s[0:3], 0 offset:32
	buffer_load_dword v87, off, s[0:3], 0 offset:36
	s_waitcnt vmcnt(7)
	v_fmac_f32_e32 v34, v32, v225
	v_fma_f32 v31, v31, v225, -v33
	v_sub_f32_e32 v32, v36, v34
	v_sub_f32_e32 v31, v35, v31
	v_mul_f32_e32 v33, v26, v32
	v_mul_f32_e32 v32, v25, v32
	v_fmac_f32_e32 v32, v26, v31
	v_fma_f32 v25, v25, v31, -v33
	buffer_store_dword v32, off, s[0:3], 0 offset:28
	buffer_load_dword v26, off, s[0:3], 0 offset:28
	v_mul_f32_e32 v33, v84, v222
	buffer_store_dword v25, off, s[0:3], 0 offset:24
	buffer_load_dword v25, off, s[0:3], 0 offset:24
	v_mul_f32_e32 v34, v83, v222
	buffer_store_dword v71, off, s[0:3], 0 offset:48
	buffer_store_dword v70, off, s[0:3], 0 offset:60
	buffer_store_dword v69, off, s[0:3], 0 offset:56
	buffer_store_dword v68, off, s[0:3], 0 offset:68
	buffer_store_dword v67, off, s[0:3], 0 offset:64
	buffer_store_dword v65, off, s[0:3], 0 offset:72
	buffer_store_dword v66, off, s[0:3], 0 offset:76
	buffer_store_dword v63, off, s[0:3], 0 offset:80
	buffer_store_dword v64, off, s[0:3], 0 offset:84
	buffer_store_dword v61, off, s[0:3], 0 offset:88
	buffer_store_dword v62, off, s[0:3], 0 offset:92
	buffer_store_dword v59, off, s[0:3], 0 offset:96
	buffer_store_dword v60, off, s[0:3], 0 offset:100
	buffer_store_dword v57, off, s[0:3], 0 offset:104
	buffer_store_dword v58, off, s[0:3], 0 offset:108
	buffer_store_dword v56, off, s[0:3], 0 offset:116
	buffer_store_dword v55, off, s[0:3], 0 offset:112
	buffer_store_dword v53, off, s[0:3], 0 offset:120
	buffer_store_dword v54, off, s[0:3], 0 offset:124
	buffer_store_dword v51, off, s[0:3], 0 offset:128
	buffer_store_dword v52, off, s[0:3], 0 offset:132
	buffer_store_dword v49, off, s[0:3], 0 offset:136
	buffer_store_dword v50, off, s[0:3], 0 offset:140
	v_fma_f32 v33, v83, v221, -v33
	v_fmac_f32_e32 v34, v84, v221
	v_mul_f32_e32 v65, v48, v224
	v_mul_f32_e32 v66, v47, v224
	v_fma_f32 v47, v47, v223, -v65
	v_fmac_f32_e32 v66, v48, v223
	s_waitcnt vmcnt(28)
	v_sub_f32_e32 v33, v72, v33
	s_waitcnt vmcnt(27)
	v_sub_f32_e32 v34, v87, v34
	v_mul_f32_e32 v48, v11, v226
	v_sub_f32_e32 v33, v33, v47
	v_sub_f32_e32 v34, v34, v66
	v_mul_f32_e32 v47, v12, v226
	v_fmac_f32_e32 v48, v12, v225
	buffer_load_dword v35, off, s[0:3], 0 offset:40
	buffer_load_dword v36, off, s[0:3], 0 offset:44
	;; [unrolled: 1-line block ×6, first 2 shown]
	v_fma_f32 v11, v11, v225, -v47
	v_sub_f32_e32 v12, v34, v48
	v_sub_f32_e32 v11, v33, v11
	buffer_store_dword v43, off, s[0:3], 0 offset:144
	buffer_store_dword v44, off, s[0:3], 0 offset:148
	buffer_store_dword v42, off, s[0:3], 0 offset:156
	buffer_store_dword v41, off, s[0:3], 0 offset:152
	buffer_load_dword v43, off, s[0:3], 0 offset:64
	s_nop 0
	buffer_load_dword v44, off, s[0:3], 0 offset:68
	buffer_load_dword v53, off, s[0:3], 0 offset:72
	;; [unrolled: 1-line block ×11, first 2 shown]
	s_nop 0
	buffer_store_dword v221, off, s[0:3], 0
	buffer_store_dword v222, off, s[0:3], 0 offset:4
	v_mul_f32_e32 v41, v82, v222
	v_mul_f32_e32 v42, v81, v222
	;; [unrolled: 1-line block ×6, first 2 shown]
	v_fma_f32 v41, v81, v221, -v41
	v_fmac_f32_e32 v42, v82, v221
	v_fma_f32 v61, v119, v221, -v61
	v_fmac_f32_e32 v62, v120, v221
	v_fmac_f32_e32 v64, v118, v221
	v_fma_f32 v63, v117, v221, -v63
	s_waitcnt vmcnt(49)
	v_mul_f32_e32 v34, v75, v26
	v_mul_f32_e32 v33, v76, v26
	s_waitcnt vmcnt(47)
	v_fmac_f32_e32 v34, v76, v25
	v_fma_f32 v33, v75, v25, -v33
	v_sub_f32_e32 v12, v12, v34
	v_sub_f32_e32 v11, v11, v33
	v_mul_f32_e32 v33, v80, v12
	v_mul_f32_e32 v12, v79, v12
	v_fmac_f32_e32 v12, v80, v11
	buffer_store_dword v12, off, s[0:3], 0 offset:36
	buffer_load_dword v12, off, s[0:3], 0 offset:36
	v_fma_f32 v33, v79, v11, -v33
	buffer_store_dword v33, off, s[0:3], 0 offset:32
	buffer_load_dword v11, off, s[0:3], 0 offset:32
	buffer_load_dword v47, off, s[0:3], 0
	buffer_load_dword v48, off, s[0:3], 0 offset:4
	buffer_load_dword v65, off, s[0:3], 0
	;; [unrolled: 2-line block ×6, first 2 shown]
	buffer_load_dword v34, off, s[0:3], 0 offset:4
	s_waitcnt vmcnt(39)
	v_sub_f32_e32 v41, v35, v41
	s_waitcnt vmcnt(38)
	v_sub_f32_e32 v42, v36, v42
	;; [unrolled: 2-line block ×5, first 2 shown]
	v_mul_f32_e32 v35, v46, v224
	v_mul_f32_e32 v61, v45, v224
	;; [unrolled: 1-line block ×5, first 2 shown]
	v_sub_f32_e32 v51, v51, v63
	v_mul_f32_e32 v63, v106, v224
	v_fma_f32 v45, v45, v223, -v35
	v_fmac_f32_e32 v61, v46, v223
	v_fma_f32 v46, v107, v223, -v36
	v_fmac_f32_e32 v62, v108, v223
	v_fmac_f32_e32 v64, v106, v223
	v_fma_f32 v63, v105, v223, -v63
	v_sub_f32_e32 v41, v41, v45
	v_sub_f32_e32 v45, v49, v46
	;; [unrolled: 1-line block ×4, first 2 shown]
	v_mul_f32_e32 v52, v9, v226
	v_sub_f32_e32 v42, v42, v61
	v_sub_f32_e32 v49, v51, v63
	v_mul_f32_e32 v51, v10, v226
	v_fmac_f32_e32 v52, v10, v225
	v_fma_f32 v9, v9, v225, -v51
	v_sub_f32_e32 v10, v42, v52
	v_mul_f32_e32 v42, v73, v26
	v_sub_f32_e32 v9, v41, v9
	v_mul_f32_e32 v41, v74, v26
	v_fmac_f32_e32 v42, v74, v25
	v_fma_f32 v41, v73, v25, -v41
	v_sub_f32_e32 v10, v10, v42
	v_sub_f32_e32 v9, v9, v41
	buffer_store_dword v223, off, s[0:3], 0 offset:8
	buffer_store_dword v224, off, s[0:3], 0 offset:12
	buffer_load_dword v75, off, s[0:3], 0 offset:8
	buffer_load_dword v76, off, s[0:3], 0 offset:12
	;; [unrolled: 1-line block ×12, first 2 shown]
	v_mul_f32_e32 v61, v8, v226
	buffer_store_dword v226, off, s[0:3], 0 offset:20
	buffer_load_dword v87, off, s[0:3], 0 offset:16
	buffer_load_dword v88, off, s[0:3], 0 offset:20
	;; [unrolled: 1-line block ×10, first 2 shown]
	v_mul_f32_e32 v62, v7, v226
	v_fma_f32 v7, v7, v225, -v61
	v_fmac_f32_e32 v62, v8, v225
	v_sub_f32_e32 v7, v45, v7
	v_mul_f32_e32 v45, v30, v26
	v_sub_f32_e32 v8, v46, v62
	v_mul_f32_e32 v46, v29, v26
	v_fma_f32 v29, v29, v25, -v45
	v_fmac_f32_e32 v46, v30, v25
	v_sub_f32_e32 v7, v7, v29
	v_sub_f32_e32 v8, v8, v46
	v_mul_f32_e32 v64, v5, v226
	v_mul_f32_e32 v63, v6, v226
	v_fmac_f32_e32 v64, v6, v225
	v_fma_f32 v5, v5, v225, -v63
	v_sub_f32_e32 v5, v49, v5
	v_sub_f32_e32 v50, v50, v64
	s_waitcnt vmcnt(35)
	v_mul_f32_e32 v51, v128, v48
	v_mul_f32_e32 v48, v127, v48
	s_waitcnt vmcnt(33)
	v_mul_f32_e32 v52, v126, v66
	v_mul_f32_e32 v66, v125, v66
	;; [unrolled: 3-line block ×4, first 2 shown]
	v_mul_f32_e32 v41, v78, v12
	v_fmac_f32_e32 v42, v78, v11
	v_fma_f32 v41, v77, v11, -v41
	v_sub_f32_e32 v10, v10, v42
	v_sub_f32_e32 v9, v9, v41
	s_waitcnt lgkmcnt(1)
	v_mul_f32_e32 v41, v240, v10
	v_mul_f32_e32 v10, v239, v10
	v_fmac_f32_e32 v10, v240, v9
	buffer_store_dword v10, off, s[0:3], 0 offset:44
	buffer_load_dword v10, off, s[0:3], 0 offset:44
	v_fma_f32 v41, v239, v9, -v41
	buffer_store_dword v41, off, s[0:3], 0 offset:40
	buffer_load_dword v9, off, s[0:3], 0 offset:40
	s_nop 0
	buffer_load_dword v41, off, s[0:3], 0 offset:16
	buffer_load_dword v42, off, s[0:3], 0 offset:20
	v_mul_f32_e32 v29, v20, v12
	v_mul_f32_e32 v30, v19, v12
	v_fma_f32 v19, v19, v11, -v29
	v_fmac_f32_e32 v30, v20, v11
	v_sub_f32_e32 v7, v7, v19
	v_sub_f32_e32 v8, v8, v30
	v_mul_f32_e32 v70, v217, v70
	s_waitcnt vmcnt(33)
	v_mul_f32_e32 v77, v184, v72
	v_mul_f32_e32 v72, v183, v72
	v_fma_f32 v51, v127, v47, -v51
	v_fmac_f32_e32 v48, v128, v47
	v_fma_f32 v47, v125, v65, -v52
	v_fmac_f32_e32 v66, v126, v65
	;; [unrolled: 2-line block ×5, first 2 shown]
	v_sub_f32_e32 v43, v43, v51
	v_sub_f32_e32 v44, v44, v48
	v_sub_f32_e32 v47, v53, v47
	v_sub_f32_e32 v48, v54, v66
	v_sub_f32_e32 v51, v55, v52
	v_sub_f32_e32 v52, v56, v68
	v_sub_f32_e32 v53, v57, v65
	v_sub_f32_e32 v54, v58, v70
	v_sub_f32_e32 v55, v59, v67
	s_waitcnt vmcnt(27)
	v_mul_f32_e32 v57, v132, v76
	s_waitcnt vmcnt(25)
	v_mul_f32_e32 v59, v130, v80
	;; [unrolled: 2-line block ×4, first 2 shown]
	v_sub_f32_e32 v56, v60, v72
	v_mul_f32_e32 v69, v192, v86
	v_fma_f32 v57, v131, v75, -v57
	v_fma_f32 v59, v129, v79, -v59
	v_fmac_f32_e32 v68, v214, v83
	v_fmac_f32_e32 v70, v192, v85
	s_waitcnt vmcnt(14)
	v_mul_f32_e32 v6, v124, v88
	s_waitcnt vmcnt(8)
	v_mul_f32_e32 v46, v193, v118
	v_fma_f32 v69, v191, v85, -v69
	v_sub_f32_e32 v43, v43, v57
	v_sub_f32_e32 v47, v47, v59
	;; [unrolled: 1-line block ×3, first 2 shown]
	v_fma_f32 v6, v123, v87, -v6
	v_fmac_f32_e32 v46, v194, v117
	v_sub_f32_e32 v6, v43, v6
	v_sub_f32_e32 v43, v54, v46
	v_mul_f32_e32 v46, v28, v26
	v_mul_f32_e32 v58, v131, v76
	v_mul_f32_e32 v54, v18, v12
	v_fmac_f32_e32 v58, v132, v75
	v_mul_f32_e32 v60, v129, v80
	v_mul_f32_e32 v65, v216, v82
	v_sub_f32_e32 v44, v44, v58
	s_waitcnt vmcnt(6)
	v_mul_f32_e32 v58, v203, v120
	v_mul_f32_e32 v66, v215, v82
	;; [unrolled: 1-line block ×3, first 2 shown]
	v_fmac_f32_e32 v60, v130, v79
	v_fma_f32 v65, v215, v81, -v65
	buffer_load_dword v45, off, s[0:3], 0 offset:28
	v_fmac_f32_e32 v58, v204, v119
	v_fmac_f32_e32 v66, v216, v81
	v_fma_f32 v67, v213, v83, -v67
	v_sub_f32_e32 v48, v48, v60
	v_sub_f32_e32 v51, v51, v65
	v_mul_f32_e32 v29, v195, v108
	v_mul_f32_e32 v30, v194, v118
	buffer_load_dword v60, off, s[0:3], 0 offset:24
	buffer_load_dword v61, off, s[0:3], 0 offset:24
	v_sub_f32_e32 v53, v53, v67
	buffer_store_dword v52, off, s[0:3], 0 offset:84
	v_sub_f32_e32 v52, v52, v66
	buffer_store_dword v51, off, s[0:3], 0 offset:80
	v_fmac_f32_e32 v29, v196, v107
	v_fma_f32 v30, v193, v117, -v30
	s_waitcnt vmcnt(9)
	v_mul_f32_e32 v20, v15, v10
	v_mul_f32_e32 v19, v16, v10
	s_waitcnt vmcnt(7)
	v_fmac_f32_e32 v20, v16, v9
	v_fma_f32 v15, v15, v9, -v19
	v_sub_f32_e32 v8, v8, v20
	v_sub_f32_e32 v7, v7, v15
	v_mul_f32_e32 v15, v24, v8
	v_mul_f32_e32 v8, v23, v8
	v_fmac_f32_e32 v8, v24, v7
	v_fma_f32 v15, v23, v7, -v15
	buffer_store_dword v8, off, s[0:3], 0 offset:52
	buffer_load_dword v16, off, s[0:3], 0 offset:52
	v_mul_f32_e32 v20, v122, v106
	buffer_store_dword v15, off, s[0:3], 0 offset:48
	buffer_load_dword v15, off, s[0:3], 0 offset:48
	v_sub_f32_e32 v8, v56, v70
	v_mul_f32_e32 v56, v204, v120
	v_fma_f32 v20, v121, v105, -v20
	v_sub_f32_e32 v7, v55, v69
	v_fma_f32 v56, v203, v119, -v56
	v_sub_f32_e32 v20, v47, v20
	v_mul_f32_e32 v47, v27, v26
	v_sub_f32_e32 v7, v7, v56
	v_fma_f32 v27, v27, v25, -v46
	v_fmac_f32_e32 v47, v28, v25
	v_mul_f32_e32 v56, v17, v12
	v_sub_f32_e32 v5, v5, v27
	v_sub_f32_e32 v27, v50, v47
	v_fma_f32 v17, v17, v11, -v54
	v_fmac_f32_e32 v56, v18, v11
	v_sub_f32_e32 v5, v5, v17
	v_sub_f32_e32 v17, v27, v56
	v_mul_f32_e32 v54, v14, v10
	v_mul_f32_e32 v56, v13, v10
	buffer_load_dword v55, off, s[0:3], 0 offset:28
	v_fma_f32 v13, v13, v9, -v54
	v_fmac_f32_e32 v56, v14, v9
	v_mul_f32_e32 v19, v123, v88
	v_mul_f32_e32 v23, v121, v106
	;; [unrolled: 1-line block ×3, first 2 shown]
	v_sub_f32_e32 v8, v8, v58
	v_sub_f32_e32 v5, v5, v13
	v_sub_f32_e32 v13, v17, v56
	v_fmac_f32_e32 v19, v124, v87
	v_fmac_f32_e32 v23, v122, v105
	v_fma_f32 v24, v195, v107, -v24
	buffer_store_dword v8, off, s[0:3], 0 offset:100
	buffer_load_dword v57, off, s[0:3], 0 offset:28
	buffer_load_dword v59, off, s[0:3], 0 offset:28
	buffer_load_dword v49, off, s[0:3], 0 offset:28
	buffer_load_dword v62, off, s[0:3], 0 offset:24
	buffer_load_dword v63, off, s[0:3], 0 offset:24
	buffer_load_dword v64, off, s[0:3], 0 offset:24
	v_sub_f32_e32 v19, v44, v19
	v_sub_f32_e32 v23, v48, v23
	;; [unrolled: 1-line block ×5, first 2 shown]
	buffer_load_dword v44, off, s[0:3], 0 offset:24
	buffer_load_dword v28, off, s[0:3], 0 offset:36
	;; [unrolled: 1-line block ×11, first 2 shown]
	s_waitcnt vmcnt(21)
	v_mul_f32_e32 v17, v21, v16
	v_mul_f32_e32 v14, v22, v16
	s_waitcnt vmcnt(19)
	v_fmac_f32_e32 v17, v22, v15
	v_fma_f32 v14, v21, v15, -v14
	v_sub_f32_e32 v13, v13, v17
	v_sub_f32_e32 v5, v5, v14
	v_mul_f32_e32 v14, v238, v13
	v_mul_f32_e32 v13, v237, v13
	v_fmac_f32_e32 v13, v238, v5
	buffer_store_dword v13, off, s[0:3], 0 offset:60
	v_fma_f32 v17, v237, v5, -v14
	buffer_load_dword v14, off, s[0:3], 0 offset:60
	v_mul_f32_e32 v5, v116, v45
	buffer_store_dword v17, off, s[0:3], 0 offset:56
	buffer_load_dword v13, off, s[0:3], 0 offset:56
	buffer_load_dword v54, off, s[0:3], 0 offset:28
	v_mul_f32_e32 v17, v115, v45
	v_fmac_f32_e32 v17, v116, v60
	v_sub_f32_e32 v17, v19, v17
	v_fma_f32 v5, v115, v60, -v5
	buffer_load_dword v60, off, s[0:3], 0 offset:44
	v_sub_f32_e32 v5, v6, v5
	buffer_load_dword v6, off, s[0:3], 0 offset:40
	s_waitcnt vmcnt(25)
	v_mul_f32_e32 v21, v114, v55
	v_mul_f32_e32 v22, v113, v55
	v_fma_f32 v21, v113, v61, -v21
	v_fmac_f32_e32 v22, v114, v61
	buffer_load_dword v19, off, s[0:3], 0 offset:40
	v_sub_f32_e32 v20, v20, v21
	v_sub_f32_e32 v21, v23, v22
	s_waitcnt vmcnt(24)
	v_mul_f32_e32 v45, v188, v57
	v_mul_f32_e32 v55, v187, v57
	s_waitcnt vmcnt(23)
	v_mul_f32_e32 v56, v186, v59
	v_mul_f32_e32 v57, v185, v59
	s_waitcnt vmcnt(22)
	v_mul_f32_e32 v58, v208, v49
	s_waitcnt vmcnt(17)
	v_mul_f32_e32 v61, v112, v28
	v_mul_f32_e32 v28, v111, v28
	s_waitcnt vmcnt(16)
	v_fmac_f32_e32 v28, v112, v46
	buffer_load_dword v59, off, s[0:3], 0 offset:44
	v_sub_f32_e32 v17, v17, v28
	v_fma_f32 v58, v207, v64, -v58
	v_mul_f32_e32 v49, v207, v49
	v_sub_f32_e32 v7, v7, v58
	s_waitcnt vmcnt(9)
	v_mul_f32_e32 v28, v104, v27
	v_mul_f32_e32 v27, v103, v27
	v_fmac_f32_e32 v27, v104, v18
	v_fma_f32 v61, v111, v46, -v61
	v_sub_f32_e32 v17, v17, v27
	v_mul_f32_e32 v27, v99, v16
	v_fma_f32 v45, v187, v62, -v45
	v_fmac_f32_e32 v55, v188, v62
	v_fma_f32 v56, v185, v63, -v56
	v_fmac_f32_e32 v57, v186, v63
	v_fmac_f32_e32 v49, v208, v64
	buffer_store_dword v7, off, s[0:3], 0 offset:96
	v_sub_f32_e32 v5, v5, v61
	v_fma_f32 v28, v103, v18, -v28
	v_mul_f32_e32 v18, v100, v16
	v_fmac_f32_e32 v27, v100, v15
	v_sub_f32_e32 v22, v24, v45
	v_sub_f32_e32 v23, v29, v55
	v_sub_f32_e32 v24, v30, v56
	v_sub_f32_e32 v29, v43, v57
	v_sub_f32_e32 v8, v8, v49
	buffer_load_dword v30, off, s[0:3], 0 offset:52
	buffer_load_dword v43, off, s[0:3], 0 offset:32
	;; [unrolled: 1-line block ×12, first 2 shown]
	v_sub_f32_e32 v5, v5, v28
	v_fma_f32 v18, v99, v15, -v18
	v_sub_f32_e32 v17, v17, v27
	v_sub_f32_e32 v5, v5, v18
	v_mul_f32_e32 v62, v110, v47
	v_mul_f32_e32 v47, v109, v47
	;; [unrolled: 1-line block ×3, first 2 shown]
	v_fma_f32 v46, v109, v48, -v62
	v_fmac_f32_e32 v47, v110, v48
	v_fma_f32 v48, v147, v51, -v63
	v_sub_f32_e32 v20, v20, v46
	v_sub_f32_e32 v21, v21, v47
	;; [unrolled: 1-line block ×3, first 2 shown]
	v_mul_f32_e32 v50, v147, v50
	v_fmac_f32_e32 v50, v148, v51
	v_sub_f32_e32 v23, v23, v50
	v_mul_f32_e32 v64, v146, v52
	s_waitcnt vmcnt(20)
	v_mul_f32_e32 v27, v95, v14
	v_mul_f32_e32 v18, v96, v14
	s_waitcnt vmcnt(18)
	v_fmac_f32_e32 v27, v96, v13
	v_fma_f32 v18, v95, v13, -v18
	v_sub_f32_e32 v17, v17, v27
	v_sub_f32_e32 v5, v5, v18
	v_mul_f32_e32 v18, v91, v17
	v_mul_f32_e32 v27, v92, v17
	v_fmac_f32_e32 v18, v92, v5
	v_fma_f32 v17, v91, v5, -v27
	buffer_store_dword v18, off, s[0:3], 0 offset:68
	buffer_load_dword v5, off, s[0:3], 0 offset:68
	v_mul_f32_e32 v52, v145, v52
	buffer_store_dword v17, off, s[0:3], 0 offset:64
	buffer_load_dword v27, off, s[0:3], 0 offset:64
	buffer_load_dword v28, off, s[0:3], 0 offset:40
	buffer_load_dword v46, off, s[0:3], 0 offset:44
	buffer_load_dword v47, off, s[0:3], 0 offset:40
	buffer_load_dword v48, off, s[0:3], 0 offset:44
	v_mul_f32_e32 v66, v200, v53
	v_mul_f32_e32 v53, v199, v53
	s_waitcnt vmcnt(21)
	v_mul_f32_e32 v50, v102, v59
	v_mul_f32_e32 v51, v101, v59
	;; [unrolled: 1-line block ×4, first 2 shown]
	v_fma_f32 v50, v101, v6, -v50
	v_fmac_f32_e32 v51, v102, v6
	v_fma_f32 v6, v139, v19, -v59
	v_fmac_f32_e32 v60, v140, v19
	v_sub_f32_e32 v6, v22, v6
	v_sub_f32_e32 v19, v20, v50
	;; [unrolled: 1-line block ×4, first 2 shown]
	buffer_load_dword v23, off, s[0:3], 0 offset:48
	buffer_load_dword v50, off, s[0:3], 0 offset:52
	;; [unrolled: 1-line block ×4, first 2 shown]
	s_waitcnt vmcnt(23)
	v_mul_f32_e32 v22, v98, v30
	v_mul_f32_e32 v30, v97, v30
	s_waitcnt vmcnt(21)
	v_mul_f32_e32 v60, v136, v45
	v_mul_f32_e32 v45, v135, v45
	s_waitcnt vmcnt(19)
	v_fma_f32 v22, v97, v55, -v22
	v_fmac_f32_e32 v30, v98, v55
	s_waitcnt vmcnt(17)
	v_fma_f32 v55, v135, v57, -v60
	v_sub_f32_e32 v19, v19, v22
	s_waitcnt vmcnt(15)
	v_mul_f32_e32 v22, v94, v65
	v_mul_f32_e32 v60, v93, v65
	v_sub_f32_e32 v20, v20, v30
	s_waitcnt vmcnt(14)
	v_fma_f32 v22, v93, v68, -v22
	v_fmac_f32_e32 v60, v94, v68
	v_sub_f32_e32 v19, v19, v22
	v_sub_f32_e32 v20, v20, v60
	v_mul_f32_e32 v22, v90, v18
	v_mul_f32_e32 v60, v89, v18
	v_fma_f32 v22, v89, v17, -v22
	v_fmac_f32_e32 v60, v90, v17
	v_sub_f32_e32 v22, v19, v22
	v_sub_f32_e32 v19, v20, v60
	v_fmac_f32_e32 v45, v136, v57
	s_waitcnt vmcnt(13)
	v_mul_f32_e32 v61, v160, v67
	v_mul_f32_e32 v62, v159, v67
	s_waitcnt lgkmcnt(0)
	v_mul_f32_e32 v20, v39, v19
	v_sub_f32_e32 v21, v21, v45
	s_waitcnt vmcnt(12)
	v_fma_f32 v61, v159, v69, -v61
	v_fmac_f32_e32 v62, v160, v69
	v_mul_f32_e32 v60, v40, v19
	v_fmac_f32_e32 v20, v40, v22
	v_sub_f32_e32 v6, v6, v55
	buffer_load_dword v30, off, s[0:3], 0 offset:56
	buffer_load_dword v45, off, s[0:3], 0 offset:60
	;; [unrolled: 1-line block ×4, first 2 shown]
	v_sub_f32_e32 v21, v21, v62
	v_fma_f32 v19, v39, v22, -v60
	v_mul_f32_e32 v39, v151, v20
	v_sub_f32_e32 v6, v6, v61
	v_mul_f32_e32 v22, v152, v20
	v_fmac_f32_e32 v39, v152, v19
	buffer_load_dword v61, off, s[0:3], 0 offset:64
	buffer_load_dword v62, off, s[0:3], 0 offset:68
	;; [unrolled: 1-line block ×4, first 2 shown]
	v_fma_f32 v22, v151, v19, -v22
	s_waitcnt vmcnt(18)
	v_mul_f32_e32 v69, v156, v5
	v_mul_f32_e32 v5, v155, v5
	buffer_store_dword v19, off, s[0:3], 0 offset:72
	buffer_store_dword v20, off, s[0:3], 0 offset:76
	s_waitcnt vmcnt(18)
	v_fmac_f32_e32 v5, v156, v27
	v_fma_f32 v69, v155, v27, -v69
	v_sub_f32_e32 v5, v21, v5
	v_sub_f32_e32 v6, v6, v69
	;; [unrolled: 1-line block ×4, first 2 shown]
	v_mul_f32_e32 v21, v144, v5
	buffer_load_dword v40, off, s[0:3], 0 offset:72
	buffer_load_dword v60, off, s[0:3], 0 offset:76
	;; [unrolled: 1-line block ×4, first 2 shown]
	v_mul_f32_e32 v22, v143, v5
	v_fma_f32 v5, v143, v6, -v21
	buffer_store_dword v5, off, s[0:3], 0 offset:80
	buffer_load_dword v21, off, s[0:3], 0 offset:80
	v_fmac_f32_e32 v22, v144, v6
	buffer_store_dword v22, off, s[0:3], 0 offset:84
	buffer_load_dword v5, off, s[0:3], 0 offset:84
	v_fma_f32 v6, v145, v43, -v64
	v_fmac_f32_e32 v52, v146, v43
	v_fma_f32 v27, v199, v49, -v66
	v_sub_f32_e32 v6, v24, v6
	v_sub_f32_e32 v24, v29, v52
	;; [unrolled: 1-line block ×3, first 2 shown]
	buffer_load_dword v27, off, s[0:3], 0 offset:80
	buffer_load_dword v29, off, s[0:3], 0 offset:40
	;; [unrolled: 1-line block ×3, first 2 shown]
	s_waitcnt vmcnt(27)
	v_mul_f32_e32 v39, v138, v46
	v_mul_f32_e32 v46, v137, v46
	v_fmac_f32_e32 v53, v200, v49
	s_waitcnt vmcnt(25)
	v_mul_f32_e32 v49, v212, v48
	v_mul_f32_e32 v48, v211, v48
	v_fmac_f32_e32 v46, v138, v28
	v_fma_f32 v39, v137, v28, -v39
	v_fma_f32 v28, v211, v47, -v49
	v_fmac_f32_e32 v48, v212, v47
	v_sub_f32_e32 v24, v24, v46
	buffer_load_dword v46, off, s[0:3], 0 offset:48
	buffer_load_dword v47, off, s[0:3], 0 offset:52
	v_sub_f32_e32 v8, v8, v53
	v_sub_f32_e32 v6, v6, v39
	;; [unrolled: 1-line block ×4, first 2 shown]
	s_waitcnt vmcnt(25)
	v_mul_f32_e32 v28, v134, v50
	v_mul_f32_e32 v39, v133, v50
	s_waitcnt vmcnt(23)
	v_mul_f32_e32 v48, v172, v59
	v_fma_f32 v28, v133, v23, -v28
	v_fmac_f32_e32 v39, v134, v23
	v_fma_f32 v23, v171, v51, -v48
	v_sub_f32_e32 v6, v6, v28
	v_sub_f32_e32 v24, v24, v39
	;; [unrolled: 1-line block ×3, first 2 shown]
	v_mul_f32_e32 v49, v171, v59
	v_fmac_f32_e32 v49, v172, v51
	v_sub_f32_e32 v8, v8, v49
	buffer_load_dword v48, off, s[0:3], 0 offset:56
	buffer_load_dword v49, off, s[0:3], 0 offset:60
	s_waitcnt vmcnt(23)
	v_mul_f32_e32 v23, v158, v45
	v_mul_f32_e32 v28, v157, v45
	s_waitcnt vmcnt(21)
	v_mul_f32_e32 v39, v168, v57
	v_fma_f32 v23, v157, v30, -v23
	v_fmac_f32_e32 v28, v158, v30
	v_fma_f32 v30, v167, v55, -v39
	v_sub_f32_e32 v6, v6, v23
	v_sub_f32_e32 v23, v24, v28
	;; [unrolled: 1-line block ×3, first 2 shown]
	s_waitcnt vmcnt(19)
	v_mul_f32_e32 v24, v154, v62
	v_mul_f32_e32 v28, v153, v62
	s_waitcnt vmcnt(17)
	v_mul_f32_e32 v30, v176, v65
	v_mul_f32_e32 v45, v167, v57
	v_fma_f32 v24, v153, v61, -v24
	v_fmac_f32_e32 v28, v154, v61
	v_fma_f32 v30, v175, v63, -v30
	v_fmac_f32_e32 v45, v168, v55
	v_sub_f32_e32 v6, v6, v24
	v_sub_f32_e32 v23, v23, v28
	;; [unrolled: 1-line block ×3, first 2 shown]
	s_waitcnt vmcnt(13)
	v_mul_f32_e32 v24, v150, v60
	v_mul_f32_e32 v28, v149, v60
	s_waitcnt vmcnt(11)
	v_mul_f32_e32 v30, v180, v68
	v_sub_f32_e32 v8, v8, v45
	v_fma_f32 v24, v149, v40, -v24
	v_fmac_f32_e32 v28, v150, v40
	v_mul_f32_e32 v40, v142, v22
	v_mul_f32_e32 v45, v141, v22
	v_fma_f32 v30, v179, v67, -v30
	v_mul_f32_e32 v39, v175, v65
	v_sub_f32_e32 v6, v6, v24
	v_sub_f32_e32 v23, v23, v28
	;; [unrolled: 1-line block ×3, first 2 shown]
	s_waitcnt vmcnt(9)
	v_fma_f32 v7, v141, v21, -v40
	v_fmac_f32_e32 v45, v142, v21
	v_fmac_f32_e32 v39, v176, v63
	v_sub_f32_e32 v6, v6, v7
	v_sub_f32_e32 v7, v23, v45
	;; [unrolled: 1-line block ×3, first 2 shown]
	v_mul_f32_e32 v39, v179, v68
	v_mul_f32_e32 v23, v38, v7
	v_fmac_f32_e32 v39, v180, v67
	v_mul_f32_e32 v24, v37, v7
	v_fma_f32 v23, v37, v6, -v23
	v_sub_f32_e32 v30, v8, v39
	s_waitcnt vmcnt(7)
	v_mul_f32_e32 v8, v164, v5
	v_fmac_f32_e32 v24, v38, v6
	buffer_store_dword v23, off, s[0:3], 0 offset:88
	buffer_store_dword v24, off, s[0:3], 0 offset:92
	s_waitcnt vmcnt(8)
	v_fma_f32 v37, v163, v27, -v8
	v_mul_f32_e32 v38, v163, v5
	ds_read_b128 v[5:8], v228 offset:5264
	v_fmac_f32_e32 v38, v164, v27
	v_sub_f32_e32 v27, v28, v37
	v_sub_f32_e32 v28, v30, v38
	buffer_load_dword v30, off, s[0:3], 0 offset:68
	buffer_load_dword v45, off, s[0:3], 0 offset:64
	s_waitcnt lgkmcnt(0)
	v_mul_f32_e32 v37, v8, v24
	v_fma_f32 v50, v7, v23, -v37
	v_mul_f32_e32 v7, v7, v24
	v_fmac_f32_e32 v7, v8, v23
	ds_read_b128 v[37:40], v228 offset:5008
	v_sub_f32_e32 v8, v27, v50
	buffer_load_dword v50, off, s[0:3], 0 offset:76
	buffer_load_dword v51, off, s[0:3], 0 offset:72
	v_sub_f32_e32 v7, v28, v7
	s_waitcnt lgkmcnt(0)
	v_mul_f32_e32 v27, v40, v7
	v_fma_f32 v27, v39, v8, -v27
	v_mul_f32_e32 v28, v39, v7
	buffer_store_dword v27, off, s[0:3], 0 offset:96
	v_fmac_f32_e32 v28, v40, v8
	buffer_load_dword v7, off, s[0:3], 0 offset:84
	buffer_load_dword v8, off, s[0:3], 0 offset:80
	v_mul_f32_e32 v39, v182, v34
	buffer_store_dword v28, off, s[0:3], 0 offset:100
	v_mul_f32_e32 v34, v181, v34
	buffer_load_dword v27, off, s[0:3], 0 offset:96
	v_fma_f32 v39, v181, v33, -v39
	v_fmac_f32_e32 v34, v182, v33
	buffer_load_dword v33, off, s[0:3], 0 offset:92
	buffer_load_dword v40, off, s[0:3], 0 offset:88
	v_sub_f32_e32 v32, v32, v34
	v_mul_f32_e32 v34, v190, v36
	v_sub_f32_e32 v31, v31, v39
	v_fma_f32 v34, v189, v35, -v34
	v_mul_f32_e32 v36, v189, v36
	v_fmac_f32_e32 v36, v190, v35
	v_sub_f32_e32 v31, v31, v34
	v_mul_f32_e32 v34, v202, v42
	v_mul_f32_e32 v35, v201, v42
	v_fma_f32 v34, v201, v41, -v34
	v_fmac_f32_e32 v35, v202, v41
	buffer_load_dword v39, off, s[0:3], 0 offset:4
	buffer_load_dword v41, off, s[0:3], 0
	v_sub_f32_e32 v32, v32, v36
	v_sub_f32_e32 v31, v31, v34
	;; [unrolled: 1-line block ×3, first 2 shown]
	v_mul_f32_e32 v34, v206, v54
	v_mul_f32_e32 v35, v205, v54
	v_fma_f32 v34, v205, v44, -v34
	v_fmac_f32_e32 v35, v206, v44
	buffer_load_dword v42, off, s[0:3], 0 offset:112
	buffer_load_dword v44, off, s[0:3], 0 offset:116
	buffer_load_dword v52, off, s[0:3], 0 offset:12
	buffer_load_dword v53, off, s[0:3], 0 offset:8
	v_sub_f32_e32 v31, v31, v34
	v_sub_f32_e32 v32, v32, v35
	v_mul_f32_e32 v34, v198, v58
	v_mul_f32_e32 v35, v197, v58
	v_fma_f32 v34, v197, v56, -v34
	v_fmac_f32_e32 v35, v198, v56
	v_sub_f32_e32 v31, v31, v34
	v_sub_f32_e32 v32, v32, v35
	s_waitcnt vmcnt(23)
	v_mul_f32_e32 v34, v210, v43
	v_mul_f32_e32 v35, v209, v43
	buffer_load_dword v43, off, s[0:3], 0 offset:20
	buffer_load_dword v54, off, s[0:3], 0 offset:16
	v_fma_f32 v34, v209, v29, -v34
	v_fmac_f32_e32 v35, v210, v29
	v_sub_f32_e32 v29, v31, v34
	v_sub_f32_e32 v31, v32, v35
	s_waitcnt vmcnt(23)
	v_mul_f32_e32 v32, v170, v47
	v_mul_f32_e32 v34, v169, v47
	v_fma_f32 v32, v169, v46, -v32
	v_fmac_f32_e32 v34, v170, v46
	buffer_load_dword v46, off, s[0:3], 0 offset:28
	buffer_load_dword v47, off, s[0:3], 0 offset:24
	v_sub_f32_e32 v29, v29, v32
	v_sub_f32_e32 v31, v31, v34
	s_waitcnt vmcnt(23)
	v_mul_f32_e32 v32, v166, v49
	v_mul_f32_e32 v34, v165, v49
	v_fma_f32 v32, v165, v48, -v32
	v_fmac_f32_e32 v34, v166, v48
	buffer_load_dword v48, off, s[0:3], 0 offset:36
	buffer_load_dword v49, off, s[0:3], 0 offset:32
	v_sub_f32_e32 v29, v29, v32
	v_sub_f32_e32 v31, v31, v34
	s_waitcnt vmcnt(22)
	v_mul_f32_e32 v32, v174, v30
	v_mul_f32_e32 v30, v173, v30
	s_waitcnt vmcnt(21)
	v_fma_f32 v32, v173, v45, -v32
	v_fmac_f32_e32 v30, v174, v45
	v_sub_f32_e32 v29, v29, v32
	v_sub_f32_e32 v30, v31, v30
	s_waitcnt vmcnt(20)
	v_mul_f32_e32 v31, v178, v50
	v_mul_f32_e32 v32, v177, v50
	s_waitcnt vmcnt(19)
	v_fma_f32 v31, v177, v51, -v31
	v_fmac_f32_e32 v32, v178, v51
	v_sub_f32_e32 v29, v29, v31
	v_sub_f32_e32 v30, v30, v32
	buffer_load_dword v31, off, s[0:3], 0 offset:44
	buffer_load_dword v32, off, s[0:3], 0 offset:40
	;; [unrolled: 1-line block ×4, first 2 shown]
	s_waitcnt vmcnt(21)
	v_mul_f32_e32 v34, v162, v7
	s_waitcnt vmcnt(20)
	v_fma_f32 v34, v161, v8, -v34
	v_mul_f32_e32 v7, v161, v7
	v_fmac_f32_e32 v7, v162, v8
	v_sub_f32_e32 v8, v29, v34
	v_sub_f32_e32 v7, v30, v7
	buffer_load_dword v59, off, s[0:3], 0 offset:60
	buffer_load_dword v60, off, s[0:3], 0 offset:56
	s_waitcnt vmcnt(19)
	v_mul_f32_e32 v29, v6, v33
	s_waitcnt vmcnt(18)
	v_fma_f32 v29, v5, v40, -v29
	v_mul_f32_e32 v5, v5, v33
	v_fmac_f32_e32 v5, v6, v40
	v_sub_f32_e32 v30, v7, v5
	v_mul_f32_e32 v5, v38, v28
	v_sub_f32_e32 v29, v8, v29
	v_fma_f32 v33, v37, v27, -v5
	ds_read2_b64 v[5:8], v232 offset0:16 offset1:82
	v_mul_f32_e32 v34, v37, v28
	v_fmac_f32_e32 v34, v38, v27
	v_sub_f32_e32 v37, v29, v33
	v_sub_f32_e32 v30, v30, v34
	ds_read_b128 v[33:36], v228 offset:8064
	s_waitcnt lgkmcnt(1)
	v_mul_f32_e32 v29, v8, v30
	buffer_load_dword v63, off, s[0:3], 0 offset:68
	buffer_load_dword v64, off, s[0:3], 0 offset:64
	v_fma_f32 v29, v7, v37, -v29
	v_mul_f32_e32 v30, v7, v30
	v_fmac_f32_e32 v30, v8, v37
	buffer_store_dword v29, off, s[0:3], 0 offset:104
	buffer_store_dword v30, off, s[0:3], 0 offset:108
	s_waitcnt vmcnt(21) lgkmcnt(0)
	v_mul_f32_e32 v7, v36, v39
	s_waitcnt vmcnt(20)
	v_fma_f32 v7, v35, v41, -v7
	v_mul_f32_e32 v8, v35, v39
	buffer_load_dword v35, off, s[0:3], 0 offset:76
	ds_read_b128 v[37:40], v228 offset:7808
	v_fmac_f32_e32 v8, v36, v41
	buffer_load_dword v36, off, s[0:3], 0 offset:72
	s_waitcnt vmcnt(21)
	v_sub_f32_e32 v7, v42, v7
	s_waitcnt vmcnt(20)
	v_sub_f32_e32 v8, v44, v8
	s_waitcnt vmcnt(19) lgkmcnt(0)
	v_mul_f32_e32 v41, v40, v52
	v_mul_f32_e32 v45, v39, v52
	s_waitcnt vmcnt(18)
	v_fma_f32 v44, v39, v53, -v41
	v_fmac_f32_e32 v45, v40, v53
	ds_read_b128 v[39:42], v228 offset:7552
	buffer_load_dword v65, off, s[0:3], 0 offset:84
	buffer_load_dword v66, off, s[0:3], 0 offset:80
	v_sub_f32_e32 v7, v7, v44
	v_sub_f32_e32 v8, v8, v45
	s_waitcnt vmcnt(19) lgkmcnt(0)
	v_mul_f32_e32 v44, v42, v43
	v_mul_f32_e32 v50, v41, v43
	s_waitcnt vmcnt(18)
	v_fma_f32 v45, v41, v54, -v44
	v_fmac_f32_e32 v50, v42, v54
	ds_read_b128 v[41:44], v228 offset:7296
	buffer_load_dword v71, off, s[0:3], 0 offset:92
	buffer_load_dword v72, off, s[0:3], 0 offset:88
	v_sub_f32_e32 v7, v7, v45
	v_sub_f32_e32 v8, v8, v50
	s_waitcnt vmcnt(19) lgkmcnt(0)
	v_mul_f32_e32 v45, v44, v46
	v_mul_f32_e32 v51, v43, v46
	s_waitcnt vmcnt(18)
	v_fma_f32 v50, v43, v47, -v45
	v_fmac_f32_e32 v51, v44, v47
	ds_read_b128 v[43:46], v228 offset:7040
	buffer_load_dword v73, off, s[0:3], 0 offset:100
	buffer_load_dword v75, off, s[0:3], 0 offset:96
	buffer_load_dword v76, off, s[0:3], 0 offset:108
	buffer_load_dword v77, off, s[0:3], 0 offset:104
	v_sub_f32_e32 v7, v7, v50
	s_waitcnt vmcnt(21) lgkmcnt(0)
	v_mul_f32_e32 v47, v46, v48
	s_waitcnt vmcnt(20)
	v_fma_f32 v47, v45, v49, -v47
	v_mul_f32_e32 v50, v45, v48
	v_fmac_f32_e32 v50, v46, v49
	v_sub_f32_e32 v7, v7, v47
	ds_read_b128 v[45:48], v228 offset:6784
	v_sub_f32_e32 v8, v8, v51
	v_sub_f32_e32 v8, v8, v50
	buffer_store_dword v8, off, s[0:3], 0 offset:116
	s_waitcnt vmcnt(20) lgkmcnt(0)
	v_mul_f32_e32 v49, v48, v31
	s_waitcnt vmcnt(19)
	v_fma_f32 v53, v47, v32, -v49
	ds_read_b128 v[49:52], v228 offset:6528
	v_mul_f32_e32 v31, v47, v31
	v_fmac_f32_e32 v31, v48, v32
	v_sub_f32_e32 v7, v7, v53
	v_sub_f32_e32 v8, v8, v31
	s_waitcnt vmcnt(18) lgkmcnt(0)
	v_mul_f32_e32 v31, v52, v55
	v_mul_f32_e32 v32, v51, v55
	buffer_store_dword v7, off, s[0:3], 0 offset:112
	s_waitcnt vmcnt(18)
	v_fma_f32 v31, v51, v56, -v31
	v_fmac_f32_e32 v32, v52, v56
	ds_read_b128 v[51:54], v228 offset:6272
	buffer_load_dword v47, off, s[0:3], 0 offset:4
	buffer_load_dword v48, off, s[0:3], 0
	ds_read_b128 v[55:58], v228 offset:6016
	buffer_load_dword v78, off, s[0:3], 0 offset:120
	buffer_load_dword v79, off, s[0:3], 0 offset:124
	;; [unrolled: 1-line block ×4, first 2 shown]
	v_sub_f32_e32 v7, v7, v31
	v_sub_f32_e32 v8, v8, v32
	s_waitcnt vmcnt(23) lgkmcnt(1)
	v_mul_f32_e32 v31, v54, v59
	v_mul_f32_e32 v32, v53, v59
	s_waitcnt vmcnt(22)
	v_fma_f32 v31, v53, v60, -v31
	v_fmac_f32_e32 v32, v54, v60
	buffer_load_dword v53, off, s[0:3], 0 offset:20
	buffer_load_dword v54, off, s[0:3], 0 offset:16
	ds_read_b128 v[59:62], v228 offset:5760
	v_sub_f32_e32 v7, v7, v31
	v_sub_f32_e32 v8, v8, v32
	s_waitcnt vmcnt(23) lgkmcnt(1)
	v_mul_f32_e32 v31, v58, v63
	v_mul_f32_e32 v32, v57, v63
	s_waitcnt vmcnt(22)
	v_fma_f32 v31, v57, v64, -v31
	v_fmac_f32_e32 v32, v58, v64
	buffer_load_dword v57, off, s[0:3], 0 offset:28
	buffer_load_dword v58, off, s[0:3], 0 offset:24
	v_sub_f32_e32 v7, v7, v31
	v_sub_f32_e32 v8, v8, v32
	s_waitcnt vmcnt(21) lgkmcnt(0)
	v_mul_f32_e32 v31, v62, v35
	v_mul_f32_e32 v32, v61, v35
	s_waitcnt vmcnt(20)
	v_fma_f32 v31, v61, v36, -v31
	v_fmac_f32_e32 v32, v62, v36
	ds_read_b128 v[61:64], v228 offset:5504
	buffer_load_dword v35, off, s[0:3], 0 offset:36
	buffer_load_dword v36, off, s[0:3], 0 offset:32
	;; [unrolled: 1-line block ×6, first 2 shown]
	v_sub_f32_e32 v7, v7, v31
	v_sub_f32_e32 v8, v8, v32
	s_waitcnt vmcnt(25) lgkmcnt(0)
	v_mul_f32_e32 v31, v64, v65
	v_mul_f32_e32 v32, v63, v65
	s_waitcnt vmcnt(24)
	v_fma_f32 v31, v63, v66, -v31
	v_fmac_f32_e32 v32, v64, v66
	ds_read_b128 v[63:66], v228 offset:5248
	ds_read_b128 v[67:70], v228 offset:4992
	v_sub_f32_e32 v7, v7, v31
	v_sub_f32_e32 v8, v8, v32
	s_waitcnt vmcnt(23) lgkmcnt(1)
	v_mul_f32_e32 v31, v66, v71
	v_mul_f32_e32 v32, v65, v71
	s_waitcnt vmcnt(22)
	v_fma_f32 v31, v65, v72, -v31
	v_fmac_f32_e32 v32, v66, v72
	v_sub_f32_e32 v7, v7, v31
	v_sub_f32_e32 v8, v8, v32
	buffer_load_dword v65, off, s[0:3], 0 offset:60
	buffer_load_dword v66, off, s[0:3], 0 offset:56
	s_waitcnt vmcnt(23) lgkmcnt(0)
	v_mul_f32_e32 v31, v70, v73
	v_mul_f32_e32 v32, v69, v73
	ds_read_b128 v[71:74], v228 offset:4736
	s_waitcnt vmcnt(22)
	v_fma_f32 v31, v69, v75, -v31
	v_fmac_f32_e32 v32, v70, v75
	v_sub_f32_e32 v7, v7, v31
	v_sub_f32_e32 v8, v8, v32
	s_waitcnt vmcnt(21) lgkmcnt(0)
	v_mul_f32_e32 v31, v74, v76
	v_mul_f32_e32 v32, v73, v76
	s_waitcnt vmcnt(20)
	v_fma_f32 v31, v73, v77, -v31
	v_fmac_f32_e32 v32, v74, v77
	ds_read_b128 v[73:76], v228 offset:4480
	buffer_load_dword v69, off, s[0:3], 0 offset:68
	buffer_load_dword v70, off, s[0:3], 0 offset:64
	buffer_load_dword v77, off, s[0:3], 0 offset:76
	buffer_load_dword v86, off, s[0:3], 0 offset:72
	v_sub_f32_e32 v8, v8, v32
	v_sub_f32_e32 v7, v7, v31
	s_waitcnt lgkmcnt(0)
	v_mul_f32_e32 v31, v76, v8
	v_mul_f32_e32 v32, v75, v8
	v_fma_f32 v31, v75, v7, -v31
	v_fmac_f32_e32 v32, v76, v7
	buffer_load_dword v7, off, s[0:3], 0 offset:84
	buffer_load_dword v8, off, s[0:3], 0 offset:80
	s_nop 0
	buffer_store_dword v31, off, s[0:3], 0 offset:112
	buffer_store_dword v32, off, s[0:3], 0 offset:116
	s_waitcnt vmcnt(25)
	v_mul_f32_e32 v75, v34, v47
	s_waitcnt vmcnt(24)
	v_fma_f32 v75, v33, v48, -v75
	v_mul_f32_e32 v33, v33, v47
	v_fmac_f32_e32 v33, v34, v48
	s_waitcnt vmcnt(23)
	v_sub_f32_e32 v48, v78, v75
	s_waitcnt vmcnt(21)
	v_mul_f32_e32 v75, v38, v80
	buffer_load_dword v34, off, s[0:3], 0 offset:92
	buffer_load_dword v47, off, s[0:3], 0 offset:88
	s_waitcnt vmcnt(22)
	v_fma_f32 v75, v37, v81, -v75
	v_mul_f32_e32 v37, v37, v80
	v_sub_f32_e32 v33, v79, v33
	v_fmac_f32_e32 v37, v38, v81
	buffer_load_dword v38, off, s[0:3], 0 offset:100
	buffer_load_dword v76, off, s[0:3], 0 offset:96
	v_sub_f32_e32 v33, v33, v37
	s_waitcnt vmcnt(23)
	v_mul_f32_e32 v37, v40, v53
	s_waitcnt vmcnt(22)
	v_fma_f32 v37, v39, v54, -v37
	v_mul_f32_e32 v39, v39, v53
	v_fmac_f32_e32 v39, v40, v54
	buffer_load_dword v40, off, s[0:3], 0 offset:108
	buffer_load_dword v53, off, s[0:3], 0 offset:104
	v_sub_f32_e32 v33, v33, v39
	s_waitcnt vmcnt(23)
	v_mul_f32_e32 v39, v42, v57
	s_waitcnt vmcnt(22)
	v_fma_f32 v39, v41, v58, -v39
	v_mul_f32_e32 v41, v41, v57
	v_sub_f32_e32 v48, v48, v75
	v_fmac_f32_e32 v41, v42, v58
	v_sub_f32_e32 v37, v48, v37
	v_sub_f32_e32 v33, v33, v41
	buffer_load_dword v41, off, s[0:3], 0 offset:4
	v_sub_f32_e32 v37, v37, v39
	s_waitcnt vmcnt(22)
	v_mul_f32_e32 v39, v44, v35
	v_mul_f32_e32 v35, v43, v35
	buffer_load_dword v42, off, s[0:3], 0
	s_waitcnt vmcnt(22)
	v_fmac_f32_e32 v35, v44, v36
	v_fma_f32 v39, v43, v36, -v39
	v_sub_f32_e32 v33, v33, v35
	s_waitcnt vmcnt(21)
	v_mul_f32_e32 v35, v46, v82
	v_sub_f32_e32 v36, v37, v39
	s_waitcnt vmcnt(20)
	v_fma_f32 v35, v45, v83, -v35
	v_sub_f32_e32 v35, v36, v35
	s_waitcnt vmcnt(19)
	v_mul_f32_e32 v36, v50, v84
	s_waitcnt vmcnt(18)
	v_fma_f32 v36, v49, v85, -v36
	v_mul_f32_e32 v37, v45, v82
	v_sub_f32_e32 v35, v35, v36
	buffer_load_dword v36, off, s[0:3], 0 offset:128
	buffer_load_dword v43, off, s[0:3], 0 offset:132
	buffer_load_dword v44, off, s[0:3], 0 offset:12
	buffer_load_dword v45, off, s[0:3], 0 offset:8
	v_fmac_f32_e32 v37, v46, v83
	buffer_load_dword v46, off, s[0:3], 0 offset:20
	buffer_load_dword v48, off, s[0:3], 0 offset:16
	v_sub_f32_e32 v33, v33, v37
	v_mul_f32_e32 v37, v49, v84
	v_fmac_f32_e32 v37, v50, v85
	buffer_load_dword v49, off, s[0:3], 0 offset:28
	buffer_load_dword v50, off, s[0:3], 0 offset:24
	v_sub_f32_e32 v33, v33, v37
	s_waitcnt vmcnt(25)
	v_mul_f32_e32 v37, v52, v65
	s_waitcnt vmcnt(24)
	v_fma_f32 v37, v51, v66, -v37
	v_mul_f32_e32 v39, v51, v65
	v_fmac_f32_e32 v39, v52, v66
	v_sub_f32_e32 v35, v35, v37
	buffer_load_dword v51, off, s[0:3], 0 offset:36
	buffer_load_dword v52, off, s[0:3], 0 offset:32
	v_sub_f32_e32 v33, v33, v39
	s_waitcnt vmcnt(25)
	v_mul_f32_e32 v37, v56, v69
	s_waitcnt vmcnt(24)
	v_fma_f32 v37, v55, v70, -v37
	v_sub_f32_e32 v35, v35, v37
	s_waitcnt vmcnt(23)
	v_mul_f32_e32 v37, v60, v77
	s_waitcnt vmcnt(22)
	v_fma_f32 v37, v59, v86, -v37
	v_sub_f32_e32 v35, v35, v37
	v_mul_f32_e32 v39, v55, v69
	v_fmac_f32_e32 v39, v56, v70
	s_waitcnt vmcnt(21)
	v_mul_f32_e32 v37, v62, v7
	s_waitcnt vmcnt(20)
	v_fma_f32 v37, v61, v8, -v37
	v_mul_f32_e32 v7, v61, v7
	v_fmac_f32_e32 v7, v62, v8
	v_sub_f32_e32 v8, v35, v37
	buffer_load_dword v35, off, s[0:3], 0 offset:44
	buffer_load_dword v54, off, s[0:3], 0 offset:40
	buffer_load_dword v55, off, s[0:3], 0 offset:52
	buffer_load_dword v56, off, s[0:3], 0 offset:48
	v_sub_f32_e32 v33, v33, v39
	v_mul_f32_e32 v39, v59, v77
	buffer_load_dword v57, off, s[0:3], 0 offset:60
	buffer_load_dword v59, off, s[0:3], 0 offset:56
	v_fmac_f32_e32 v39, v60, v86
	buffer_load_dword v60, off, s[0:3], 0 offset:68
	buffer_load_dword v61, off, s[0:3], 0 offset:64
	v_sub_f32_e32 v33, v33, v39
	v_sub_f32_e32 v7, v33, v7
	s_waitcnt vmcnt(25)
	v_mul_f32_e32 v33, v64, v34
	v_mul_f32_e32 v34, v63, v34
	s_waitcnt vmcnt(24)
	v_fmac_f32_e32 v34, v64, v47
	v_fma_f32 v33, v63, v47, -v33
	v_sub_f32_e32 v7, v7, v34
	s_waitcnt vmcnt(23)
	v_mul_f32_e32 v34, v67, v38
	v_sub_f32_e32 v8, v8, v33
	v_mul_f32_e32 v33, v68, v38
	s_waitcnt vmcnt(22)
	v_fmac_f32_e32 v34, v68, v76
	v_fma_f32 v33, v67, v76, -v33
	v_sub_f32_e32 v7, v7, v34
	s_waitcnt vmcnt(21)
	v_mul_f32_e32 v34, v71, v40
	v_sub_f32_e32 v8, v8, v33
	v_mul_f32_e32 v33, v72, v40
	s_waitcnt vmcnt(20)
	v_fmac_f32_e32 v34, v72, v53
	v_fma_f32 v33, v71, v53, -v33
	v_sub_f32_e32 v7, v7, v34
	v_mul_f32_e32 v34, v73, v32
	ds_read_b128 v[37:40], v228 offset:8048
	v_sub_f32_e32 v8, v8, v33
	v_mul_f32_e32 v33, v74, v32
	v_fmac_f32_e32 v34, v74, v31
	v_fma_f32 v33, v73, v31, -v33
	v_sub_f32_e32 v7, v7, v34
	v_sub_f32_e32 v8, v8, v33
	v_mul_f32_e32 v33, v6, v7
	v_fma_f32 v33, v5, v8, -v33
	v_mul_f32_e32 v34, v5, v7
	v_fmac_f32_e32 v34, v6, v8
	buffer_store_dword v33, off, s[0:3], 0 offset:120
	buffer_store_dword v34, off, s[0:3], 0 offset:124
	s_waitcnt vmcnt(21) lgkmcnt(0)
	v_mul_f32_e32 v5, v40, v41
	s_waitcnt vmcnt(20)
	v_fma_f32 v47, v39, v42, -v5
	ds_read_b128 v[5:8], v228 offset:7792
	v_mul_f32_e32 v39, v39, v41
	v_fmac_f32_e32 v39, v40, v42
	buffer_load_dword v65, off, s[0:3], 0 offset:76
	buffer_load_dword v66, off, s[0:3], 0 offset:72
	s_waitcnt vmcnt(20)
	v_sub_f32_e32 v43, v43, v39
	s_waitcnt vmcnt(19) lgkmcnt(0)
	v_mul_f32_e32 v39, v8, v44
	v_sub_f32_e32 v36, v36, v47
	s_waitcnt vmcnt(18)
	v_fma_f32 v47, v7, v45, -v39
	ds_read_b128 v[39:42], v228 offset:7536
	v_mul_f32_e32 v7, v7, v44
	v_fmac_f32_e32 v7, v8, v45
	v_sub_f32_e32 v8, v36, v47
	buffer_load_dword v69, off, s[0:3], 0 offset:84
	buffer_load_dword v70, off, s[0:3], 0 offset:80
	s_waitcnt vmcnt(19) lgkmcnt(0)
	v_mul_f32_e32 v36, v42, v46
	v_sub_f32_e32 v7, v43, v7
	s_waitcnt vmcnt(18)
	v_fma_f32 v36, v41, v48, -v36
	v_mul_f32_e32 v41, v41, v46
	ds_read_b128 v[43:46], v228 offset:7280
	buffer_load_dword v71, off, s[0:3], 0 offset:92
	v_fmac_f32_e32 v41, v42, v48
	buffer_load_dword v42, off, s[0:3], 0 offset:88
	v_sub_f32_e32 v8, v8, v36
	v_sub_f32_e32 v7, v7, v41
	s_waitcnt vmcnt(19) lgkmcnt(0)
	v_mul_f32_e32 v36, v46, v49
	v_mul_f32_e32 v41, v45, v49
	s_waitcnt vmcnt(18)
	v_fma_f32 v36, v45, v50, -v36
	v_fmac_f32_e32 v41, v46, v50
	ds_read_b128 v[45:48], v228 offset:7024
	buffer_load_dword v72, off, s[0:3], 0 offset:100
	buffer_load_dword v73, off, s[0:3], 0 offset:96
	v_sub_f32_e32 v8, v8, v36
	v_sub_f32_e32 v7, v7, v41
	s_waitcnt vmcnt(19) lgkmcnt(0)
	v_mul_f32_e32 v36, v48, v51
	v_mul_f32_e32 v41, v47, v51
	s_waitcnt vmcnt(18)
	v_fma_f32 v36, v47, v52, -v36
	v_fmac_f32_e32 v41, v48, v52
	ds_read_b128 v[47:50], v228 offset:6768
	buffer_load_dword v74, off, s[0:3], 0 offset:108
	buffer_load_dword v75, off, s[0:3], 0 offset:104
	v_sub_f32_e32 v8, v8, v36
	v_sub_f32_e32 v7, v7, v41
	s_waitcnt vmcnt(19) lgkmcnt(0)
	v_mul_f32_e32 v36, v50, v35
	v_mul_f32_e32 v35, v49, v35
	s_waitcnt vmcnt(18)
	v_fma_f32 v36, v49, v54, -v36
	v_fmac_f32_e32 v35, v50, v54
	ds_read_b128 v[49:52], v228 offset:6512
	v_sub_f32_e32 v8, v8, v36
	v_sub_f32_e32 v7, v7, v35
	buffer_load_dword v35, off, s[0:3], 0 offset:116
	buffer_load_dword v36, off, s[0:3], 0 offset:112
	s_waitcnt vmcnt(19) lgkmcnt(0)
	v_mul_f32_e32 v41, v52, v55
	v_mul_f32_e32 v55, v51, v55
	s_waitcnt vmcnt(18)
	v_fma_f32 v41, v51, v56, -v41
	v_fmac_f32_e32 v55, v52, v56
	ds_read_b128 v[51:54], v228 offset:6256
	v_sub_f32_e32 v8, v8, v41
	buffer_load_dword v41, off, s[0:3], 0 offset:124
	buffer_load_dword v77, off, s[0:3], 0 offset:120
	v_sub_f32_e32 v7, v7, v55
	buffer_store_dword v7, off, s[0:3], 0 offset:132
	s_waitcnt vmcnt(20) lgkmcnt(0)
	v_mul_f32_e32 v55, v54, v57
	s_waitcnt vmcnt(19)
	v_fma_f32 v62, v53, v59, -v55
	v_mul_f32_e32 v53, v53, v57
	ds_read_b128 v[55:58], v228 offset:6000
	v_fmac_f32_e32 v53, v54, v59
	v_sub_f32_e32 v8, v8, v62
	v_sub_f32_e32 v7, v7, v53
	buffer_store_dword v8, off, s[0:3], 0 offset:128
	s_waitcnt vmcnt(19) lgkmcnt(0)
	v_mul_f32_e32 v53, v58, v60
	s_waitcnt vmcnt(18)
	v_fma_f32 v53, v57, v61, -v53
	v_mul_f32_e32 v54, v57, v60
	v_fmac_f32_e32 v54, v58, v61
	ds_read_b128 v[57:60], v228 offset:5744
	v_sub_f32_e32 v8, v8, v53
	buffer_load_dword v53, off, s[0:3], 0 offset:4
	buffer_load_dword v79, off, s[0:3], 0
	buffer_load_dword v80, off, s[0:3], 0 offset:136
	buffer_load_dword v81, off, s[0:3], 0 offset:140
	v_sub_f32_e32 v7, v7, v54
	ds_read_b128 v[61:64], v228 offset:5488
	buffer_load_dword v82, off, s[0:3], 0 offset:12
	buffer_load_dword v83, off, s[0:3], 0 offset:8
	s_waitcnt vmcnt(21) lgkmcnt(1)
	v_mul_f32_e32 v54, v60, v65
	s_waitcnt vmcnt(20)
	v_fma_f32 v54, v59, v66, -v54
	v_mul_f32_e32 v59, v59, v65
	v_fmac_f32_e32 v59, v60, v66
	v_sub_f32_e32 v7, v7, v59
	buffer_load_dword v59, off, s[0:3], 0 offset:20
	buffer_load_dword v60, off, s[0:3], 0 offset:16
	ds_read_b128 v[65:68], v228 offset:5232
	v_sub_f32_e32 v8, v8, v54
	s_waitcnt vmcnt(21) lgkmcnt(1)
	v_mul_f32_e32 v54, v64, v69
	s_waitcnt vmcnt(20)
	v_fma_f32 v54, v63, v70, -v54
	v_mul_f32_e32 v63, v63, v69
	v_fmac_f32_e32 v63, v64, v70
	v_sub_f32_e32 v8, v8, v54
	v_sub_f32_e32 v7, v7, v63
	buffer_load_dword v63, off, s[0:3], 0 offset:28
	buffer_load_dword v64, off, s[0:3], 0 offset:24
	s_waitcnt vmcnt(21) lgkmcnt(0)
	v_mul_f32_e32 v54, v68, v71
	v_mul_f32_e32 v71, v67, v71
	s_waitcnt vmcnt(20)
	v_fma_f32 v54, v67, v42, -v54
	v_fmac_f32_e32 v71, v68, v42
	ds_read_b128 v[67:70], v228 offset:4976
	v_sub_f32_e32 v7, v7, v71
	v_sub_f32_e32 v8, v8, v54
	buffer_load_dword v42, off, s[0:3], 0 offset:36
	buffer_load_dword v54, off, s[0:3], 0 offset:32
	s_waitcnt vmcnt(21) lgkmcnt(0)
	v_mul_f32_e32 v71, v70, v72
	v_mul_f32_e32 v78, v69, v72
	s_waitcnt vmcnt(20)
	v_fma_f32 v76, v69, v73, -v71
	v_fmac_f32_e32 v78, v70, v73
	ds_read_b128 v[69:72], v228 offset:4720
	v_sub_f32_e32 v7, v7, v78
	v_sub_f32_e32 v8, v8, v76
	buffer_load_dword v84, off, s[0:3], 0 offset:44
	buffer_load_dword v85, off, s[0:3], 0 offset:40
	;; [unrolled: 1-line block ×4, first 2 shown]
	s_waitcnt vmcnt(23) lgkmcnt(0)
	v_mul_f32_e32 v73, v72, v74
	v_mul_f32_e32 v78, v71, v74
	s_waitcnt vmcnt(22)
	v_fma_f32 v76, v71, v75, -v73
	v_fmac_f32_e32 v78, v72, v75
	ds_read_b128 v[71:74], v228 offset:4464
	buffer_load_dword v88, off, s[0:3], 0 offset:60
	buffer_load_dword v89, off, s[0:3], 0 offset:56
	v_sub_f32_e32 v8, v8, v76
	v_sub_f32_e32 v7, v7, v78
	s_waitcnt vmcnt(23) lgkmcnt(0)
	v_mul_f32_e32 v75, v74, v35
	v_mul_f32_e32 v35, v73, v35
	s_waitcnt vmcnt(22)
	v_fma_f32 v78, v73, v36, -v75
	v_fmac_f32_e32 v35, v74, v36
	ds_read_b128 v[73:76], v228 offset:4208
	buffer_load_dword v90, off, s[0:3], 0 offset:68
	buffer_load_dword v91, off, s[0:3], 0 offset:64
	v_sub_f32_e32 v7, v7, v35
	v_sub_f32_e32 v8, v8, v78
	s_waitcnt vmcnt(23) lgkmcnt(0)
	v_mul_f32_e32 v35, v76, v41
	v_mul_f32_e32 v36, v75, v41
	s_waitcnt vmcnt(22)
	v_fma_f32 v35, v75, v77, -v35
	v_fmac_f32_e32 v36, v76, v77
	ds_read_b128 v[75:78], v228 offset:3952
	v_sub_f32_e32 v7, v7, v36
	buffer_load_dword v41, off, s[0:3], 0 offset:76
	buffer_load_dword v92, off, s[0:3], 0 offset:72
	v_sub_f32_e32 v8, v8, v35
	s_waitcnt lgkmcnt(0)
	v_mul_f32_e32 v35, v78, v7
	v_fma_f32 v35, v77, v8, -v35
	v_mul_f32_e32 v36, v77, v7
	v_fmac_f32_e32 v36, v78, v8
	buffer_store_dword v35, off, s[0:3], 0 offset:128
	buffer_store_dword v36, off, s[0:3], 0 offset:132
	buffer_load_dword v7, off, s[0:3], 0 offset:84
	buffer_load_dword v8, off, s[0:3], 0 offset:80
	s_waitcnt vmcnt(25)
	v_mul_f32_e32 v77, v38, v53
	s_waitcnt vmcnt(24)
	v_fma_f32 v77, v37, v79, -v77
	v_mul_f32_e32 v37, v37, v53
	v_fmac_f32_e32 v37, v38, v79
	s_waitcnt vmcnt(23)
	v_sub_f32_e32 v38, v80, v77
	buffer_load_dword v53, off, s[0:3], 0 offset:92
	buffer_load_dword v77, off, s[0:3], 0 offset:88
	s_waitcnt vmcnt(23)
	v_mul_f32_e32 v78, v6, v82
	s_waitcnt vmcnt(22)
	v_fma_f32 v78, v5, v83, -v78
	v_mul_f32_e32 v5, v5, v82
	v_sub_f32_e32 v37, v81, v37
	v_fmac_f32_e32 v5, v6, v83
	v_sub_f32_e32 v6, v38, v78
	v_sub_f32_e32 v5, v37, v5
	buffer_load_dword v37, off, s[0:3], 0 offset:100
	buffer_load_dword v38, off, s[0:3], 0 offset:96
	s_waitcnt vmcnt(23)
	v_mul_f32_e32 v78, v40, v59
	s_waitcnt vmcnt(22)
	v_fma_f32 v78, v39, v60, -v78
	v_mul_f32_e32 v39, v39, v59
	v_fmac_f32_e32 v39, v40, v60
	v_sub_f32_e32 v5, v5, v39
	buffer_load_dword v39, off, s[0:3], 0 offset:108
	buffer_load_dword v40, off, s[0:3], 0 offset:104
	v_sub_f32_e32 v6, v6, v78
	s_waitcnt vmcnt(23)
	v_mul_f32_e32 v59, v44, v63
	s_waitcnt vmcnt(22)
	v_fma_f32 v59, v43, v64, -v59
	v_mul_f32_e32 v43, v43, v63
	v_fmac_f32_e32 v43, v44, v64
	v_sub_f32_e32 v6, v6, v59
	v_sub_f32_e32 v5, v5, v43
	buffer_load_dword v43, off, s[0:3], 0 offset:116
	buffer_load_dword v44, off, s[0:3], 0 offset:112
	s_waitcnt vmcnt(23)
	v_mul_f32_e32 v59, v46, v42
	v_mul_f32_e32 v42, v45, v42
	s_waitcnt vmcnt(22)
	v_fma_f32 v59, v45, v54, -v59
	v_fmac_f32_e32 v42, v46, v54
	buffer_load_dword v45, off, s[0:3], 0 offset:124
	v_sub_f32_e32 v5, v5, v42
	buffer_load_dword v42, off, s[0:3], 0 offset:120
	v_sub_f32_e32 v6, v6, v59
	s_waitcnt vmcnt(23)
	v_mul_f32_e32 v46, v48, v84
	s_waitcnt vmcnt(22)
	v_fma_f32 v46, v47, v85, -v46
	v_mul_f32_e32 v47, v47, v84
	v_fmac_f32_e32 v47, v48, v85
	v_sub_f32_e32 v6, v6, v46
	s_waitcnt vmcnt(21)
	v_mul_f32_e32 v46, v50, v86
	v_sub_f32_e32 v5, v5, v47
	s_waitcnt vmcnt(20)
	v_fma_f32 v46, v49, v87, -v46
	v_mul_f32_e32 v47, v49, v86
	v_fmac_f32_e32 v47, v50, v87
	v_sub_f32_e32 v6, v6, v46
	s_waitcnt vmcnt(19)
	v_mul_f32_e32 v46, v52, v88
	v_sub_f32_e32 v5, v5, v47
	s_waitcnt vmcnt(18)
	v_fma_f32 v46, v51, v89, -v46
	v_mul_f32_e32 v47, v51, v88
	v_fmac_f32_e32 v47, v52, v89
	v_sub_f32_e32 v6, v6, v46
	v_sub_f32_e32 v5, v5, v47
	s_waitcnt vmcnt(17)
	v_mul_f32_e32 v46, v56, v90
	s_waitcnt vmcnt(16)
	v_fma_f32 v46, v55, v91, -v46
	buffer_store_dword v5, off, s[0:3], 0 offset:140
	v_sub_f32_e32 v6, v6, v46
	buffer_load_dword v48, off, s[0:3], 0 offset:4
	buffer_load_dword v49, off, s[0:3], 0
	v_mul_f32_e32 v47, v55, v90
	buffer_store_dword v6, off, s[0:3], 0 offset:136
	buffer_load_dword v50, off, s[0:3], 0 offset:144
	buffer_load_dword v51, off, s[0:3], 0 offset:148
	;; [unrolled: 1-line block ×4, first 2 shown]
	v_fmac_f32_e32 v47, v56, v91
	s_waitcnt vmcnt(23)
	v_mul_f32_e32 v46, v58, v41
	buffer_load_dword v56, off, s[0:3], 0 offset:20
	s_waitcnt vmcnt(23)
	v_fma_f32 v46, v57, v92, -v46
	v_mul_f32_e32 v41, v57, v41
	buffer_load_dword v57, off, s[0:3], 0 offset:16
	v_sub_f32_e32 v5, v5, v47
	v_fmac_f32_e32 v41, v58, v92
	v_sub_f32_e32 v5, v5, v41
	s_waitcnt vmcnt(21)
	v_mul_f32_e32 v41, v62, v7
	s_waitcnt vmcnt(20)
	v_fma_f32 v41, v61, v8, -v41
	v_mul_f32_e32 v7, v61, v7
	buffer_load_dword v60, off, s[0:3], 0 offset:28
	buffer_load_dword v61, off, s[0:3], 0 offset:24
	v_fmac_f32_e32 v7, v62, v8
	v_sub_f32_e32 v5, v5, v7
	v_sub_f32_e32 v6, v6, v46
	s_waitcnt vmcnt(21)
	v_mul_f32_e32 v7, v66, v53
	s_waitcnt vmcnt(20)
	v_fma_f32 v7, v65, v77, -v7
	v_mul_f32_e32 v8, v65, v53
	buffer_load_dword v64, off, s[0:3], 0 offset:36
	buffer_load_dword v65, off, s[0:3], 0 offset:32
	v_sub_f32_e32 v6, v6, v41
	v_fmac_f32_e32 v8, v66, v77
	v_sub_f32_e32 v6, v6, v7
	v_sub_f32_e32 v5, v5, v8
	s_waitcnt vmcnt(21)
	v_mul_f32_e32 v7, v68, v37
	s_waitcnt vmcnt(20)
	v_fma_f32 v7, v67, v38, -v7
	v_mul_f32_e32 v8, v67, v37
	v_fmac_f32_e32 v8, v68, v38
	v_sub_f32_e32 v6, v6, v7
	v_sub_f32_e32 v5, v5, v8
	s_waitcnt vmcnt(19)
	v_mul_f32_e32 v7, v70, v39
	s_waitcnt vmcnt(18)
	v_fma_f32 v7, v69, v40, -v7
	v_mul_f32_e32 v8, v69, v39
	buffer_load_dword v68, off, s[0:3], 0 offset:44
	buffer_load_dword v69, off, s[0:3], 0 offset:40
	v_fmac_f32_e32 v8, v70, v40
	v_sub_f32_e32 v5, v5, v8
	v_sub_f32_e32 v6, v6, v7
	v_add_u32_e64 v39, s12, 0
	v_mul_f32_e32 v41, v75, v36
	v_fmac_f32_e32 v41, v76, v35
	s_waitcnt vmcnt(19)
	v_mul_f32_e32 v8, v71, v43
	v_mul_f32_e32 v7, v72, v43
	s_waitcnt vmcnt(18)
	v_fmac_f32_e32 v8, v72, v44
	buffer_load_dword v72, off, s[0:3], 0 offset:52
	buffer_load_dword v77, off, s[0:3], 0 offset:48
	v_fma_f32 v7, v71, v44, -v7
	v_sub_f32_e32 v5, v5, v8
	v_sub_f32_e32 v6, v6, v7
	s_waitcnt vmcnt(19)
	v_mul_f32_e32 v8, v73, v45
	v_mul_f32_e32 v7, v74, v45
	s_waitcnt vmcnt(18)
	v_fmac_f32_e32 v8, v74, v42
	v_fma_f32 v7, v73, v42, -v7
	v_sub_f32_e32 v38, v5, v8
	v_mul_f32_e32 v5, v76, v36
	buffer_load_dword v78, off, s[0:3], 0 offset:60
	buffer_load_dword v79, off, s[0:3], 0 offset:56
	v_sub_f32_e32 v37, v6, v7
	v_fma_f32 v40, v75, v35, -v5
	ds_read2_b64 v[5:8], v39 offset0:140 offset1:206
	buffer_load_dword v76, off, s[0:3], 0 offset:68
	buffer_load_dword v80, off, s[0:3], 0 offset:64
	v_sub_f32_e32 v38, v38, v41
	v_sub_f32_e32 v44, v37, v40
	ds_read_b128 v[40:43], v228 offset:8032
	s_waitcnt lgkmcnt(1)
	v_mul_f32_e32 v37, v8, v38
	v_fma_f32 v37, v7, v44, -v37
	v_mul_f32_e32 v38, v7, v38
	v_fmac_f32_e32 v38, v8, v44
	buffer_store_dword v37, off, s[0:3], 0 offset:136
	buffer_store_dword v38, off, s[0:3], 0 offset:140
	buffer_load_dword v8, off, s[0:3], 0 offset:76
	buffer_load_dword v82, off, s[0:3], 0 offset:72
	ds_read_b128 v[44:47], v228 offset:7776
	buffer_load_dword v83, off, s[0:3], 0 offset:84
	buffer_load_dword v84, off, s[0:3], 0 offset:80
	s_waitcnt vmcnt(26) lgkmcnt(1)
	v_mul_f32_e32 v7, v43, v48
	s_waitcnt vmcnt(25)
	v_fma_f32 v7, v42, v49, -v7
	v_mul_f32_e32 v42, v42, v48
	v_fmac_f32_e32 v42, v43, v49
	s_waitcnt vmcnt(21) lgkmcnt(0)
	v_mul_f32_e32 v43, v47, v52
	v_sub_f32_e32 v7, v50, v7
	v_sub_f32_e32 v42, v51, v42
	s_waitcnt vmcnt(20)
	v_fma_f32 v43, v46, v54, -v43
	ds_read_b128 v[48:51], v228 offset:7520
	v_mul_f32_e32 v46, v46, v52
	v_fmac_f32_e32 v46, v47, v54
	v_sub_f32_e32 v42, v42, v46
	buffer_load_dword v46, off, s[0:3], 0 offset:92
	buffer_load_dword v47, off, s[0:3], 0 offset:88
	ds_read_b128 v[52:55], v228 offset:7264
	v_sub_f32_e32 v7, v7, v43
	s_waitcnt vmcnt(21) lgkmcnt(1)
	v_mul_f32_e32 v43, v51, v56
	s_waitcnt vmcnt(20)
	v_fma_f32 v43, v50, v57, -v43
	v_mul_f32_e32 v50, v50, v56
	v_fmac_f32_e32 v50, v51, v57
	ds_read_b128 v[56:59], v228 offset:7008
	v_sub_f32_e32 v7, v7, v43
	v_sub_f32_e32 v42, v42, v50
	s_waitcnt vmcnt(19) lgkmcnt(1)
	v_mul_f32_e32 v43, v55, v60
	buffer_load_dword v50, off, s[0:3], 0 offset:100
	buffer_load_dword v51, off, s[0:3], 0 offset:96
	s_waitcnt vmcnt(20)
	v_fma_f32 v43, v54, v61, -v43
	v_mul_f32_e32 v54, v54, v60
	v_fmac_f32_e32 v54, v55, v61
	v_sub_f32_e32 v42, v42, v54
	ds_read_b128 v[60:63], v228 offset:6752
	buffer_load_dword v54, off, s[0:3], 0 offset:108
	buffer_load_dword v55, off, s[0:3], 0 offset:104
	v_sub_f32_e32 v7, v7, v43
	s_waitcnt vmcnt(21) lgkmcnt(1)
	v_mul_f32_e32 v43, v59, v64
	s_waitcnt vmcnt(20)
	v_fma_f32 v43, v58, v65, -v43
	v_mul_f32_e32 v58, v58, v64
	v_fmac_f32_e32 v58, v59, v65
	v_sub_f32_e32 v42, v42, v58
	ds_read_b128 v[64:67], v228 offset:6496
	buffer_load_dword v58, off, s[0:3], 0 offset:116
	buffer_load_dword v59, off, s[0:3], 0 offset:112
	v_sub_f32_e32 v7, v7, v43
	s_waitcnt vmcnt(21) lgkmcnt(1)
	v_mul_f32_e32 v43, v63, v68
	s_waitcnt vmcnt(20)
	v_fma_f32 v43, v62, v69, -v43
	v_mul_f32_e32 v62, v62, v68
	v_fmac_f32_e32 v62, v63, v69
	ds_read_b128 v[68:71], v228 offset:6240
	v_sub_f32_e32 v7, v7, v43
	v_sub_f32_e32 v42, v42, v62
	buffer_load_dword v62, off, s[0:3], 0 offset:124
	buffer_load_dword v63, off, s[0:3], 0 offset:120
	s_waitcnt vmcnt(21) lgkmcnt(1)
	v_mul_f32_e32 v43, v67, v72
	s_waitcnt vmcnt(20)
	v_fma_f32 v43, v66, v77, -v43
	v_mul_f32_e32 v66, v66, v72
	ds_read_b128 v[72:75], v228 offset:5984
	v_fmac_f32_e32 v66, v67, v77
	v_sub_f32_e32 v7, v7, v43
	v_sub_f32_e32 v42, v42, v66
	buffer_load_dword v66, off, s[0:3], 0 offset:132
	buffer_load_dword v67, off, s[0:3], 0 offset:128
	s_waitcnt vmcnt(21) lgkmcnt(1)
	v_mul_f32_e32 v43, v71, v78
	s_waitcnt vmcnt(20)
	v_fma_f32 v43, v70, v79, -v43
	v_mul_f32_e32 v70, v70, v78
	v_fmac_f32_e32 v70, v71, v79
	v_sub_f32_e32 v7, v7, v43
	v_sub_f32_e32 v42, v42, v70
	s_waitcnt vmcnt(19) lgkmcnt(0)
	v_mul_f32_e32 v43, v75, v76
	v_mul_f32_e32 v70, v74, v76
	s_waitcnt vmcnt(18)
	v_fma_f32 v43, v74, v80, -v43
	v_fmac_f32_e32 v70, v75, v80
	ds_read_b128 v[74:77], v228 offset:5728
	buffer_load_dword v71, off, s[0:3], 0 offset:140
	buffer_load_dword v106, off, s[0:3], 0 offset:136
	ds_read_b128 v[78:81], v228 offset:5472
	v_sub_f32_e32 v7, v7, v43
	v_sub_f32_e32 v42, v42, v70
	s_waitcnt vmcnt(17) lgkmcnt(1)
	v_mul_f32_e32 v43, v77, v8
	v_mul_f32_e32 v8, v76, v8
	s_waitcnt vmcnt(16)
	v_fma_f32 v43, v76, v82, -v43
	v_fmac_f32_e32 v8, v77, v82
	buffer_store_dword v42, off, s[0:3], 0 offset:148
	v_sub_f32_e32 v7, v7, v43
	v_sub_f32_e32 v8, v42, v8
	s_waitcnt vmcnt(16) lgkmcnt(0)
	v_mul_f32_e32 v42, v81, v83
	v_mul_f32_e32 v43, v80, v83
	s_waitcnt vmcnt(15)
	v_fma_f32 v42, v80, v84, -v42
	v_fmac_f32_e32 v43, v81, v84
	ds_read_b128 v[80:83], v228 offset:5216
	buffer_store_dword v7, off, s[0:3], 0 offset:144
	v_sub_f32_e32 v7, v7, v42
	buffer_load_dword v42, off, s[0:3], 0 offset:4
	buffer_load_dword v70, off, s[0:3], 0
	v_sub_f32_e32 v8, v8, v43
	s_waitcnt vmcnt(17) lgkmcnt(0)
	v_mul_f32_e32 v43, v83, v46
	s_waitcnt vmcnt(16)
	v_fma_f32 v43, v82, v47, -v43
	v_mul_f32_e32 v46, v82, v46
	buffer_load_dword v76, off, s[0:3], 0 offset:152
	buffer_load_dword v77, off, s[0:3], 0 offset:156
	buffer_load_dword v82, off, s[0:3], 0 offset:12
	ds_read_b128 v[84:87], v228 offset:4960
	ds_read_b128 v[88:91], v228 offset:4704
	v_fmac_f32_e32 v46, v83, v47
	buffer_load_dword v47, off, s[0:3], 0 offset:8
	v_sub_f32_e32 v7, v7, v43
	v_sub_f32_e32 v8, v8, v46
	s_waitcnt vmcnt(19) lgkmcnt(1)
	v_mul_f32_e32 v43, v87, v50
	v_mul_f32_e32 v46, v86, v50
	buffer_load_dword v50, off, s[0:3], 0 offset:20
	buffer_load_dword v83, off, s[0:3], 0 offset:16
	s_waitcnt vmcnt(20)
	v_fma_f32 v43, v86, v51, -v43
	v_fmac_f32_e32 v46, v87, v51
	buffer_load_dword v51, off, s[0:3], 0 offset:28
	ds_read_b128 v[92:95], v228 offset:4448
	ds_read_b128 v[96:99], v228 offset:4192
	v_sub_f32_e32 v7, v7, v43
	v_sub_f32_e32 v8, v8, v46
	s_waitcnt vmcnt(20) lgkmcnt(2)
	v_mul_f32_e32 v43, v91, v54
	v_mul_f32_e32 v46, v90, v54
	buffer_load_dword v54, off, s[0:3], 0 offset:24
	s_waitcnt vmcnt(20)
	v_fma_f32 v43, v90, v55, -v43
	v_fmac_f32_e32 v46, v91, v55
	v_sub_f32_e32 v7, v7, v43
	v_sub_f32_e32 v8, v8, v46
	s_waitcnt vmcnt(19) lgkmcnt(1)
	v_mul_f32_e32 v43, v95, v58
	v_mul_f32_e32 v46, v94, v58
	buffer_load_dword v55, off, s[0:3], 0 offset:36
	buffer_load_dword v58, off, s[0:3], 0 offset:32
	ds_read_b128 v[100:103], v228 offset:3936
	s_waitcnt vmcnt(20)
	v_fma_f32 v43, v94, v59, -v43
	v_fmac_f32_e32 v46, v95, v59
	v_sub_f32_e32 v7, v7, v43
	s_waitcnt vmcnt(19) lgkmcnt(1)
	v_mul_f32_e32 v43, v99, v62
	v_sub_f32_e32 v8, v8, v46
	s_waitcnt vmcnt(18)
	v_fma_f32 v43, v98, v63, -v43
	v_mul_f32_e32 v46, v98, v62
	v_fmac_f32_e32 v46, v99, v63
	v_sub_f32_e32 v7, v7, v43
	buffer_load_dword v59, off, s[0:3], 0 offset:44
	buffer_load_dword v62, off, s[0:3], 0 offset:40
	v_sub_f32_e32 v8, v8, v46
	s_waitcnt vmcnt(19) lgkmcnt(0)
	v_mul_f32_e32 v43, v103, v66
	v_mul_f32_e32 v66, v102, v66
	s_waitcnt vmcnt(18)
	v_fma_f32 v43, v102, v67, -v43
	buffer_load_dword v46, off, s[0:3], 0 offset:52
	buffer_load_dword v63, off, s[0:3], 0 offset:48
	v_fmac_f32_e32 v66, v103, v67
	ds_read_b128 v[102:105], v228 offset:3680
	v_sub_f32_e32 v8, v8, v66
	v_sub_f32_e32 v7, v7, v43
	buffer_load_dword v43, off, s[0:3], 0 offset:60
	buffer_load_dword v67, off, s[0:3], 0 offset:56
	;; [unrolled: 1-line block ×4, first 2 shown]
	s_waitcnt vmcnt(23) lgkmcnt(0)
	v_mul_f32_e32 v66, v105, v71
	v_mul_f32_e32 v71, v104, v71
	s_waitcnt vmcnt(22)
	v_fma_f32 v66, v104, v106, -v66
	v_fmac_f32_e32 v71, v105, v106
	ds_read_b128 v[104:107], v228 offset:3424
	v_sub_f32_e32 v8, v8, v71
	v_sub_f32_e32 v66, v7, v66
	buffer_load_dword v71, off, s[0:3], 0 offset:76
	buffer_load_dword v90, off, s[0:3], 0 offset:72
	s_waitcnt lgkmcnt(0)
	v_mul_f32_e32 v7, v107, v8
	v_fma_f32 v7, v106, v66, -v7
	v_mul_f32_e32 v8, v106, v8
	buffer_store_dword v7, off, s[0:3], 0 offset:144
	v_fmac_f32_e32 v8, v107, v66
	buffer_load_dword v66, off, s[0:3], 0 offset:84
	buffer_load_dword v91, off, s[0:3], 0 offset:80
	s_waitcnt vmcnt(24)
	v_mul_f32_e32 v94, v41, v42
	buffer_store_dword v8, off, s[0:3], 0 offset:148
	s_waitcnt vmcnt(24)
	v_fma_f32 v94, v40, v70, -v94
	v_mul_f32_e32 v40, v40, v42
	buffer_load_dword v42, off, s[0:3], 0 offset:92
	buffer_load_dword v95, off, s[0:3], 0 offset:88
	v_fmac_f32_e32 v40, v41, v70
	s_waitcnt vmcnt(25)
	v_sub_f32_e32 v41, v76, v94
	s_waitcnt vmcnt(24)
	v_sub_f32_e32 v40, v77, v40
	s_waitcnt vmcnt(23)
	v_mul_f32_e32 v70, v45, v82
	buffer_load_dword v76, off, s[0:3], 0 offset:100
	buffer_load_dword v77, off, s[0:3], 0 offset:96
	s_waitcnt vmcnt(24)
	v_fma_f32 v70, v44, v47, -v70
	v_mul_f32_e32 v44, v44, v82
	v_fmac_f32_e32 v44, v45, v47
	buffer_load_dword v45, off, s[0:3], 0 offset:108
	buffer_load_dword v47, off, s[0:3], 0 offset:104
	v_sub_f32_e32 v40, v40, v44
	s_waitcnt vmcnt(25)
	v_mul_f32_e32 v44, v49, v50
	v_sub_f32_e32 v41, v41, v70
	s_waitcnt vmcnt(24)
	v_fma_f32 v44, v48, v83, -v44
	v_mul_f32_e32 v48, v48, v50
	buffer_load_dword v50, off, s[0:3], 0 offset:116
	buffer_load_dword v70, off, s[0:3], 0 offset:112
	v_fmac_f32_e32 v48, v49, v83
	v_sub_f32_e32 v41, v41, v44
	v_sub_f32_e32 v40, v40, v48
	s_waitcnt vmcnt(25)
	v_mul_f32_e32 v44, v53, v51
	buffer_load_dword v48, off, s[0:3], 0 offset:124
	buffer_load_dword v49, off, s[0:3], 0 offset:120
	v_mul_f32_e32 v51, v52, v51
	s_waitcnt vmcnt(26)
	v_fma_f32 v44, v52, v54, -v44
	v_sub_f32_e32 v41, v41, v44
	buffer_load_dword v44, off, s[0:3], 0 offset:132
	buffer_load_dword v52, off, s[0:3], 0 offset:128
	v_fmac_f32_e32 v51, v53, v54
	v_sub_f32_e32 v40, v40, v51
	s_waitcnt vmcnt(27)
	v_mul_f32_e32 v51, v57, v55
	v_mul_f32_e32 v53, v56, v55
	buffer_load_dword v54, off, s[0:3], 0 offset:140
	buffer_load_dword v55, off, s[0:3], 0 offset:136
	s_waitcnt vmcnt(28)
	v_fmac_f32_e32 v53, v57, v58
	v_fma_f32 v51, v56, v58, -v51
	v_sub_f32_e32 v40, v40, v53
	buffer_load_dword v53, off, s[0:3], 0 offset:148
	buffer_load_dword v56, off, s[0:3], 0 offset:144
	v_sub_f32_e32 v41, v41, v51
	s_waitcnt vmcnt(29)
	v_mul_f32_e32 v51, v61, v59
	s_waitcnt vmcnt(28)
	v_fma_f32 v51, v60, v62, -v51
	v_mul_f32_e32 v57, v60, v59
	v_fmac_f32_e32 v57, v61, v62
	v_sub_f32_e32 v41, v41, v51
	s_waitcnt vmcnt(27)
	v_mul_f32_e32 v51, v65, v46
	v_mul_f32_e32 v46, v64, v46
	v_sub_f32_e32 v40, v40, v57
	s_waitcnt vmcnt(26)
	v_fmac_f32_e32 v46, v65, v63
	v_sub_f32_e32 v40, v40, v46
	s_waitcnt vmcnt(25)
	v_mul_f32_e32 v46, v69, v43
	v_mul_f32_e32 v43, v68, v43
	v_fma_f32 v51, v64, v63, -v51
	s_waitcnt vmcnt(24)
	v_fmac_f32_e32 v43, v69, v67
	v_sub_f32_e32 v41, v41, v51
	v_fma_f32 v46, v68, v67, -v46
	v_sub_f32_e32 v40, v40, v43
	s_waitcnt vmcnt(23)
	v_mul_f32_e32 v43, v73, v86
	v_sub_f32_e32 v41, v41, v46
	s_waitcnt vmcnt(22)
	v_fma_f32 v43, v72, v87, -v43
	v_mul_f32_e32 v46, v72, v86
	v_sub_f32_e32 v41, v41, v43
	v_fmac_f32_e32 v46, v73, v87
	s_waitcnt vmcnt(21)
	v_mul_f32_e32 v43, v75, v71
	s_waitcnt vmcnt(20)
	v_fma_f32 v43, v74, v90, -v43
	v_sub_f32_e32 v40, v40, v46
	v_mul_f32_e32 v46, v74, v71
	v_sub_f32_e32 v41, v41, v43
	v_fmac_f32_e32 v46, v75, v90
	v_sub_f32_e32 v40, v40, v46
	s_waitcnt vmcnt(18)
	v_mul_f32_e32 v43, v79, v66
	s_waitcnt vmcnt(17)
	v_fma_f32 v43, v78, v91, -v43
	v_mul_f32_e32 v46, v78, v66
	v_sub_f32_e32 v41, v41, v43
	v_fmac_f32_e32 v46, v79, v91
	buffer_store_dword v40, off, s[0:3], 0 offset:156
	v_sub_f32_e32 v40, v40, v46
	s_waitcnt vmcnt(16)
	v_mul_f32_e32 v43, v81, v42
	s_waitcnt vmcnt(15)
	v_fma_f32 v43, v80, v95, -v43
	v_mul_f32_e32 v42, v80, v42
	v_fmac_f32_e32 v42, v81, v95
	v_sub_f32_e32 v41, v41, v43
	s_waitcnt vmcnt(14)
	v_mul_f32_e32 v43, v84, v76
	v_sub_f32_e32 v40, v40, v42
	v_mul_f32_e32 v42, v85, v76
	s_waitcnt vmcnt(13)
	v_fmac_f32_e32 v43, v85, v77
	v_fma_f32 v42, v84, v77, -v42
	v_sub_f32_e32 v40, v40, v43
	s_waitcnt vmcnt(12)
	v_mul_f32_e32 v43, v88, v45
	v_sub_f32_e32 v41, v41, v42
	v_mul_f32_e32 v42, v89, v45
	s_waitcnt vmcnt(11)
	v_fmac_f32_e32 v43, v89, v47
	v_fma_f32 v42, v88, v47, -v42
	;; [unrolled: 8-line block ×7, first 2 shown]
	v_sub_f32_e32 v46, v40, v43
	v_sub_f32_e32 v45, v41, v42
	v_mul_f32_e32 v40, v5, v46
	v_fmac_f32_e32 v40, v6, v45
	buffer_store_dword v40, off, s[0:3], 0 offset:156
	buffer_load_dword v44, off, s[0:3], 0 offset:156
	buffer_load_dword v47, off, s[0:3], 0 offset:4
	buffer_load_dword v48, off, s[0:3], 0
	s_nop 0
	buffer_store_dword v4, off, s[0:3], 0 offset:164
	buffer_store_dword v3, off, s[0:3], 0 offset:160
	buffer_load_dword v49, off, s[0:3], 0 offset:160
	buffer_load_dword v50, off, s[0:3], 0 offset:164
	;; [unrolled: 1-line block ×6, first 2 shown]
	ds_read2_b64 v[40:43], v229 offset1:32
	buffer_load_dword v55, off, s[0:3], 0 offset:28
	buffer_load_dword v56, off, s[0:3], 0 offset:24
	v_mul_f32_e32 v6, v6, v46
	buffer_store_dword v1, off, s[0:3], 0 offset:168
	buffer_store_dword v2, off, s[0:3], 0 offset:172
	s_waitcnt lgkmcnt(0)
	buffer_store_dword v42, off, s[0:3], 0 offset:176
	buffer_store_dword v43, off, s[0:3], 0 offset:180
	ds_read2_b64 v[1:4], v227 offset0:192 offset1:224
	buffer_store_dword v40, off, s[0:3], 0 offset:184
	buffer_load_dword v57, off, s[0:3], 0 offset:36
	buffer_load_dword v58, off, s[0:3], 0 offset:32
	s_nop 0
	buffer_store_dword v41, off, s[0:3], 0 offset:188
	s_waitcnt lgkmcnt(0)
	buffer_store_dword v3, off, s[0:3], 0 offset:192
	buffer_store_dword v4, off, s[0:3], 0 offset:196
	;; [unrolled: 1-line block ×3, first 2 shown]
	ds_read2_b64 v[40:43], v227 offset0:128 offset1:160
	buffer_store_dword v1, off, s[0:3], 0 offset:200
	ds_read2_b64 v[1:4], v227 offset0:64 offset1:96
	buffer_load_dword v59, off, s[0:3], 0 offset:44
	buffer_load_dword v60, off, s[0:3], 0 offset:40
	s_waitcnt lgkmcnt(1)
	buffer_store_dword v43, off, s[0:3], 0 offset:212
	buffer_store_dword v42, off, s[0:3], 0 offset:208
	;; [unrolled: 1-line block ×4, first 2 shown]
	s_waitcnt lgkmcnt(0)
	buffer_store_dword v3, off, s[0:3], 0 offset:224
	buffer_store_dword v4, off, s[0:3], 0 offset:228
	ds_read2_b64 v[40:43], v227 offset1:32
	buffer_load_dword v61, off, s[0:3], 0 offset:52
	buffer_load_dword v62, off, s[0:3], 0 offset:48
	s_nop 0
	buffer_store_dword v1, off, s[0:3], 0 offset:232
	buffer_store_dword v2, off, s[0:3], 0 offset:236
	s_waitcnt lgkmcnt(0)
	buffer_store_dword v42, off, s[0:3], 0 offset:240
	buffer_store_dword v43, off, s[0:3], 0 offset:244
	;; [unrolled: 1-line block ×4, first 2 shown]
	ds_write2_b64 v230, v[223:224], v[221:222] offset0:192 offset1:224
	buffer_load_dword v40, off, s[0:3], 0 offset:60
	buffer_load_dword v41, off, s[0:3], 0 offset:56
	ds_write2_b64 v230, v[25:26], v[225:226] offset0:128 offset1:160
	ds_write2_b64 v230, v[9:10], v[11:12] offset0:64 offset1:96
	ds_write2_b64 v230, v[13:14], v[15:16] offset1:32
	ds_write2_b64 v231, v[19:20], v[17:18] offset0:192 offset1:224
	ds_write2_b64 v231, v[23:24], v[21:22] offset0:128 offset1:160
	;; [unrolled: 1-line block ×3, first 2 shown]
	ds_write2_b64 v231, v[33:34], v[31:32] offset1:32
	buffer_load_dword v42, off, s[0:3], 0 offset:68
	buffer_load_dword v63, off, s[0:3], 0 offset:64
	v_fma_f32 v43, v5, v45, -v6
	ds_write2_b64 v229, v[37:38], v[35:36] offset0:192 offset1:224
	buffer_store_dword v43, off, s[0:3], 0 offset:152
	ds_read_b128 v[1:4], v228 offset:8016
	s_waitcnt vmcnt(45)
	ds_write2_b64 v229, v[43:44], v[7:8] offset0:128 offset1:160
	buffer_load_dword v37, off, s[0:3], 0 offset:76
	buffer_load_dword v38, off, s[0:3], 0 offset:72
	s_waitcnt vmcnt(46) lgkmcnt(1)
	v_mul_f32_e32 v5, v4, v47
	s_waitcnt vmcnt(45)
	v_fma_f32 v9, v3, v48, -v5
	ds_read_b128 v[5:8], v228 offset:7760
	v_mul_f32_e32 v3, v3, v47
	v_fmac_f32_e32 v3, v4, v48
	s_waitcnt vmcnt(42)
	v_sub_f32_e32 v4, v49, v9
	buffer_load_dword v43, off, s[0:3], 0 offset:84
	buffer_load_dword v44, off, s[0:3], 0 offset:80
	s_waitcnt vmcnt(42) lgkmcnt(0)
	v_mul_f32_e32 v9, v8, v51
	s_waitcnt vmcnt(41)
	v_fma_f32 v13, v7, v52, -v9
	ds_read_b128 v[9:12], v228 offset:7504
	v_mul_f32_e32 v7, v7, v51
	v_fmac_f32_e32 v7, v8, v52
	v_sub_f32_e32 v4, v4, v13
	buffer_load_dword v8, off, s[0:3], 0 offset:92
	buffer_load_dword v48, off, s[0:3], 0 offset:88
	ds_read_b128 v[13:16], v228 offset:7248
	v_sub_f32_e32 v3, v50, v3
	v_sub_f32_e32 v3, v3, v7
	s_waitcnt vmcnt(42) lgkmcnt(1)
	v_mul_f32_e32 v7, v12, v53
	s_waitcnt vmcnt(41)
	v_fma_f32 v7, v11, v54, -v7
	v_mul_f32_e32 v11, v11, v53
	v_fmac_f32_e32 v11, v12, v54
	v_sub_f32_e32 v4, v4, v7
	v_sub_f32_e32 v3, v3, v11
	s_waitcnt vmcnt(40) lgkmcnt(0)
	v_mul_f32_e32 v7, v16, v55
	buffer_load_dword v11, off, s[0:3], 0 offset:100
	buffer_load_dword v12, off, s[0:3], 0 offset:96
	ds_read_b128 v[17:20], v228 offset:6992
	s_waitcnt vmcnt(41)
	v_fma_f32 v7, v15, v56, -v7
	v_mul_f32_e32 v15, v15, v55
	v_fmac_f32_e32 v15, v16, v56
	ds_read_b128 v[21:24], v228 offset:6736
	ds_read_b128 v[25:28], v228 offset:6480
	v_sub_f32_e32 v3, v3, v15
	buffer_load_dword v15, off, s[0:3], 0 offset:108
	buffer_load_dword v16, off, s[0:3], 0 offset:104
	v_sub_f32_e32 v4, v4, v7
	s_waitcnt vmcnt(37) lgkmcnt(2)
	v_mul_f32_e32 v7, v20, v57
	s_waitcnt vmcnt(36)
	v_fma_f32 v7, v19, v58, -v7
	v_mul_f32_e32 v19, v19, v57
	v_fmac_f32_e32 v19, v20, v58
	v_sub_f32_e32 v4, v4, v7
	s_waitcnt vmcnt(30) lgkmcnt(1)
	v_mul_f32_e32 v7, v24, v59
	v_sub_f32_e32 v3, v3, v19
	s_waitcnt vmcnt(29)
	v_fma_f32 v7, v23, v60, -v7
	buffer_load_dword v19, off, s[0:3], 0 offset:116
	buffer_load_dword v20, off, s[0:3], 0 offset:112
	v_mul_f32_e32 v23, v23, v59
	v_fmac_f32_e32 v23, v24, v60
	v_sub_f32_e32 v4, v4, v7
	s_waitcnt vmcnt(24) lgkmcnt(0)
	v_mul_f32_e32 v7, v28, v61
	buffer_load_dword v24, off, s[0:3], 0 offset:124
	v_sub_f32_e32 v3, v3, v23
	s_waitcnt vmcnt(24)
	v_fma_f32 v7, v27, v62, -v7
	v_mul_f32_e32 v23, v27, v61
	ds_read_b128 v[29:32], v228 offset:6224
	buffer_load_dword v27, off, s[0:3], 0 offset:120
	v_fmac_f32_e32 v23, v28, v62
	v_sub_f32_e32 v4, v4, v7
	v_sub_f32_e32 v3, v3, v23
	s_waitcnt vmcnt(18) lgkmcnt(0)
	v_mul_f32_e32 v7, v32, v40
	v_mul_f32_e32 v23, v31, v40
	s_waitcnt vmcnt(17)
	v_fma_f32 v7, v31, v41, -v7
	v_fmac_f32_e32 v23, v32, v41
	ds_read_b128 v[31:34], v228 offset:5968
	buffer_load_dword v28, off, s[0:3], 0 offset:132
	buffer_load_dword v62, off, s[0:3], 0 offset:128
	v_sub_f32_e32 v4, v4, v7
	v_sub_f32_e32 v3, v3, v23
	s_waitcnt vmcnt(18) lgkmcnt(0)
	v_mul_f32_e32 v7, v34, v42
	v_mul_f32_e32 v23, v33, v42
	s_waitcnt vmcnt(17)
	v_fma_f32 v7, v33, v63, -v7
	v_fmac_f32_e32 v23, v34, v63
	ds_read_b128 v[33:36], v228 offset:5712
	buffer_load_dword v64, off, s[0:3], 0 offset:140
	buffer_load_dword v65, off, s[0:3], 0 offset:136
	;; [unrolled: 11-line block ×4, first 2 shown]
	ds_read_b128 v[44:47], v228 offset:4944
	v_sub_f32_e32 v4, v4, v7
	v_sub_f32_e32 v3, v3, v23
	s_waitcnt vmcnt(17) lgkmcnt(1)
	v_mul_f32_e32 v7, v43, v8
	v_mul_f32_e32 v8, v42, v8
	s_waitcnt vmcnt(16)
	v_fma_f32 v7, v42, v48, -v7
	v_fmac_f32_e32 v8, v43, v48
	ds_read_b128 v[48:51], v228 offset:4688
	buffer_store_dword v3, off, s[0:3], 0 offset:164
	v_sub_f32_e32 v4, v4, v7
	v_sub_f32_e32 v3, v3, v8
	s_waitcnt vmcnt(16) lgkmcnt(1)
	v_mul_f32_e32 v8, v46, v11
	buffer_store_dword v4, off, s[0:3], 0 offset:160
	v_mul_f32_e32 v7, v47, v11
	s_waitcnt vmcnt(16)
	v_fmac_f32_e32 v8, v47, v12
	v_fma_f32 v7, v46, v12, -v7
	buffer_load_dword v23, off, s[0:3], 0 offset:4
	buffer_load_dword v42, off, s[0:3], 0
	v_sub_f32_e32 v3, v3, v8
	buffer_load_dword v8, off, s[0:3], 0 offset:168
	buffer_load_dword v43, off, s[0:3], 0 offset:172
	ds_read_b128 v[52:55], v228 offset:4432
	v_sub_f32_e32 v4, v4, v7
	s_waitcnt vmcnt(19) lgkmcnt(1)
	v_mul_f32_e32 v7, v51, v15
	v_mul_f32_e32 v11, v50, v15
	s_waitcnt vmcnt(18)
	v_fma_f32 v7, v50, v16, -v7
	buffer_load_dword v46, off, s[0:3], 0 offset:12
	buffer_load_dword v47, off, s[0:3], 0 offset:8
	v_fmac_f32_e32 v11, v51, v16
	buffer_load_dword v15, off, s[0:3], 0 offset:20
	buffer_load_dword v16, off, s[0:3], 0 offset:16
	ds_read_b128 v[56:59], v228 offset:4176
	v_sub_f32_e32 v4, v4, v7
	v_sub_f32_e32 v3, v3, v11
	s_waitcnt vmcnt(21) lgkmcnt(1)
	v_mul_f32_e32 v7, v55, v19
	v_mul_f32_e32 v11, v54, v19
	s_waitcnt vmcnt(20)
	v_fma_f32 v7, v54, v20, -v7
	v_fmac_f32_e32 v11, v55, v20
	v_sub_f32_e32 v4, v4, v7
	v_sub_f32_e32 v3, v3, v11
	s_waitcnt vmcnt(19) lgkmcnt(0)
	v_mul_f32_e32 v7, v59, v24
	v_mul_f32_e32 v11, v58, v24
	buffer_load_dword v19, off, s[0:3], 0 offset:28
	buffer_load_dword v20, off, s[0:3], 0 offset:24
	s_waitcnt vmcnt(20)
	v_fma_f32 v7, v58, v27, -v7
	v_fmac_f32_e32 v11, v59, v27
	ds_read_b128 v[58:61], v228 offset:3920
	v_sub_f32_e32 v3, v3, v11
	v_sub_f32_e32 v4, v4, v7
	buffer_load_dword v7, off, s[0:3], 0 offset:36
	buffer_load_dword v24, off, s[0:3], 0 offset:32
	s_waitcnt vmcnt(21) lgkmcnt(0)
	v_mul_f32_e32 v11, v61, v28
	v_mul_f32_e32 v12, v60, v28
	s_waitcnt vmcnt(20)
	v_fma_f32 v11, v60, v62, -v11
	v_fmac_f32_e32 v12, v61, v62
	ds_read_b128 v[60:63], v228 offset:3664
	v_sub_f32_e32 v4, v4, v11
	v_sub_f32_e32 v3, v3, v12
	buffer_load_dword v27, off, s[0:3], 0 offset:44
	buffer_load_dword v28, off, s[0:3], 0 offset:40
	s_waitcnt vmcnt(21) lgkmcnt(0)
	v_mul_f32_e32 v11, v63, v64
	v_mul_f32_e32 v12, v62, v64
	s_waitcnt vmcnt(20)
	v_fma_f32 v11, v62, v65, -v11
	v_fmac_f32_e32 v12, v63, v65
	ds_read_b128 v[62:65], v228 offset:3408
	buffer_load_dword v50, off, s[0:3], 0 offset:52
	buffer_load_dword v51, off, s[0:3], 0 offset:48
	v_sub_f32_e32 v4, v4, v11
	v_sub_f32_e32 v3, v3, v12
	s_waitcnt vmcnt(21) lgkmcnt(0)
	v_mul_f32_e32 v11, v65, v66
	v_mul_f32_e32 v12, v64, v66
	ds_read_b128 v[66:69], v228 offset:3152
	buffer_load_dword v54, off, s[0:3], 0 offset:60
	buffer_load_dword v55, off, s[0:3], 0 offset:56
	s_waitcnt vmcnt(22)
	v_fma_f32 v11, v64, v70, -v11
	v_fmac_f32_e32 v12, v65, v70
	ds_read_b128 v[70:73], v228 offset:2896
	buffer_load_dword v64, off, s[0:3], 0 offset:68
	buffer_load_dword v65, off, s[0:3], 0 offset:64
	v_sub_f32_e32 v3, v3, v12
	s_waitcnt vmcnt(23) lgkmcnt(1)
	v_mul_f32_e32 v12, v68, v37
	v_sub_f32_e32 v4, v4, v11
	v_mul_f32_e32 v11, v69, v37
	s_waitcnt vmcnt(22)
	v_fmac_f32_e32 v12, v69, v38
	v_fma_f32 v11, v68, v38, -v11
	v_sub_f32_e32 v3, v3, v12
	v_sub_f32_e32 v4, v4, v11
	s_waitcnt lgkmcnt(0)
	v_mul_f32_e32 v11, v73, v3
	v_fma_f32 v11, v72, v4, -v11
	buffer_load_dword v37, off, s[0:3], 0 offset:76
	buffer_load_dword v38, off, s[0:3], 0 offset:72
	v_mul_f32_e32 v12, v72, v3
	v_fmac_f32_e32 v12, v73, v4
	buffer_store_dword v11, off, s[0:3], 0 offset:160
	buffer_store_dword v12, off, s[0:3], 0 offset:164
	buffer_load_dword v4, off, s[0:3], 0 offset:84
	buffer_load_dword v68, off, s[0:3], 0 offset:80
	s_waitcnt vmcnt(25)
	v_mul_f32_e32 v3, v2, v23
	s_waitcnt vmcnt(24)
	v_fma_f32 v3, v1, v42, -v3
	v_mul_f32_e32 v1, v1, v23
	v_fmac_f32_e32 v1, v2, v42
	s_waitcnt vmcnt(23)
	v_sub_f32_e32 v2, v8, v3
	s_waitcnt vmcnt(22)
	v_sub_f32_e32 v1, v43, v1
	buffer_load_dword v3, off, s[0:3], 0 offset:92
	buffer_load_dword v8, off, s[0:3], 0 offset:88
	s_waitcnt vmcnt(23)
	v_mul_f32_e32 v23, v6, v46
	s_waitcnt vmcnt(22)
	v_fma_f32 v23, v5, v47, -v23
	v_mul_f32_e32 v5, v5, v46
	v_fmac_f32_e32 v5, v6, v47
	v_sub_f32_e32 v1, v1, v5
	s_waitcnt vmcnt(21)
	v_mul_f32_e32 v5, v10, v15
	buffer_load_dword v6, off, s[0:3], 0 offset:100
	buffer_load_dword v42, off, s[0:3], 0 offset:96
	s_waitcnt vmcnt(22)
	v_fma_f32 v5, v9, v16, -v5
	v_mul_f32_e32 v9, v9, v15
	v_sub_f32_e32 v2, v2, v23
	v_fmac_f32_e32 v9, v10, v16
	buffer_load_dword v10, off, s[0:3], 0 offset:108
	buffer_load_dword v15, off, s[0:3], 0 offset:104
	v_sub_f32_e32 v2, v2, v5
	v_sub_f32_e32 v1, v1, v9
	s_waitcnt vmcnt(23)
	v_mul_f32_e32 v5, v14, v19
	v_mul_f32_e32 v9, v13, v19
	s_waitcnt vmcnt(22)
	v_fma_f32 v5, v13, v20, -v5
	v_fmac_f32_e32 v9, v14, v20
	v_sub_f32_e32 v2, v2, v5
	v_sub_f32_e32 v1, v1, v9
	buffer_load_dword v5, off, s[0:3], 0 offset:116
	buffer_load_dword v9, off, s[0:3], 0 offset:112
	s_waitcnt vmcnt(23)
	v_mul_f32_e32 v13, v18, v7
	v_mul_f32_e32 v7, v17, v7
	s_waitcnt vmcnt(22)
	v_fma_f32 v13, v17, v24, -v13
	v_fmac_f32_e32 v7, v18, v24
	v_sub_f32_e32 v2, v2, v13
	v_sub_f32_e32 v1, v1, v7
	buffer_load_dword v7, off, s[0:3], 0 offset:124
	buffer_load_dword v13, off, s[0:3], 0 offset:120
	;; [unrolled: 10-line block ×4, first 2 shown]
	s_waitcnt vmcnt(23)
	v_mul_f32_e32 v19, v30, v54
	v_mul_f32_e32 v20, v29, v54
	s_waitcnt vmcnt(22)
	v_fma_f32 v19, v29, v55, -v19
	v_fmac_f32_e32 v20, v30, v55
	v_sub_f32_e32 v2, v2, v19
	buffer_load_dword v19, off, s[0:3], 0 offset:148
	buffer_load_dword v21, off, s[0:3], 0 offset:144
	v_sub_f32_e32 v1, v1, v20
	s_waitcnt vmcnt(23)
	v_mul_f32_e32 v20, v32, v64
	s_waitcnt vmcnt(22)
	v_fma_f32 v20, v31, v65, -v20
	buffer_load_dword v23, off, s[0:3], 0 offset:156
	v_sub_f32_e32 v2, v2, v20
	buffer_load_dword v20, off, s[0:3], 0 offset:152
	buffer_load_dword v25, off, s[0:3], 0 offset:164
	;; [unrolled: 1-line block ×3, first 2 shown]
	v_mul_f32_e32 v22, v31, v64
	v_fmac_f32_e32 v22, v32, v65
	v_sub_f32_e32 v1, v1, v22
	s_waitcnt vmcnt(25)
	v_mul_f32_e32 v22, v34, v37
	s_waitcnt vmcnt(24)
	v_fma_f32 v22, v33, v38, -v22
	v_sub_f32_e32 v2, v2, v22
	s_waitcnt vmcnt(21)
	v_mul_f32_e32 v22, v36, v4
	v_mul_f32_e32 v24, v33, v37
	s_waitcnt vmcnt(20)
	v_fma_f32 v22, v35, v68, -v22
	v_fmac_f32_e32 v24, v34, v38
	v_sub_f32_e32 v2, v2, v22
	buffer_load_dword v22, off, s[0:3], 0 offset:4
	v_sub_f32_e32 v1, v1, v24
	buffer_load_dword v24, off, s[0:3], 0
	buffer_load_dword v27, off, s[0:3], 0 offset:176
	buffer_load_dword v28, off, s[0:3], 0 offset:180
	buffer_load_dword v29, off, s[0:3], 0 offset:12
	buffer_load_dword v30, off, s[0:3], 0 offset:8
	buffer_load_dword v31, off, s[0:3], 0 offset:20
	buffer_load_dword v33, off, s[0:3], 0 offset:28
	buffer_load_dword v34, off, s[0:3], 0 offset:24
	buffer_load_dword v32, off, s[0:3], 0 offset:16
	v_mul_f32_e32 v4, v35, v4
	v_fmac_f32_e32 v4, v36, v68
	v_sub_f32_e32 v1, v1, v4
	s_waitcnt vmcnt(29)
	v_mul_f32_e32 v4, v41, v3
	s_waitcnt vmcnt(28)
	v_fma_f32 v4, v40, v8, -v4
	v_mul_f32_e32 v3, v40, v3
	v_fmac_f32_e32 v3, v41, v8
	v_sub_f32_e32 v2, v2, v4
	s_waitcnt vmcnt(27)
	v_mul_f32_e32 v4, v44, v6
	v_sub_f32_e32 v1, v1, v3
	v_mul_f32_e32 v3, v45, v6
	s_waitcnt vmcnt(26)
	v_fmac_f32_e32 v4, v45, v42
	v_fma_f32 v3, v44, v42, -v3
	v_sub_f32_e32 v1, v1, v4
	s_waitcnt vmcnt(25)
	v_mul_f32_e32 v4, v48, v10
	buffer_load_dword v35, off, s[0:3], 0 offset:36
	buffer_load_dword v36, off, s[0:3], 0 offset:32
	v_sub_f32_e32 v2, v2, v3
	v_mul_f32_e32 v3, v49, v10
	s_waitcnt vmcnt(26)
	v_fmac_f32_e32 v4, v49, v15
	v_fma_f32 v3, v48, v15, -v3
	v_sub_f32_e32 v1, v1, v4
	s_waitcnt vmcnt(25)
	v_mul_f32_e32 v4, v52, v5
	v_sub_f32_e32 v2, v2, v3
	v_mul_f32_e32 v3, v53, v5
	s_waitcnt vmcnt(24)
	v_fmac_f32_e32 v4, v53, v9
	v_fma_f32 v3, v52, v9, -v3
	v_sub_f32_e32 v1, v1, v4
	s_waitcnt vmcnt(23)
	v_mul_f32_e32 v4, v56, v7
	v_sub_f32_e32 v2, v2, v3
	v_mul_f32_e32 v3, v57, v7
	s_waitcnt vmcnt(22)
	v_fmac_f32_e32 v4, v57, v13
	buffer_load_dword v37, off, s[0:3], 0 offset:44
	buffer_load_dword v40, off, s[0:3], 0 offset:52
	;; [unrolled: 1-line block ×4, first 2 shown]
	v_fma_f32 v3, v56, v13, -v3
	v_sub_f32_e32 v1, v1, v4
	s_waitcnt vmcnt(25)
	v_mul_f32_e32 v4, v58, v14
	v_sub_f32_e32 v2, v2, v3
	v_mul_f32_e32 v3, v59, v14
	s_waitcnt vmcnt(24)
	v_fmac_f32_e32 v4, v59, v16
	v_fma_f32 v3, v58, v16, -v3
	v_sub_f32_e32 v1, v1, v4
	s_waitcnt vmcnt(23)
	v_mul_f32_e32 v4, v60, v17
	v_sub_f32_e32 v2, v2, v3
	v_mul_f32_e32 v3, v61, v17
	s_waitcnt vmcnt(22)
	v_fmac_f32_e32 v4, v61, v18
	v_fma_f32 v3, v60, v18, -v3
	v_sub_f32_e32 v1, v1, v4
	buffer_load_dword v42, off, s[0:3], 0 offset:60
	buffer_load_dword v43, off, s[0:3], 0 offset:56
	v_sub_f32_e32 v2, v2, v3
	s_waitcnt vmcnt(23)
	v_mul_f32_e32 v4, v62, v19
	v_mul_f32_e32 v3, v63, v19
	s_waitcnt vmcnt(22)
	v_fmac_f32_e32 v4, v63, v21
	v_fma_f32 v3, v62, v21, -v3
	v_sub_f32_e32 v1, v1, v4
	s_waitcnt vmcnt(21)
	v_mul_f32_e32 v4, v66, v23
	v_sub_f32_e32 v2, v2, v3
	v_mul_f32_e32 v3, v67, v23
	s_waitcnt vmcnt(20)
	v_fmac_f32_e32 v4, v67, v20
	v_fma_f32 v3, v66, v20, -v3
	v_sub_f32_e32 v6, v1, v4
	s_waitcnt vmcnt(19)
	v_mul_f32_e32 v1, v71, v25
	v_sub_f32_e32 v5, v2, v3
	s_waitcnt vmcnt(18)
	v_fma_f32 v7, v70, v26, -v1
	ds_read2_b64 v[1:4], v39 offset0:8 offset1:74
	buffer_load_dword v39, off, s[0:3], 0 offset:68
	buffer_load_dword v44, off, s[0:3], 0 offset:64
	v_mul_f32_e32 v8, v70, v25
	v_fmac_f32_e32 v8, v71, v26
	v_sub_f32_e32 v13, v5, v7
	v_sub_f32_e32 v5, v6, v8
	s_waitcnt lgkmcnt(0)
	v_mul_f32_e32 v6, v4, v5
	v_mul_f32_e32 v10, v3, v5
	v_fma_f32 v9, v3, v13, -v6
	v_fmac_f32_e32 v10, v4, v13
	ds_read_b128 v[5:8], v228 offset:8000
	buffer_store_dword v9, off, s[0:3], 0 offset:168
	buffer_store_dword v10, off, s[0:3], 0 offset:172
	ds_write2_b64 v229, v[9:10], v[11:12] offset0:64 offset1:96
	buffer_load_dword v4, off, s[0:3], 0 offset:76
	buffer_load_dword v45, off, s[0:3], 0 offset:72
	ds_read_b128 v[9:12], v228 offset:7744
	buffer_load_dword v46, off, s[0:3], 0 offset:84
	buffer_load_dword v47, off, s[0:3], 0 offset:80
	s_waitcnt vmcnt(25) lgkmcnt(2)
	v_mul_f32_e32 v3, v8, v22
	s_waitcnt vmcnt(24)
	v_fma_f32 v3, v7, v24, -v3
	v_mul_f32_e32 v7, v7, v22
	v_fmac_f32_e32 v7, v8, v24
	s_waitcnt vmcnt(21) lgkmcnt(0)
	v_mul_f32_e32 v8, v12, v29
	s_waitcnt vmcnt(20)
	v_fma_f32 v8, v11, v30, -v8
	ds_read_b128 v[13:16], v228 offset:7488
	v_mul_f32_e32 v11, v11, v29
	v_sub_f32_e32 v7, v28, v7
	v_fmac_f32_e32 v11, v12, v30
	v_sub_f32_e32 v7, v7, v11
	buffer_load_dword v11, off, s[0:3], 0 offset:92
	buffer_load_dword v12, off, s[0:3], 0 offset:88
	v_sub_f32_e32 v3, v27, v3
	v_sub_f32_e32 v3, v3, v8
	s_waitcnt vmcnt(21) lgkmcnt(0)
	v_mul_f32_e32 v8, v16, v31
	s_waitcnt vmcnt(18)
	v_fma_f32 v8, v15, v32, -v8
	v_mul_f32_e32 v15, v15, v31
	v_fmac_f32_e32 v15, v16, v32
	ds_read_b128 v[17:20], v228 offset:7232
	v_sub_f32_e32 v7, v7, v15
	buffer_load_dword v15, off, s[0:3], 0 offset:100
	buffer_load_dword v16, off, s[0:3], 0 offset:96
	ds_read_b128 v[21:24], v228 offset:6976
	v_sub_f32_e32 v3, v3, v8
	s_waitcnt lgkmcnt(1)
	v_mul_f32_e32 v8, v20, v33
	v_fma_f32 v8, v19, v34, -v8
	v_mul_f32_e32 v19, v19, v33
	v_fmac_f32_e32 v19, v20, v34
	v_sub_f32_e32 v3, v3, v8
	v_sub_f32_e32 v7, v7, v19
	s_waitcnt vmcnt(19) lgkmcnt(0)
	v_mul_f32_e32 v8, v24, v35
	buffer_load_dword v19, off, s[0:3], 0 offset:108
	buffer_load_dword v20, off, s[0:3], 0 offset:104
	s_waitcnt vmcnt(20)
	v_fma_f32 v8, v23, v36, -v8
	ds_read_b128 v[25:28], v228 offset:6720
	v_mul_f32_e32 v23, v23, v35
	v_fmac_f32_e32 v23, v24, v36
	v_sub_f32_e32 v7, v7, v23
	buffer_load_dword v23, off, s[0:3], 0 offset:116
	buffer_load_dword v24, off, s[0:3], 0 offset:112
	ds_read_b128 v[29:32], v228 offset:6464
	ds_read_b128 v[33:36], v228 offset:6208
	v_sub_f32_e32 v3, v3, v8
	s_waitcnt vmcnt(21) lgkmcnt(2)
	v_mul_f32_e32 v8, v28, v37
	s_waitcnt vmcnt(18)
	v_fma_f32 v8, v27, v38, -v8
	v_mul_f32_e32 v27, v27, v37
	v_fmac_f32_e32 v27, v28, v38
	v_sub_f32_e32 v3, v3, v8
	s_waitcnt lgkmcnt(1)
	v_mul_f32_e32 v8, v32, v40
	v_mul_f32_e32 v28, v31, v40
	v_sub_f32_e32 v7, v7, v27
	buffer_load_dword v27, off, s[0:3], 0 offset:124
	v_fma_f32 v8, v31, v41, -v8
	v_fmac_f32_e32 v28, v32, v41
	buffer_load_dword v31, off, s[0:3], 0 offset:120
	v_sub_f32_e32 v3, v3, v8
	v_sub_f32_e32 v7, v7, v28
	s_waitcnt vmcnt(19) lgkmcnt(0)
	v_mul_f32_e32 v8, v36, v42
	v_mul_f32_e32 v28, v35, v42
	s_waitcnt vmcnt(18)
	v_fma_f32 v8, v35, v43, -v8
	v_fmac_f32_e32 v28, v36, v43
	ds_read_b128 v[35:38], v228 offset:5952
	buffer_load_dword v32, off, s[0:3], 0 offset:132
	buffer_load_dword v65, off, s[0:3], 0 offset:128
	v_sub_f32_e32 v3, v3, v8
	v_sub_f32_e32 v7, v7, v28
	s_waitcnt vmcnt(19) lgkmcnt(0)
	v_mul_f32_e32 v8, v38, v39
	s_waitcnt vmcnt(18)
	v_fma_f32 v8, v37, v44, -v8
	v_mul_f32_e32 v28, v37, v39
	buffer_load_dword v37, off, s[0:3], 0 offset:140
	ds_read_b128 v[39:42], v228 offset:5696
	v_fmac_f32_e32 v28, v38, v44
	buffer_load_dword v38, off, s[0:3], 0 offset:136
	v_sub_f32_e32 v3, v3, v8
	v_sub_f32_e32 v7, v7, v28
	s_waitcnt vmcnt(17) lgkmcnt(0)
	v_mul_f32_e32 v8, v42, v4
	v_mul_f32_e32 v4, v41, v4
	s_waitcnt vmcnt(16)
	v_fma_f32 v8, v41, v45, -v8
	v_fmac_f32_e32 v4, v42, v45
	ds_read_b128 v[41:44], v228 offset:5440
	buffer_load_dword v28, off, s[0:3], 0 offset:148
	buffer_load_dword v67, off, s[0:3], 0 offset:144
	v_sub_f32_e32 v3, v3, v8
	v_sub_f32_e32 v4, v7, v4
	s_waitcnt vmcnt(17) lgkmcnt(0)
	v_mul_f32_e32 v7, v44, v46
	v_mul_f32_e32 v8, v43, v46
	s_waitcnt vmcnt(16)
	v_fma_f32 v7, v43, v47, -v7
	v_fmac_f32_e32 v8, v44, v47
	ds_read_b128 v[43:46], v228 offset:5184
	buffer_load_dword v69, off, s[0:3], 0 offset:156
	;; [unrolled: 11-line block ×4, first 2 shown]
	buffer_load_dword v16, off, s[0:3], 0 offset:168
	v_sub_f32_e32 v3, v3, v7
	ds_read_b128 v[51:54], v228 offset:4416
	ds_read_b128 v[55:58], v228 offset:4160
	s_waitcnt vmcnt(17) lgkmcnt(2)
	v_mul_f32_e32 v7, v50, v19
	s_waitcnt vmcnt(16)
	v_fma_f32 v7, v49, v20, -v7
	v_sub_f32_e32 v4, v4, v8
	v_sub_f32_e32 v3, v3, v7
	buffer_store_dword v4, off, s[0:3], 0 offset:180
	v_mul_f32_e32 v8, v49, v19
	buffer_store_dword v3, off, s[0:3], 0 offset:176
	v_fmac_f32_e32 v8, v50, v20
	buffer_load_dword v19, off, s[0:3], 0 offset:4
	buffer_load_dword v20, off, s[0:3], 0
	v_sub_f32_e32 v4, v4, v8
	s_waitcnt vmcnt(19) lgkmcnt(1)
	v_mul_f32_e32 v7, v54, v23
	v_mul_f32_e32 v8, v53, v23
	s_waitcnt vmcnt(18)
	v_fma_f32 v7, v53, v24, -v7
	v_fmac_f32_e32 v8, v54, v24
	buffer_load_dword v23, off, s[0:3], 0 offset:184
	buffer_load_dword v24, off, s[0:3], 0 offset:188
	;; [unrolled: 1-line block ×4, first 2 shown]
	v_sub_f32_e32 v3, v3, v7
	v_sub_f32_e32 v4, v4, v8
	s_waitcnt vmcnt(21) lgkmcnt(0)
	v_mul_f32_e32 v7, v58, v27
	v_mul_f32_e32 v8, v57, v27
	s_waitcnt vmcnt(20)
	v_fma_f32 v7, v57, v31, -v7
	v_fmac_f32_e32 v8, v58, v31
	ds_read_b128 v[57:60], v228 offset:3904
	buffer_load_dword v27, off, s[0:3], 0 offset:20
	buffer_load_dword v31, off, s[0:3], 0 offset:16
	ds_read_b128 v[61:64], v228 offset:3648
	v_sub_f32_e32 v3, v3, v7
	v_sub_f32_e32 v4, v4, v8
	s_waitcnt vmcnt(21) lgkmcnt(1)
	v_mul_f32_e32 v7, v60, v32
	v_mul_f32_e32 v8, v59, v32
	s_waitcnt vmcnt(20)
	v_fma_f32 v7, v59, v65, -v7
	v_fmac_f32_e32 v8, v60, v65
	v_sub_f32_e32 v3, v3, v7
	v_sub_f32_e32 v4, v4, v8
	buffer_load_dword v32, off, s[0:3], 0 offset:28
	buffer_load_dword v53, off, s[0:3], 0 offset:24
	s_waitcnt vmcnt(21) lgkmcnt(0)
	v_mul_f32_e32 v7, v64, v37
	v_mul_f32_e32 v8, v63, v37
	s_waitcnt vmcnt(20)
	v_fma_f32 v7, v63, v38, -v7
	v_fmac_f32_e32 v8, v64, v38
	ds_read_b128 v[63:66], v228 offset:3392
	v_sub_f32_e32 v3, v3, v7
	v_sub_f32_e32 v4, v4, v8
	buffer_load_dword v37, off, s[0:3], 0 offset:36
	buffer_load_dword v38, off, s[0:3], 0 offset:32
	;; [unrolled: 1-line block ×3, first 2 shown]
	s_waitcnt vmcnt(22) lgkmcnt(0)
	v_mul_f32_e32 v7, v66, v28
	v_mul_f32_e32 v8, v65, v28
	s_waitcnt vmcnt(21)
	v_fma_f32 v7, v65, v67, -v7
	v_fmac_f32_e32 v8, v66, v67
	ds_read_b128 v[65:68], v228 offset:3136
	buffer_load_dword v28, off, s[0:3], 0 offset:44
	v_sub_f32_e32 v3, v3, v7
	v_sub_f32_e32 v4, v4, v8
	s_waitcnt vmcnt(21) lgkmcnt(0)
	v_mul_f32_e32 v7, v68, v69
	v_mul_f32_e32 v8, v67, v69
	s_waitcnt vmcnt(20)
	v_fma_f32 v7, v67, v70, -v7
	v_fmac_f32_e32 v8, v68, v70
	ds_read_b128 v[67:70], v228 offset:2880
	buffer_load_dword v59, off, s[0:3], 0 offset:52
	buffer_load_dword v60, off, s[0:3], 0 offset:48
	ds_read_b128 v[71:74], v228 offset:2624
	v_sub_f32_e32 v3, v3, v7
	v_sub_f32_e32 v4, v4, v8
	s_waitcnt vmcnt(21) lgkmcnt(1)
	v_mul_f32_e32 v7, v70, v11
	s_waitcnt vmcnt(20)
	v_fma_f32 v7, v69, v12, -v7
	v_mul_f32_e32 v8, v69, v11
	buffer_load_dword v11, off, s[0:3], 0 offset:60
	buffer_load_dword v69, off, s[0:3], 0 offset:56
	ds_read_b128 v[75:78], v228 offset:2368
	v_fmac_f32_e32 v8, v70, v12
	v_sub_f32_e32 v4, v4, v8
	v_sub_f32_e32 v3, v3, v7
	buffer_load_dword v12, off, s[0:3], 0 offset:68
	buffer_load_dword v70, off, s[0:3], 0 offset:64
	s_waitcnt vmcnt(23) lgkmcnt(1)
	v_mul_f32_e32 v8, v73, v15
	v_mul_f32_e32 v7, v74, v15
	s_waitcnt vmcnt(22)
	v_fmac_f32_e32 v8, v74, v16
	v_fma_f32 v7, v73, v16, -v7
	v_sub_f32_e32 v4, v4, v8
	v_sub_f32_e32 v3, v3, v7
	s_waitcnt lgkmcnt(0)
	v_mul_f32_e32 v7, v78, v4
	v_fma_f32 v7, v77, v3, -v7
	buffer_load_dword v15, off, s[0:3], 0 offset:76
	buffer_load_dword v16, off, s[0:3], 0 offset:72
	v_mul_f32_e32 v8, v77, v4
	v_fmac_f32_e32 v8, v78, v3
	buffer_store_dword v7, off, s[0:3], 0 offset:176
	buffer_store_dword v8, off, s[0:3], 0 offset:180
	buffer_load_dword v4, off, s[0:3], 0 offset:84
	buffer_load_dword v73, off, s[0:3], 0 offset:80
	s_waitcnt vmcnt(25)
	v_mul_f32_e32 v3, v6, v19
	s_waitcnt vmcnt(24)
	v_fma_f32 v3, v5, v20, -v3
	v_mul_f32_e32 v5, v5, v19
	v_fmac_f32_e32 v5, v6, v20
	buffer_load_dword v19, off, s[0:3], 0 offset:92
	buffer_load_dword v20, off, s[0:3], 0 offset:88
	s_waitcnt vmcnt(23)
	v_mul_f32_e32 v6, v10, v49
	s_waitcnt vmcnt(22)
	v_fma_f32 v6, v9, v50, -v6
	v_mul_f32_e32 v9, v9, v49
	v_sub_f32_e32 v5, v24, v5
	v_fmac_f32_e32 v9, v10, v50
	v_sub_f32_e32 v5, v5, v9
	buffer_load_dword v9, off, s[0:3], 0 offset:100
	buffer_load_dword v10, off, s[0:3], 0 offset:96
	v_sub_f32_e32 v3, v23, v3
	v_sub_f32_e32 v3, v3, v6
	s_waitcnt vmcnt(23)
	v_mul_f32_e32 v6, v14, v27
	s_waitcnt vmcnt(22)
	v_fma_f32 v6, v13, v31, -v6
	v_mul_f32_e32 v13, v13, v27
	v_fmac_f32_e32 v13, v14, v31
	v_sub_f32_e32 v3, v3, v6
	v_sub_f32_e32 v5, v5, v13
	buffer_load_dword v6, off, s[0:3], 0 offset:108
	buffer_load_dword v13, off, s[0:3], 0 offset:104
	s_waitcnt vmcnt(23)
	v_mul_f32_e32 v14, v18, v32
	s_waitcnt vmcnt(22)
	v_fma_f32 v14, v17, v53, -v14
	v_mul_f32_e32 v17, v17, v32
	v_fmac_f32_e32 v17, v18, v53
	buffer_load_dword v18, off, s[0:3], 0 offset:116
	buffer_load_dword v23, off, s[0:3], 0 offset:112
	v_sub_f32_e32 v3, v3, v14
	v_sub_f32_e32 v5, v5, v17
	s_waitcnt vmcnt(23)
	v_mul_f32_e32 v14, v22, v37
	v_mul_f32_e32 v17, v21, v37
	s_waitcnt vmcnt(22)
	v_fma_f32 v14, v21, v38, -v14
	v_fmac_f32_e32 v17, v22, v38
	buffer_load_dword v21, off, s[0:3], 0 offset:124
	v_sub_f32_e32 v5, v5, v17
	buffer_load_dword v17, off, s[0:3], 0 offset:120
	v_sub_f32_e32 v3, v3, v14
	s_waitcnt vmcnt(22)
	v_mul_f32_e32 v22, v25, v28
	v_fmac_f32_e32 v22, v26, v54
	v_sub_f32_e32 v5, v5, v22
	buffer_load_dword v22, off, s[0:3], 0 offset:132
	buffer_load_dword v24, off, s[0:3], 0 offset:128
	v_mul_f32_e32 v14, v26, v28
	v_fma_f32 v14, v25, v54, -v14
	v_sub_f32_e32 v3, v3, v14
	s_waitcnt vmcnt(23)
	v_mul_f32_e32 v25, v29, v59
	s_waitcnt vmcnt(22)
	v_fmac_f32_e32 v25, v30, v60
	v_sub_f32_e32 v5, v5, v25
	buffer_load_dword v25, off, s[0:3], 0 offset:140
	buffer_load_dword v26, off, s[0:3], 0 offset:136
	v_mul_f32_e32 v14, v30, v59
	v_fma_f32 v14, v29, v60, -v14
	v_sub_f32_e32 v3, v3, v14
	s_waitcnt vmcnt(23)
	v_mul_f32_e32 v14, v34, v11
	v_mul_f32_e32 v11, v33, v11
	s_waitcnt vmcnt(22)
	v_fmac_f32_e32 v11, v34, v69
	v_fma_f32 v14, v33, v69, -v14
	v_sub_f32_e32 v5, v5, v11
	buffer_load_dword v27, off, s[0:3], 0 offset:148
	buffer_load_dword v28, off, s[0:3], 0 offset:144
	s_waitcnt vmcnt(23)
	v_mul_f32_e32 v11, v36, v12
	v_sub_f32_e32 v3, v3, v14
	s_waitcnt vmcnt(22)
	v_fma_f32 v11, v35, v70, -v11
	v_mul_f32_e32 v12, v35, v12
	v_fmac_f32_e32 v12, v36, v70
	v_sub_f32_e32 v3, v3, v11
	buffer_load_dword v29, off, s[0:3], 0 offset:156
	buffer_load_dword v30, off, s[0:3], 0 offset:152
	v_sub_f32_e32 v5, v5, v12
	s_waitcnt vmcnt(23)
	v_mul_f32_e32 v11, v40, v15
	s_waitcnt vmcnt(22)
	v_fma_f32 v11, v39, v16, -v11
	v_mul_f32_e32 v12, v39, v15
	buffer_load_dword v31, off, s[0:3], 0 offset:164
	buffer_load_dword v32, off, s[0:3], 0 offset:160
	v_fmac_f32_e32 v12, v40, v16
	v_sub_f32_e32 v3, v3, v11
	s_waitcnt vmcnt(21)
	v_mul_f32_e32 v11, v42, v4
	v_mul_f32_e32 v4, v41, v4
	v_sub_f32_e32 v5, v5, v12
	s_waitcnt vmcnt(20)
	v_fmac_f32_e32 v4, v42, v73
	v_sub_f32_e32 v4, v5, v4
	buffer_load_dword v5, off, s[0:3], 0 offset:172
	buffer_load_dword v35, off, s[0:3], 0 offset:168
	;; [unrolled: 1-line block ×4, first 2 shown]
	v_fma_f32 v11, v41, v73, -v11
	v_sub_f32_e32 v3, v3, v11
	s_waitcnt vmcnt(23)
	v_mul_f32_e32 v11, v44, v19
	s_waitcnt vmcnt(22)
	v_fma_f32 v11, v43, v20, -v11
	v_sub_f32_e32 v3, v3, v11
	s_waitcnt vmcnt(21)
	v_mul_f32_e32 v11, v46, v9
	v_mul_f32_e32 v12, v43, v19
	s_waitcnt vmcnt(20)
	v_fma_f32 v11, v45, v10, -v11
	v_fmac_f32_e32 v12, v44, v20
	v_sub_f32_e32 v3, v3, v11
	buffer_load_dword v11, off, s[0:3], 0 offset:4
	v_sub_f32_e32 v4, v4, v12
	v_mul_f32_e32 v9, v45, v9
	buffer_load_dword v12, off, s[0:3], 0
	v_fmac_f32_e32 v9, v46, v10
	v_sub_f32_e32 v4, v4, v9
	s_waitcnt vmcnt(21)
	v_mul_f32_e32 v9, v48, v6
	v_mul_f32_e32 v6, v47, v6
	s_waitcnt vmcnt(20)
	v_fma_f32 v9, v47, v13, -v9
	v_fmac_f32_e32 v6, v48, v13
	buffer_load_dword v13, off, s[0:3], 0 offset:192
	buffer_load_dword v14, off, s[0:3], 0 offset:196
	;; [unrolled: 1-line block ×8, first 2 shown]
	v_sub_f32_e32 v3, v3, v9
	v_sub_f32_e32 v4, v4, v6
	s_waitcnt vmcnt(27)
	v_mul_f32_e32 v6, v52, v18
	v_mul_f32_e32 v9, v51, v18
	s_waitcnt vmcnt(26)
	v_fma_f32 v6, v51, v23, -v6
	v_fmac_f32_e32 v9, v52, v23
	v_sub_f32_e32 v3, v3, v6
	v_sub_f32_e32 v4, v4, v9
	s_waitcnt vmcnt(25)
	v_mul_f32_e32 v6, v56, v21
	v_mul_f32_e32 v9, v55, v21
	s_waitcnt vmcnt(24)
	v_fma_f32 v6, v55, v17, -v6
	v_fmac_f32_e32 v9, v56, v17
	buffer_load_dword v21, off, s[0:3], 0 offset:20
	v_sub_f32_e32 v3, v3, v6
	v_sub_f32_e32 v4, v4, v9
	s_waitcnt vmcnt(24)
	v_mul_f32_e32 v6, v58, v22
	v_mul_f32_e32 v9, v57, v22
	buffer_load_dword v22, off, s[0:3], 0 offset:16
	s_waitcnt vmcnt(24)
	v_fma_f32 v6, v57, v24, -v6
	v_fmac_f32_e32 v9, v58, v24
	v_sub_f32_e32 v3, v3, v6
	v_sub_f32_e32 v4, v4, v9
	s_waitcnt vmcnt(23)
	v_mul_f32_e32 v6, v62, v25
	v_mul_f32_e32 v9, v61, v25
	buffer_load_dword v25, off, s[0:3], 0 offset:28
	s_waitcnt vmcnt(23)
	v_fma_f32 v6, v61, v26, -v6
	v_fmac_f32_e32 v9, v62, v26
	buffer_load_dword v26, off, s[0:3], 0 offset:24
	v_sub_f32_e32 v3, v3, v6
	s_waitcnt vmcnt(23)
	v_mul_f32_e32 v6, v64, v27
	v_sub_f32_e32 v4, v4, v9
	s_waitcnt vmcnt(22)
	v_fma_f32 v6, v63, v28, -v6
	v_mul_f32_e32 v9, v63, v27
	v_fmac_f32_e32 v9, v64, v28
	v_sub_f32_e32 v3, v3, v6
	v_sub_f32_e32 v4, v4, v9
	s_waitcnt vmcnt(21)
	v_mul_f32_e32 v6, v66, v29
	s_waitcnt vmcnt(20)
	v_fma_f32 v6, v65, v30, -v6
	v_mul_f32_e32 v9, v65, v29
	v_fmac_f32_e32 v9, v66, v30
	v_sub_f32_e32 v3, v3, v6
	v_sub_f32_e32 v4, v4, v9
	s_waitcnt vmcnt(19)
	v_mul_f32_e32 v6, v68, v31
	s_waitcnt vmcnt(18)
	v_fma_f32 v6, v67, v32, -v6
	v_mul_f32_e32 v9, v67, v31
	v_fmac_f32_e32 v9, v68, v32
	v_sub_f32_e32 v3, v3, v6
	v_sub_f32_e32 v4, v4, v9
	buffer_load_dword v30, off, s[0:3], 0 offset:52
	buffer_load_dword v29, off, s[0:3], 0 offset:48
	;; [unrolled: 1-line block ×4, first 2 shown]
	s_waitcnt vmcnt(21)
	v_mul_f32_e32 v6, v72, v5
	v_mul_f32_e32 v5, v71, v5
	s_waitcnt vmcnt(20)
	v_fma_f32 v6, v71, v35, -v6
	v_fmac_f32_e32 v5, v72, v35
	v_sub_f32_e32 v3, v3, v6
	v_sub_f32_e32 v4, v4, v5
	s_waitcnt vmcnt(19)
	v_mul_f32_e32 v5, v76, v36
	v_mul_f32_e32 v6, v75, v36
	s_waitcnt vmcnt(18)
	v_fma_f32 v5, v75, v37, -v5
	v_fmac_f32_e32 v6, v76, v37
	v_sub_f32_e32 v17, v3, v5
	v_sub_f32_e32 v3, v4, v6
	v_mul_f32_e32 v4, v2, v3
	buffer_load_dword v35, off, s[0:3], 0 offset:68
	v_mul_f32_e32 v10, v1, v3
	v_fma_f32 v9, v1, v17, -v4
	buffer_load_dword v1, off, s[0:3], 0 offset:64
	ds_read_b128 v[3:6], v228 offset:7984
	v_fmac_f32_e32 v10, v2, v17
	buffer_store_dword v9, off, s[0:3], 0 offset:184
	buffer_store_dword v10, off, s[0:3], 0 offset:188
	ds_write2_b64 v229, v[9:10], v[7:8] offset1:32
	buffer_load_dword v36, off, s[0:3], 0 offset:76
	buffer_load_dword v2, off, s[0:3], 0 offset:72
	s_waitcnt vmcnt(23) lgkmcnt(1)
	v_mul_f32_e32 v7, v6, v11
	s_waitcnt vmcnt(22)
	v_fma_f32 v17, v5, v12, -v7
	ds_read_b128 v[7:10], v228 offset:7728
	v_mul_f32_e32 v5, v5, v11
	v_fmac_f32_e32 v5, v6, v12
	s_waitcnt vmcnt(20)
	v_sub_f32_e32 v18, v14, v5
	buffer_load_dword v6, off, s[0:3], 0 offset:84
	buffer_load_dword v5, off, s[0:3], 0 offset:80
	s_waitcnt vmcnt(21) lgkmcnt(0)
	v_mul_f32_e32 v11, v10, v15
	s_waitcnt vmcnt(20)
	v_fma_f32 v23, v9, v16, -v11
	v_mul_f32_e32 v9, v9, v15
	v_fmac_f32_e32 v9, v10, v16
	v_sub_f32_e32 v17, v13, v17
	ds_read_b128 v[11:14], v228 offset:7472
	v_sub_f32_e32 v24, v18, v9
	buffer_load_dword v10, off, s[0:3], 0 offset:92
	buffer_load_dword v9, off, s[0:3], 0 offset:88
	v_sub_f32_e32 v23, v17, v23
	s_waitcnt vmcnt(17) lgkmcnt(0)
	v_mul_f32_e32 v15, v14, v21
	v_mul_f32_e32 v21, v13, v21
	s_waitcnt vmcnt(16)
	v_fma_f32 v27, v13, v22, -v15
	ds_read_b128 v[15:18], v228 offset:7216
	v_fmac_f32_e32 v21, v14, v22
	v_sub_f32_e32 v14, v24, v21
	v_sub_f32_e32 v13, v23, v27
	buffer_load_dword v58, off, s[0:3], 0 offset:100
	buffer_load_dword v57, off, s[0:3], 0 offset:96
	s_waitcnt vmcnt(17) lgkmcnt(0)
	v_mul_f32_e32 v21, v18, v25
	s_waitcnt vmcnt(16)
	v_fma_f32 v27, v17, v26, -v21
	ds_read_b128 v[21:24], v228 offset:6960
	v_mul_f32_e32 v17, v17, v25
	v_fmac_f32_e32 v17, v18, v26
	v_sub_f32_e32 v18, v13, v27
	v_sub_f32_e32 v17, v14, v17
	buffer_load_dword v14, off, s[0:3], 0 offset:108
	buffer_load_dword v13, off, s[0:3], 0 offset:104
	s_waitcnt lgkmcnt(0)
	v_mul_f32_e32 v25, v24, v19
	v_mul_f32_e32 v19, v23, v19
	v_fma_f32 v37, v23, v20, -v25
	ds_read_b128 v[25:28], v228 offset:6704
	v_fmac_f32_e32 v19, v24, v20
	buffer_load_dword v24, off, s[0:3], 0 offset:116
	buffer_load_dword v23, off, s[0:3], 0 offset:112
	v_sub_f32_e32 v38, v17, v19
	v_sub_f32_e32 v37, v18, v37
	s_waitcnt lgkmcnt(0)
	v_mul_f32_e32 v17, v28, v33
	v_fma_f32 v39, v27, v34, -v17
	ds_read_b128 v[17:20], v228 offset:6448
	buffer_load_dword v59, off, s[0:3], 0 offset:124
	buffer_load_dword v63, off, s[0:3], 0 offset:120
	v_mul_f32_e32 v33, v27, v33
	ds_read_b128 v[81:84], v228 offset:6192
	v_fmac_f32_e32 v33, v28, v34
	v_sub_f32_e32 v28, v38, v33
	s_waitcnt vmcnt(21) lgkmcnt(1)
	v_mul_f32_e32 v33, v20, v30
	buffer_load_dword v64, off, s[0:3], 0 offset:132
	buffer_load_dword v65, off, s[0:3], 0 offset:128
	ds_read_b128 v[53:56], v228 offset:5936
	s_waitcnt vmcnt(22)
	v_fma_f32 v33, v19, v29, -v33
	v_mul_f32_e32 v19, v19, v30
	v_sub_f32_e32 v27, v37, v39
	v_fmac_f32_e32 v19, v20, v29
	ds_read_b128 v[49:52], v228 offset:5680
	ds_read_b128 v[45:48], v228 offset:5424
	v_sub_f32_e32 v20, v27, v33
	v_sub_f32_e32 v19, v28, v19
	s_waitcnt vmcnt(21) lgkmcnt(3)
	v_mul_f32_e32 v27, v84, v31
	v_mul_f32_e32 v28, v83, v31
	s_waitcnt vmcnt(20)
	v_fma_f32 v27, v83, v32, -v27
	v_fmac_f32_e32 v28, v84, v32
	v_sub_f32_e32 v20, v20, v27
	v_sub_f32_e32 v19, v19, v28
	s_waitcnt vmcnt(19) lgkmcnt(2)
	v_mul_f32_e32 v27, v56, v35
	buffer_load_dword v66, off, s[0:3], 0 offset:140
	v_mul_f32_e32 v28, v55, v35
	s_waitcnt vmcnt(19)
	v_fma_f32 v27, v55, v1, -v27
	v_fmac_f32_e32 v28, v56, v1
	buffer_load_dword v1, off, s[0:3], 0 offset:136
	v_sub_f32_e32 v20, v20, v27
	v_sub_f32_e32 v19, v19, v28
	s_waitcnt vmcnt(17) lgkmcnt(1)
	v_mul_f32_e32 v27, v52, v36
	v_mul_f32_e32 v28, v51, v36
	s_waitcnt vmcnt(16)
	v_fma_f32 v27, v51, v2, -v27
	v_fmac_f32_e32 v28, v52, v2
	buffer_load_dword v2, off, s[0:3], 0 offset:148
	buffer_load_dword v51, off, s[0:3], 0 offset:144
	v_sub_f32_e32 v20, v20, v27
	s_waitcnt vmcnt(17) lgkmcnt(0)
	v_mul_f32_e32 v27, v48, v6
	v_mul_f32_e32 v6, v47, v6
	s_waitcnt vmcnt(16)
	v_fma_f32 v27, v47, v5, -v27
	v_fmac_f32_e32 v6, v48, v5
	ds_read_b128 v[41:44], v228 offset:5168
	buffer_load_dword v47, off, s[0:3], 0 offset:156
	buffer_load_dword v48, off, s[0:3], 0 offset:152
	v_sub_f32_e32 v19, v19, v28
	v_sub_f32_e32 v6, v19, v6
	ds_read_b128 v[37:40], v228 offset:4912
	s_waitcnt vmcnt(17) lgkmcnt(1)
	v_mul_f32_e32 v19, v44, v10
	v_mul_f32_e32 v10, v43, v10
	s_waitcnt vmcnt(16)
	v_fma_f32 v19, v43, v9, -v19
	v_fmac_f32_e32 v10, v44, v9
	buffer_load_dword v9, off, s[0:3], 0 offset:164
	buffer_load_dword v52, off, s[0:3], 0 offset:160
	ds_read_b128 v[33:36], v228 offset:4656
	buffer_load_dword v71, off, s[0:3], 0 offset:172
	buffer_load_dword v72, off, s[0:3], 0 offset:168
	v_sub_f32_e32 v5, v20, v27
	ds_read_b128 v[27:30], v228 offset:4400
	buffer_load_dword v73, off, s[0:3], 0 offset:180
	buffer_load_dword v77, off, s[0:3], 0 offset:176
	v_sub_f32_e32 v6, v6, v10
	s_waitcnt vmcnt(21) lgkmcnt(2)
	v_mul_f32_e32 v10, v40, v58
	v_sub_f32_e32 v5, v5, v19
	s_waitcnt vmcnt(20)
	v_fma_f32 v10, v39, v57, -v10
	v_mul_f32_e32 v19, v39, v58
	v_sub_f32_e32 v5, v5, v10
	v_fmac_f32_e32 v19, v40, v57
	v_sub_f32_e32 v6, v6, v19
	s_waitcnt vmcnt(19) lgkmcnt(1)
	v_mul_f32_e32 v10, v36, v14
	s_waitcnt vmcnt(18)
	v_fma_f32 v10, v35, v13, -v10
	v_mul_f32_e32 v14, v35, v14
	v_fmac_f32_e32 v14, v36, v13
	v_sub_f32_e32 v10, v5, v10
	v_sub_f32_e32 v13, v6, v14
	s_waitcnt vmcnt(17) lgkmcnt(0)
	v_mul_f32_e32 v5, v30, v24
	v_mul_f32_e32 v19, v29, v24
	s_waitcnt vmcnt(16)
	v_fma_f32 v14, v29, v23, -v5
	v_fmac_f32_e32 v19, v30, v23
	ds_read_b128 v[29:32], v228 offset:4144
	buffer_load_dword v6, off, s[0:3], 0 offset:188
	buffer_load_dword v5, off, s[0:3], 0 offset:184
	v_sub_f32_e32 v10, v10, v14
	v_sub_f32_e32 v13, v13, v19
	ds_read_b128 v[55:58], v228 offset:3632
	s_waitcnt vmcnt(17) lgkmcnt(1)
	v_mul_f32_e32 v14, v32, v59
	v_mul_f32_e32 v19, v31, v59
	ds_read_b128 v[59:62], v228 offset:3888
	s_waitcnt vmcnt(16)
	v_fma_f32 v14, v31, v63, -v14
	v_fmac_f32_e32 v19, v32, v63
	v_sub_f32_e32 v10, v10, v14
	buffer_store_dword v13, off, s[0:3], 0 offset:196
	v_sub_f32_e32 v13, v13, v19
	buffer_store_dword v10, off, s[0:3], 0 offset:192
	s_waitcnt vmcnt(17) lgkmcnt(0)
	v_mul_f32_e32 v14, v62, v64
	v_mul_f32_e32 v19, v61, v64
	s_waitcnt vmcnt(16)
	v_fma_f32 v14, v61, v65, -v14
	buffer_load_dword v40, off, s[0:3], 0 offset:4
	buffer_load_dword v39, off, s[0:3], 0
	v_fmac_f32_e32 v19, v62, v65
	buffer_load_dword v43, off, s[0:3], 0 offset:200
	buffer_load_dword v44, off, s[0:3], 0 offset:204
	;; [unrolled: 1-line block ×4, first 2 shown]
	ds_read_b128 v[61:64], v228 offset:3376
	v_sub_f32_e32 v10, v10, v14
	v_sub_f32_e32 v13, v13, v19
	buffer_load_dword v32, off, s[0:3], 0 offset:20
	buffer_load_dword v31, off, s[0:3], 0 offset:16
	s_waitcnt vmcnt(23)
	v_mul_f32_e32 v14, v58, v66
	v_mul_f32_e32 v19, v57, v66
	s_waitcnt vmcnt(22)
	v_fma_f32 v14, v57, v1, -v14
	v_fmac_f32_e32 v19, v58, v1
	v_sub_f32_e32 v1, v10, v14
	v_sub_f32_e32 v10, v13, v19
	s_waitcnt vmcnt(21) lgkmcnt(0)
	v_mul_f32_e32 v13, v64, v2
	v_mul_f32_e32 v2, v63, v2
	s_waitcnt vmcnt(20)
	v_fma_f32 v13, v63, v51, -v13
	v_fmac_f32_e32 v2, v64, v51
	ds_read_b128 v[63:66], v228 offset:3120
	v_sub_f32_e32 v1, v1, v13
	v_sub_f32_e32 v2, v10, v2
	buffer_load_dword v24, off, s[0:3], 0 offset:28
	buffer_load_dword v23, off, s[0:3], 0 offset:24
	s_waitcnt vmcnt(21) lgkmcnt(0)
	v_mul_f32_e32 v10, v66, v47
	v_mul_f32_e32 v13, v65, v47
	s_waitcnt vmcnt(20)
	v_fma_f32 v10, v65, v48, -v10
	v_fmac_f32_e32 v13, v66, v48
	ds_read_b128 v[65:68], v228 offset:2864
	v_sub_f32_e32 v1, v1, v10
	buffer_load_dword v20, off, s[0:3], 0 offset:36
	buffer_load_dword v19, off, s[0:3], 0 offset:32
	v_sub_f32_e32 v2, v2, v13
	s_waitcnt vmcnt(21) lgkmcnt(0)
	v_mul_f32_e32 v10, v68, v9
	v_mul_f32_e32 v9, v67, v9
	s_waitcnt vmcnt(20)
	v_fma_f32 v10, v67, v52, -v10
	v_fmac_f32_e32 v9, v68, v52
	ds_read_b128 v[67:70], v228 offset:2608
	buffer_load_dword v14, off, s[0:3], 0 offset:44
	buffer_load_dword v13, off, s[0:3], 0 offset:40
	v_sub_f32_e32 v2, v2, v9
	v_sub_f32_e32 v1, v1, v10
	s_waitcnt vmcnt(21) lgkmcnt(0)
	v_mul_f32_e32 v9, v70, v71
	v_mul_f32_e32 v48, v69, v71
	s_waitcnt vmcnt(20)
	v_fma_f32 v47, v69, v72, -v9
	v_fmac_f32_e32 v48, v70, v72
	ds_read_b128 v[69:72], v228 offset:2352
	buffer_load_dword v10, off, s[0:3], 0 offset:52
	buffer_load_dword v9, off, s[0:3], 0 offset:48
	v_sub_f32_e32 v47, v1, v47
	v_sub_f32_e32 v48, v2, v48
	s_waitcnt vmcnt(21) lgkmcnt(0)
	v_mul_f32_e32 v1, v72, v73
	s_waitcnt vmcnt(20)
	v_fma_f32 v51, v71, v77, -v1
	v_mul_f32_e32 v52, v71, v73
	ds_read_b128 v[73:76], v228 offset:2096
	buffer_load_dword v2, off, s[0:3], 0 offset:60
	buffer_load_dword v1, off, s[0:3], 0 offset:56
	v_fmac_f32_e32 v52, v72, v77
	v_sub_f32_e32 v48, v48, v52
	ds_read_b128 v[77:80], v228 offset:1840
	buffer_load_dword v52, off, s[0:3], 0 offset:68
	buffer_load_dword v57, off, s[0:3], 0 offset:64
	v_sub_f32_e32 v47, v47, v51
	s_waitcnt vmcnt(23) lgkmcnt(1)
	v_mul_f32_e32 v51, v76, v6
	v_mul_f32_e32 v6, v75, v6
	s_waitcnt vmcnt(22)
	v_fma_f32 v51, v75, v5, -v51
	v_fmac_f32_e32 v6, v76, v5
	v_sub_f32_e32 v47, v47, v51
	v_sub_f32_e32 v6, v48, v6
	buffer_load_dword v48, off, s[0:3], 0 offset:76
	buffer_load_dword v51, off, s[0:3], 0 offset:72
	s_waitcnt lgkmcnt(0)
	v_mul_f32_e32 v5, v80, v6
	v_fma_f32 v5, v79, v47, -v5
	v_mul_f32_e32 v6, v79, v6
	v_fmac_f32_e32 v6, v80, v47
	buffer_store_dword v5, off, s[0:3], 0 offset:192
	buffer_store_dword v6, off, s[0:3], 0 offset:196
	buffer_load_dword v58, off, s[0:3], 0 offset:84
	buffer_load_dword v71, off, s[0:3], 0 offset:80
	s_waitcnt vmcnt(25)
	v_mul_f32_e32 v47, v4, v40
	s_waitcnt vmcnt(24)
	v_fma_f32 v47, v3, v39, -v47
	v_mul_f32_e32 v3, v3, v40
	v_fmac_f32_e32 v3, v4, v39
	s_waitcnt vmcnt(21)
	v_mul_f32_e32 v39, v8, v36
	s_waitcnt vmcnt(20)
	v_fma_f32 v39, v7, v35, -v39
	v_mul_f32_e32 v7, v7, v36
	v_sub_f32_e32 v4, v43, v47
	v_sub_f32_e32 v3, v44, v3
	buffer_load_dword v40, off, s[0:3], 0 offset:92
	buffer_load_dword v43, off, s[0:3], 0 offset:88
	v_fmac_f32_e32 v7, v8, v35
	v_sub_f32_e32 v3, v3, v7
	s_waitcnt vmcnt(21)
	v_mul_f32_e32 v7, v12, v32
	s_waitcnt vmcnt(20)
	v_fma_f32 v7, v11, v31, -v7
	buffer_load_dword v8, off, s[0:3], 0 offset:100
	buffer_load_dword v35, off, s[0:3], 0 offset:96
	v_mul_f32_e32 v11, v11, v32
	v_fmac_f32_e32 v11, v12, v31
	v_sub_f32_e32 v3, v3, v11
	buffer_load_dword v11, off, s[0:3], 0 offset:108
	buffer_load_dword v12, off, s[0:3], 0 offset:104
	v_sub_f32_e32 v4, v4, v39
	v_sub_f32_e32 v4, v4, v7
	s_waitcnt vmcnt(23)
	v_mul_f32_e32 v7, v16, v24
	s_waitcnt vmcnt(22)
	v_fma_f32 v7, v15, v23, -v7
	v_mul_f32_e32 v15, v15, v24
	v_fmac_f32_e32 v15, v16, v23
	v_sub_f32_e32 v3, v3, v15
	buffer_load_dword v15, off, s[0:3], 0 offset:116
	buffer_load_dword v16, off, s[0:3], 0 offset:112
	v_sub_f32_e32 v4, v4, v7
	s_waitcnt vmcnt(23)
	v_mul_f32_e32 v7, v22, v20
	s_waitcnt vmcnt(22)
	v_fma_f32 v7, v21, v19, -v7
	v_mul_f32_e32 v20, v21, v20
	v_fmac_f32_e32 v20, v22, v19
	v_sub_f32_e32 v4, v4, v7
	buffer_load_dword v7, off, s[0:3], 0 offset:124
	buffer_load_dword v19, off, s[0:3], 0 offset:120
	v_sub_f32_e32 v3, v3, v20
	s_waitcnt vmcnt(23)
	v_mul_f32_e32 v20, v26, v14
	v_mul_f32_e32 v21, v25, v14
	s_waitcnt vmcnt(22)
	v_fma_f32 v20, v25, v13, -v20
	v_fmac_f32_e32 v21, v26, v13
	buffer_load_dword v13, off, s[0:3], 0 offset:132
	buffer_load_dword v14, off, s[0:3], 0 offset:128
	v_sub_f32_e32 v4, v4, v20
	v_sub_f32_e32 v3, v3, v21
	s_waitcnt vmcnt(23)
	v_mul_f32_e32 v20, v18, v10
	v_mul_f32_e32 v10, v17, v10
	s_waitcnt vmcnt(22)
	v_fma_f32 v20, v17, v9, -v20
	v_fmac_f32_e32 v10, v18, v9
	buffer_load_dword v9, off, s[0:3], 0 offset:140
	buffer_load_dword v17, off, s[0:3], 0 offset:136
	v_sub_f32_e32 v3, v3, v10
	v_sub_f32_e32 v4, v4, v20
	s_waitcnt vmcnt(23)
	v_mul_f32_e32 v10, v82, v2
	v_mul_f32_e32 v2, v81, v2
	s_waitcnt vmcnt(22)
	v_fma_f32 v10, v81, v1, -v10
	v_fmac_f32_e32 v2, v82, v1
	v_sub_f32_e32 v1, v4, v10
	v_sub_f32_e32 v2, v3, v2
	buffer_load_dword v3, off, s[0:3], 0 offset:148
	buffer_load_dword v4, off, s[0:3], 0 offset:144
	s_waitcnt vmcnt(23)
	v_mul_f32_e32 v10, v54, v52
	v_mul_f32_e32 v18, v53, v52
	s_waitcnt vmcnt(22)
	v_fma_f32 v10, v53, v57, -v10
	v_fmac_f32_e32 v18, v54, v57
	v_sub_f32_e32 v1, v1, v10
	v_sub_f32_e32 v2, v2, v18
	buffer_load_dword v10, off, s[0:3], 0 offset:156
	buffer_load_dword v18, off, s[0:3], 0 offset:152
	;; [unrolled: 10-line block ×3, first 2 shown]
	s_waitcnt vmcnt(21)
	v_mul_f32_e32 v22, v46, v58
	s_waitcnt vmcnt(20)
	v_fma_f32 v22, v45, v71, -v22
	buffer_load_dword v24, off, s[0:3], 0 offset:172
	v_sub_f32_e32 v1, v1, v22
	buffer_load_dword v22, off, s[0:3], 0 offset:168
	v_mul_f32_e32 v23, v45, v58
	v_fmac_f32_e32 v23, v46, v71
	v_sub_f32_e32 v2, v2, v23
	s_waitcnt vmcnt(21)
	v_mul_f32_e32 v23, v42, v40
	s_waitcnt vmcnt(20)
	v_fma_f32 v23, v41, v43, -v23
	v_mul_f32_e32 v25, v41, v40
	buffer_load_dword v26, off, s[0:3], 0 offset:180
	buffer_load_dword v31, off, s[0:3], 0 offset:176
	v_fmac_f32_e32 v25, v42, v43
	v_sub_f32_e32 v1, v1, v23
	s_waitcnt vmcnt(21)
	v_mul_f32_e32 v23, v38, v8
	v_mul_f32_e32 v8, v37, v8
	v_sub_f32_e32 v2, v2, v25
	s_waitcnt vmcnt(20)
	v_fmac_f32_e32 v8, v38, v35
	buffer_load_dword v25, off, s[0:3], 0 offset:188
	buffer_load_dword v32, off, s[0:3], 0 offset:184
	v_fma_f32 v23, v37, v35, -v23
	v_sub_f32_e32 v2, v2, v8
	s_waitcnt vmcnt(21)
	v_mul_f32_e32 v8, v34, v11
	v_mul_f32_e32 v11, v33, v11
	v_sub_f32_e32 v1, v1, v23
	s_waitcnt vmcnt(20)
	v_fma_f32 v8, v33, v12, -v8
	v_fmac_f32_e32 v11, v34, v12
	buffer_load_dword v12, off, s[0:3], 0 offset:196
	buffer_load_dword v23, off, s[0:3], 0 offset:192
	v_sub_f32_e32 v2, v2, v11
	v_sub_f32_e32 v1, v1, v8
	s_waitcnt vmcnt(21)
	v_mul_f32_e32 v11, v27, v15
	s_waitcnt vmcnt(20)
	v_fmac_f32_e32 v11, v28, v16
	v_mul_f32_e32 v8, v28, v15
	v_sub_f32_e32 v2, v2, v11
	buffer_load_dword v11, off, s[0:3], 0 offset:4
	v_fma_f32 v8, v27, v16, -v8
	buffer_load_dword v15, off, s[0:3], 0
	v_sub_f32_e32 v1, v1, v8
	s_waitcnt vmcnt(21)
	v_mul_f32_e32 v8, v30, v7
	v_mul_f32_e32 v7, v29, v7
	s_waitcnt vmcnt(20)
	v_fma_f32 v8, v29, v19, -v8
	v_fmac_f32_e32 v7, v30, v19
	v_sub_f32_e32 v1, v1, v8
	v_sub_f32_e32 v2, v2, v7
	buffer_load_dword v16, off, s[0:3], 0 offset:208
	s_waitcnt vmcnt(20)
	v_mul_f32_e32 v7, v60, v13
	v_mul_f32_e32 v8, v59, v13
	s_waitcnt vmcnt(19)
	v_fma_f32 v7, v59, v14, -v7
	v_fmac_f32_e32 v8, v60, v14
	v_sub_f32_e32 v1, v1, v7
	v_sub_f32_e32 v2, v2, v8
	s_waitcnt vmcnt(18)
	v_mul_f32_e32 v7, v56, v9
	v_mul_f32_e32 v8, v55, v9
	s_waitcnt vmcnt(17)
	v_fma_f32 v7, v55, v17, -v7
	buffer_load_dword v9, off, s[0:3], 0 offset:212
	v_fmac_f32_e32 v8, v56, v17
	buffer_load_dword v17, off, s[0:3], 0 offset:12
	buffer_load_dword v19, off, s[0:3], 0 offset:8
	v_sub_f32_e32 v1, v1, v7
	v_sub_f32_e32 v2, v2, v8
	buffer_load_dword v27, off, s[0:3], 0 offset:20
	buffer_load_dword v28, off, s[0:3], 0 offset:16
	s_waitcnt vmcnt(21)
	v_mul_f32_e32 v7, v62, v3
	v_mul_f32_e32 v3, v61, v3
	s_waitcnt vmcnt(20)
	v_fmac_f32_e32 v3, v62, v4
	v_fma_f32 v7, v61, v4, -v7
	v_sub_f32_e32 v2, v2, v3
	v_sub_f32_e32 v1, v1, v7
	s_waitcnt vmcnt(19)
	v_mul_f32_e32 v3, v64, v10
	v_mul_f32_e32 v4, v63, v10
	s_waitcnt vmcnt(18)
	v_fma_f32 v3, v63, v18, -v3
	v_fmac_f32_e32 v4, v64, v18
	buffer_load_dword v10, off, s[0:3], 0 offset:28
	buffer_load_dword v18, off, s[0:3], 0 offset:24
	v_sub_f32_e32 v1, v1, v3
	v_sub_f32_e32 v2, v2, v4
	s_waitcnt vmcnt(19)
	v_mul_f32_e32 v3, v66, v20
	v_mul_f32_e32 v4, v65, v20
	s_waitcnt vmcnt(18)
	v_fma_f32 v3, v65, v21, -v3
	v_fmac_f32_e32 v4, v66, v21
	buffer_load_dword v20, off, s[0:3], 0 offset:36
	buffer_load_dword v21, off, s[0:3], 0 offset:32
	;; [unrolled: 10-line block ×3, first 2 shown]
	v_sub_f32_e32 v1, v1, v3
	s_waitcnt vmcnt(19)
	v_mul_f32_e32 v3, v70, v26
	v_sub_f32_e32 v2, v2, v4
	s_waitcnt vmcnt(18)
	v_fma_f32 v3, v69, v31, -v3
	v_mul_f32_e32 v4, v69, v26
	v_fmac_f32_e32 v4, v70, v31
	v_sub_f32_e32 v1, v1, v3
	s_waitcnt vmcnt(17)
	v_mul_f32_e32 v3, v74, v25
	v_sub_f32_e32 v2, v2, v4
	s_waitcnt vmcnt(16)
	v_fma_f32 v3, v73, v32, -v3
	v_mul_f32_e32 v4, v73, v25
	buffer_load_dword v25, off, s[0:3], 0 offset:52
	buffer_load_dword v26, off, s[0:3], 0 offset:48
	v_fmac_f32_e32 v4, v74, v32
	v_sub_f32_e32 v7, v1, v3
	v_sub_f32_e32 v8, v2, v4
	s_waitcnt vmcnt(17)
	v_mul_f32_e32 v1, v78, v12
	s_waitcnt vmcnt(16)
	v_fma_f32 v29, v77, v23, -v1
	buffer_load_dword v30, off, s[0:3], 0 offset:60
	buffer_load_dword v31, off, s[0:3], 0 offset:56
	ds_read2_b64 v[1:4], v228 offset0:132 offset1:198
	v_mul_f32_e32 v12, v77, v12
	v_fmac_f32_e32 v12, v78, v23
	v_sub_f32_e32 v23, v7, v29
	v_sub_f32_e32 v8, v8, v12
	buffer_load_dword v12, off, s[0:3], 0 offset:68
	buffer_load_dword v29, off, s[0:3], 0 offset:64
	s_waitcnt lgkmcnt(0)
	v_mul_f32_e32 v7, v4, v8
	v_fma_f32 v7, v3, v23, -v7
	v_mul_f32_e32 v8, v3, v8
	ds_read_b128 v[63:66], v228 offset:7968
	v_fmac_f32_e32 v8, v4, v23
	buffer_store_dword v7, off, s[0:3], 0 offset:200
	buffer_store_dword v8, off, s[0:3], 0 offset:204
	buffer_load_dword v23, off, s[0:3], 0 offset:76
	buffer_load_dword v32, off, s[0:3], 0 offset:72
	s_waitcnt vmcnt(23) lgkmcnt(0)
	v_mul_f32_e32 v3, v66, v11
	v_mul_f32_e32 v4, v65, v11
	s_waitcnt vmcnt(22)
	v_fma_f32 v3, v65, v15, -v3
	v_fmac_f32_e32 v4, v66, v15
	ds_read_b128 v[65:68], v228 offset:7712
	buffer_load_dword v11, off, s[0:3], 0 offset:84
	buffer_load_dword v15, off, s[0:3], 0 offset:80
	ds_write2_b64 v227, v[7:8], v[5:6] offset0:192 offset1:224
	s_waitcnt vmcnt(23)
	v_sub_f32_e32 v3, v16, v3
	s_waitcnt vmcnt(22)
	v_sub_f32_e32 v4, v9, v4
	s_waitcnt vmcnt(21) lgkmcnt(1)
	v_mul_f32_e32 v5, v68, v17
	v_mul_f32_e32 v6, v67, v17
	s_waitcnt vmcnt(20)
	v_fma_f32 v5, v67, v19, -v5
	v_fmac_f32_e32 v6, v68, v19
	ds_read_b128 v[67:70], v228 offset:7456
	buffer_load_dword v16, off, s[0:3], 0 offset:92
	buffer_load_dword v17, off, s[0:3], 0 offset:88
	ds_read_b128 v[73:76], v228 offset:7200
	buffer_load_dword v19, off, s[0:3], 0 offset:100
	buffer_load_dword v35, off, s[0:3], 0 offset:96
	v_sub_f32_e32 v3, v3, v5
	v_sub_f32_e32 v4, v4, v6
	s_waitcnt vmcnt(23) lgkmcnt(1)
	v_mul_f32_e32 v5, v70, v27
	v_mul_f32_e32 v6, v69, v27
	s_waitcnt vmcnt(22)
	v_fma_f32 v5, v69, v28, -v5
	v_fmac_f32_e32 v6, v70, v28
	v_sub_f32_e32 v3, v3, v5
	v_sub_f32_e32 v4, v4, v6
	s_waitcnt vmcnt(21) lgkmcnt(0)
	v_mul_f32_e32 v5, v76, v10
	v_mul_f32_e32 v6, v75, v10
	s_waitcnt vmcnt(20)
	v_fma_f32 v5, v75, v18, -v5
	v_fmac_f32_e32 v6, v76, v18
	ds_read_b128 v[75:78], v228 offset:6944
	buffer_load_dword v18, off, s[0:3], 0 offset:108
	buffer_load_dword v36, off, s[0:3], 0 offset:104
	v_sub_f32_e32 v3, v3, v5
	v_sub_f32_e32 v4, v4, v6
	s_waitcnt vmcnt(21) lgkmcnt(0)
	v_mul_f32_e32 v5, v78, v20
	v_mul_f32_e32 v6, v77, v20
	s_waitcnt vmcnt(20)
	v_fma_f32 v5, v77, v21, -v5
	v_fmac_f32_e32 v6, v78, v21
	ds_read_b128 v[77:80], v228 offset:6688
	buffer_load_dword v37, off, s[0:3], 0 offset:116
	buffer_load_dword v38, off, s[0:3], 0 offset:112
	;; [unrolled: 11-line block ×3, first 2 shown]
	ds_read_b128 v[83:86], v228 offset:6176
	ds_read_b128 v[69:72], v228 offset:5920
	buffer_load_dword v41, off, s[0:3], 0 offset:140
	buffer_load_dword v42, off, s[0:3], 0 offset:136
	v_sub_f32_e32 v3, v3, v5
	s_waitcnt vmcnt(23) lgkmcnt(2)
	v_mul_f32_e32 v5, v82, v25
	v_sub_f32_e32 v4, v4, v6
	s_waitcnt vmcnt(22)
	v_fma_f32 v5, v81, v26, -v5
	v_mul_f32_e32 v6, v81, v25
	v_fmac_f32_e32 v6, v82, v26
	v_sub_f32_e32 v3, v3, v5
	s_waitcnt vmcnt(21) lgkmcnt(1)
	v_mul_f32_e32 v5, v86, v30
	v_sub_f32_e32 v4, v4, v6
	s_waitcnt vmcnt(20)
	v_fma_f32 v5, v85, v31, -v5
	v_mul_f32_e32 v6, v85, v30
	v_fmac_f32_e32 v6, v86, v31
	v_sub_f32_e32 v7, v3, v5
	s_waitcnt vmcnt(19) lgkmcnt(0)
	v_mul_f32_e32 v3, v72, v12
	v_sub_f32_e32 v8, v4, v6
	s_waitcnt vmcnt(18)
	v_fma_f32 v9, v71, v29, -v3
	ds_read_b128 v[3:6], v228 offset:5664
	v_mul_f32_e32 v10, v71, v12
	v_fmac_f32_e32 v10, v72, v29
	v_sub_f32_e32 v12, v7, v9
	buffer_load_dword v43, off, s[0:3], 0 offset:148
	buffer_load_dword v44, off, s[0:3], 0 offset:144
	s_waitcnt vmcnt(17) lgkmcnt(0)
	v_mul_f32_e32 v7, v6, v23
	v_sub_f32_e32 v20, v8, v10
	s_waitcnt vmcnt(16)
	v_fma_f32 v21, v5, v32, -v7
	ds_read_b128 v[7:10], v228 offset:5408
	v_mul_f32_e32 v5, v5, v23
	buffer_load_dword v45, off, s[0:3], 0 offset:156
	buffer_load_dword v46, off, s[0:3], 0 offset:152
	v_fmac_f32_e32 v5, v6, v32
	ds_read_b128 v[31:34], v228 offset:5152
	v_sub_f32_e32 v6, v12, v21
	s_waitcnt vmcnt(17) lgkmcnt(1)
	v_mul_f32_e32 v12, v10, v11
	ds_read_b128 v[27:30], v228 offset:4896
	buffer_load_dword v47, off, s[0:3], 0 offset:164
	buffer_load_dword v48, off, s[0:3], 0 offset:160
	s_waitcnt vmcnt(18)
	v_fma_f32 v12, v9, v15, -v12
	v_mul_f32_e32 v9, v9, v11
	v_sub_f32_e32 v5, v20, v5
	v_fmac_f32_e32 v9, v10, v15
	v_sub_f32_e32 v5, v5, v9
	v_sub_f32_e32 v6, v6, v12
	ds_read_b128 v[23:26], v228 offset:4640
	s_waitcnt vmcnt(17) lgkmcnt(2)
	v_mul_f32_e32 v9, v34, v16
	v_mul_f32_e32 v10, v33, v16
	s_waitcnt vmcnt(16)
	v_fma_f32 v9, v33, v17, -v9
	v_fmac_f32_e32 v10, v34, v17
	v_sub_f32_e32 v6, v6, v9
	v_sub_f32_e32 v5, v5, v10
	s_waitcnt vmcnt(15) lgkmcnt(1)
	v_mul_f32_e32 v9, v30, v19
	v_mul_f32_e32 v10, v29, v19
	s_waitcnt vmcnt(14)
	v_fma_f32 v9, v29, v35, -v9
	v_fmac_f32_e32 v10, v30, v35
	buffer_load_dword v29, off, s[0:3], 0 offset:172
	buffer_load_dword v30, off, s[0:3], 0 offset:168
	v_sub_f32_e32 v6, v6, v9
	v_sub_f32_e32 v5, v5, v10
	ds_read_b128 v[19:22], v228 offset:4384
	s_waitcnt vmcnt(15) lgkmcnt(1)
	v_mul_f32_e32 v9, v26, v18
	v_mul_f32_e32 v10, v25, v18
	s_waitcnt vmcnt(14)
	v_fma_f32 v9, v25, v36, -v9
	v_fmac_f32_e32 v10, v26, v36
	buffer_load_dword v25, off, s[0:3], 0 offset:180
	buffer_load_dword v26, off, s[0:3], 0 offset:176
	ds_read_b128 v[15:18], v228 offset:4128
	v_sub_f32_e32 v6, v6, v9
	v_sub_f32_e32 v5, v5, v10
	s_waitcnt vmcnt(15) lgkmcnt(1)
	v_mul_f32_e32 v9, v22, v37
	s_waitcnt vmcnt(14)
	v_fma_f32 v9, v21, v38, -v9
	v_mul_f32_e32 v10, v21, v37
	v_fmac_f32_e32 v10, v22, v38
	v_sub_f32_e32 v6, v6, v9
	buffer_load_dword v21, off, s[0:3], 0 offset:188
	buffer_load_dword v22, off, s[0:3], 0 offset:184
	v_sub_f32_e32 v5, v5, v10
	s_waitcnt vmcnt(15) lgkmcnt(0)
	v_mul_f32_e32 v9, v18, v39
	s_waitcnt vmcnt(14)
	v_fma_f32 v33, v17, v40, -v9
	ds_read_b128 v[9:12], v228 offset:3872
	v_mul_f32_e32 v17, v17, v39
	v_fmac_f32_e32 v17, v18, v40
	v_sub_f32_e32 v6, v6, v33
	v_sub_f32_e32 v5, v5, v17
	s_waitcnt lgkmcnt(0)
	v_mul_f32_e32 v17, v12, v13
	v_mul_f32_e32 v33, v11, v13
	buffer_load_dword v18, off, s[0:3], 0 offset:196
	buffer_load_dword v59, off, s[0:3], 0 offset:192
	v_fma_f32 v17, v11, v14, -v17
	v_fmac_f32_e32 v33, v12, v14
	ds_read_b128 v[11:14], v228 offset:3616
	buffer_load_dword v71, off, s[0:3], 0 offset:204
	buffer_load_dword v72, off, s[0:3], 0 offset:200
	v_sub_f32_e32 v6, v6, v17
	v_sub_f32_e32 v5, v5, v33
	buffer_store_dword v5, off, s[0:3], 0 offset:212
	s_waitcnt vmcnt(18) lgkmcnt(0)
	v_mul_f32_e32 v17, v14, v41
	s_waitcnt vmcnt(17)
	v_fma_f32 v17, v13, v42, -v17
	v_sub_f32_e32 v6, v6, v17
	buffer_store_dword v6, off, s[0:3], 0 offset:208
	ds_read_b128 v[37:40], v228 offset:3360
	ds_read_b128 v[33:36], v228 offset:3104
	buffer_load_dword v17, off, s[0:3], 0 offset:4
	buffer_load_dword v81, off, s[0:3], 0
	buffer_load_dword v82, off, s[0:3], 0 offset:216
	buffer_load_dword v85, off, s[0:3], 0 offset:220
	;; [unrolled: 1-line block ×4, first 2 shown]
	v_mul_f32_e32 v13, v13, v41
	v_fmac_f32_e32 v13, v14, v42
	v_sub_f32_e32 v5, v5, v13
	s_waitcnt vmcnt(23) lgkmcnt(1)
	v_mul_f32_e32 v13, v40, v43
	v_mul_f32_e32 v14, v39, v43
	s_waitcnt vmcnt(22)
	v_fma_f32 v13, v39, v44, -v13
	v_fmac_f32_e32 v14, v40, v44
	ds_read_b128 v[39:42], v228 offset:2848
	v_sub_f32_e32 v6, v6, v13
	v_sub_f32_e32 v5, v5, v14
	s_waitcnt vmcnt(21) lgkmcnt(1)
	v_mul_f32_e32 v13, v36, v45
	v_mul_f32_e32 v14, v35, v45
	s_waitcnt vmcnt(20)
	v_fma_f32 v13, v35, v46, -v13
	v_fmac_f32_e32 v14, v36, v46
	buffer_load_dword v35, off, s[0:3], 0 offset:20
	buffer_load_dword v36, off, s[0:3], 0 offset:16
	v_sub_f32_e32 v6, v6, v13
	v_sub_f32_e32 v5, v5, v14
	s_waitcnt vmcnt(21) lgkmcnt(0)
	v_mul_f32_e32 v13, v42, v47
	v_mul_f32_e32 v14, v41, v47
	s_waitcnt vmcnt(20)
	v_fma_f32 v13, v41, v48, -v13
	v_fmac_f32_e32 v14, v42, v48
	ds_read_b128 v[41:44], v228 offset:2592
	buffer_load_dword v88, off, s[0:3], 0 offset:28
	buffer_load_dword v89, off, s[0:3], 0 offset:24
	v_sub_f32_e32 v6, v6, v13
	v_sub_f32_e32 v5, v5, v14
	s_waitcnt vmcnt(21) lgkmcnt(0)
	v_mul_f32_e32 v13, v44, v29
	v_mul_f32_e32 v14, v43, v29
	s_waitcnt vmcnt(20)
	v_fma_f32 v13, v43, v30, -v13
	v_fmac_f32_e32 v14, v44, v30
	ds_read_b128 v[43:46], v228 offset:2336
	buffer_load_dword v90, off, s[0:3], 0 offset:36
	buffer_load_dword v91, off, s[0:3], 0 offset:32
	v_sub_f32_e32 v6, v6, v13
	v_sub_f32_e32 v5, v5, v14
	ds_read_b128 v[47:50], v228 offset:2080
	s_waitcnt vmcnt(21) lgkmcnt(1)
	v_mul_f32_e32 v13, v46, v25
	s_waitcnt vmcnt(20)
	v_fma_f32 v13, v45, v26, -v13
	v_mul_f32_e32 v14, v45, v25
	buffer_load_dword v45, off, s[0:3], 0 offset:44
	buffer_load_dword v92, off, s[0:3], 0 offset:40
	ds_read_b128 v[51:54], v228 offset:1824
	buffer_load_dword v93, off, s[0:3], 0 offset:52
	buffer_load_dword v94, off, s[0:3], 0 offset:48
	v_fmac_f32_e32 v14, v46, v26
	v_sub_f32_e32 v6, v6, v13
	v_sub_f32_e32 v5, v5, v14
	ds_read_b128 v[55:58], v228 offset:1568
	s_waitcnt vmcnt(23) lgkmcnt(2)
	v_mul_f32_e32 v13, v50, v21
	v_mul_f32_e32 v14, v49, v21
	s_waitcnt vmcnt(22)
	v_fma_f32 v13, v49, v22, -v13
	v_fmac_f32_e32 v14, v50, v22
	v_sub_f32_e32 v6, v6, v13
	v_sub_f32_e32 v5, v5, v14
	buffer_load_dword v95, off, s[0:3], 0 offset:60
	buffer_load_dword v96, off, s[0:3], 0 offset:56
	s_waitcnt vmcnt(23) lgkmcnt(1)
	v_mul_f32_e32 v13, v54, v18
	v_mul_f32_e32 v14, v53, v18
	s_waitcnt vmcnt(22)
	v_fma_f32 v13, v53, v59, -v13
	v_fmac_f32_e32 v14, v54, v59
	ds_read_b128 v[59:62], v228 offset:1312
	v_sub_f32_e32 v6, v6, v13
	v_sub_f32_e32 v5, v5, v14
	s_waitcnt vmcnt(21) lgkmcnt(1)
	v_mul_f32_e32 v13, v58, v71
	v_mul_f32_e32 v14, v57, v71
	s_waitcnt vmcnt(20)
	v_fma_f32 v13, v57, v72, -v13
	v_fmac_f32_e32 v14, v58, v72
	buffer_load_dword v97, off, s[0:3], 0 offset:68
	buffer_load_dword v98, off, s[0:3], 0 offset:64
	v_sub_f32_e32 v13, v6, v13
	v_sub_f32_e32 v6, v5, v14
	s_waitcnt lgkmcnt(0)
	v_mul_f32_e32 v5, v62, v6
	v_fma_f32 v5, v61, v13, -v5
	buffer_load_dword v54, off, s[0:3], 0 offset:76
	buffer_load_dword v53, off, s[0:3], 0 offset:72
	v_mul_f32_e32 v6, v61, v6
	v_fmac_f32_e32 v6, v62, v13
	buffer_store_dword v5, off, s[0:3], 0 offset:208
	buffer_store_dword v6, off, s[0:3], 0 offset:212
	s_waitcnt vmcnt(23)
	v_mul_f32_e32 v13, v64, v17
	s_waitcnt vmcnt(22)
	v_fma_f32 v18, v63, v81, -v13
	buffer_load_dword v14, off, s[0:3], 0 offset:84
	buffer_load_dword v13, off, s[0:3], 0 offset:80
	v_mul_f32_e32 v17, v63, v17
	v_fmac_f32_e32 v17, v64, v81
	s_waitcnt vmcnt(22)
	v_sub_f32_e32 v22, v85, v17
	s_waitcnt vmcnt(21)
	v_mul_f32_e32 v17, v66, v86
	v_sub_f32_e32 v21, v82, v18
	s_waitcnt vmcnt(20)
	v_fma_f32 v25, v65, v87, -v17
	buffer_load_dword v18, off, s[0:3], 0 offset:92
	buffer_load_dword v17, off, s[0:3], 0 offset:88
	v_mul_f32_e32 v26, v65, v86
	v_fmac_f32_e32 v26, v66, v87
	v_sub_f32_e32 v25, v21, v25
	s_waitcnt vmcnt(21)
	v_mul_f32_e32 v21, v68, v35
	v_sub_f32_e32 v26, v22, v26
	s_waitcnt vmcnt(20)
	v_fma_f32 v29, v67, v36, -v21
	buffer_load_dword v22, off, s[0:3], 0 offset:100
	buffer_load_dword v21, off, s[0:3], 0 offset:96
	v_mul_f32_e32 v30, v67, v35
	v_fmac_f32_e32 v30, v68, v36
	;; [unrolled: 10-line block ×3, first 2 shown]
	v_sub_f32_e32 v35, v29, v35
	v_sub_f32_e32 v36, v30, v36
	s_waitcnt vmcnt(21)
	v_mul_f32_e32 v29, v76, v90
	s_waitcnt vmcnt(20)
	v_fma_f32 v46, v75, v91, -v29
	buffer_load_dword v30, off, s[0:3], 0 offset:116
	buffer_load_dword v29, off, s[0:3], 0 offset:112
	v_mul_f32_e32 v49, v75, v90
	v_fmac_f32_e32 v49, v76, v91
	v_sub_f32_e32 v46, v35, v46
	v_sub_f32_e32 v49, v36, v49
	s_waitcnt vmcnt(21)
	v_mul_f32_e32 v35, v78, v45
	s_waitcnt vmcnt(20)
	v_fma_f32 v50, v77, v92, -v35
	buffer_load_dword v36, off, s[0:3], 0 offset:124
	buffer_load_dword v35, off, s[0:3], 0 offset:120
	v_mul_f32_e32 v45, v77, v45
	v_fmac_f32_e32 v45, v78, v92
	v_sub_f32_e32 v49, v49, v45
	s_waitcnt vmcnt(21)
	v_mul_f32_e32 v45, v80, v93
	v_sub_f32_e32 v50, v46, v50
	s_waitcnt vmcnt(20)
	v_fma_f32 v57, v79, v94, -v45
	buffer_load_dword v46, off, s[0:3], 0 offset:132
	buffer_load_dword v45, off, s[0:3], 0 offset:128
	v_mul_f32_e32 v58, v79, v93
	v_fmac_f32_e32 v58, v80, v94
	v_sub_f32_e32 v57, v50, v57
	s_waitcnt vmcnt(21)
	v_mul_f32_e32 v62, v83, v95
	v_sub_f32_e32 v58, v49, v58
	buffer_load_dword v50, off, s[0:3], 0 offset:140
	buffer_load_dword v49, off, s[0:3], 0 offset:136
	v_mul_f32_e32 v61, v84, v95
	s_waitcnt vmcnt(22)
	v_fmac_f32_e32 v62, v84, v96
	v_fma_f32 v61, v83, v96, -v61
	v_sub_f32_e32 v58, v58, v62
	buffer_load_dword v63, off, s[0:3], 0 offset:148
	buffer_load_dword v64, off, s[0:3], 0 offset:144
	v_sub_f32_e32 v57, v57, v61
	buffer_load_dword v65, off, s[0:3], 0 offset:156
	s_waitcnt vmcnt(24)
	v_mul_f32_e32 v62, v69, v97
	v_mul_f32_e32 v61, v70, v97
	s_waitcnt vmcnt(23)
	v_fmac_f32_e32 v62, v70, v98
	v_fma_f32 v61, v69, v98, -v61
	v_sub_f32_e32 v58, v58, v62
	s_waitcnt vmcnt(22)
	v_mul_f32_e32 v62, v4, v54
	v_sub_f32_e32 v57, v57, v61
	buffer_load_dword v61, off, s[0:3], 0 offset:152
	s_waitcnt vmcnt(22)
	v_fma_f32 v62, v3, v53, -v62
	v_mul_f32_e32 v3, v3, v54
	v_fmac_f32_e32 v3, v4, v53
	v_sub_f32_e32 v4, v57, v62
	s_waitcnt vmcnt(19)
	v_mul_f32_e32 v57, v8, v14
	buffer_load_dword v53, off, s[0:3], 0 offset:164
	buffer_load_dword v54, off, s[0:3], 0 offset:160
	s_waitcnt vmcnt(20)
	v_fma_f32 v57, v7, v13, -v57
	v_mul_f32_e32 v7, v7, v14
	v_sub_f32_e32 v3, v58, v3
	v_fmac_f32_e32 v7, v8, v13
	v_sub_f32_e32 v3, v3, v7
	buffer_load_dword v7, off, s[0:3], 0 offset:172
	buffer_load_dword v8, off, s[0:3], 0 offset:168
	s_waitcnt vmcnt(21)
	v_mul_f32_e32 v13, v32, v18
	v_mul_f32_e32 v14, v31, v18
	v_sub_f32_e32 v4, v4, v57
	s_waitcnt vmcnt(20)
	v_fma_f32 v13, v31, v17, -v13
	v_fmac_f32_e32 v14, v32, v17
	v_sub_f32_e32 v4, v4, v13
	v_sub_f32_e32 v3, v3, v14
	buffer_load_dword v13, off, s[0:3], 0 offset:180
	buffer_load_dword v14, off, s[0:3], 0 offset:176
	s_waitcnt vmcnt(21)
	v_mul_f32_e32 v17, v28, v22
	v_mul_f32_e32 v18, v27, v22
	s_waitcnt vmcnt(20)
	v_fma_f32 v17, v27, v21, -v17
	v_fmac_f32_e32 v18, v28, v21
	v_sub_f32_e32 v4, v4, v17
	v_sub_f32_e32 v3, v3, v18
	buffer_load_dword v17, off, s[0:3], 0 offset:188
	buffer_load_dword v18, off, s[0:3], 0 offset:184
	s_waitcnt vmcnt(21)
	v_mul_f32_e32 v21, v24, v26
	s_waitcnt vmcnt(20)
	v_fma_f32 v21, v23, v25, -v21
	v_mul_f32_e32 v22, v23, v26
	buffer_load_dword v23, off, s[0:3], 0 offset:196
	v_fmac_f32_e32 v22, v24, v25
	v_sub_f32_e32 v4, v4, v21
	v_sub_f32_e32 v3, v3, v22
	buffer_load_dword v21, off, s[0:3], 0 offset:192
	s_waitcnt vmcnt(21)
	v_mul_f32_e32 v22, v20, v30
	s_waitcnt vmcnt(20)
	v_fma_f32 v22, v19, v29, -v22
	v_mul_f32_e32 v19, v19, v30
	v_fmac_f32_e32 v19, v20, v29
	buffer_load_dword v20, off, s[0:3], 0 offset:204
	buffer_load_dword v24, off, s[0:3], 0 offset:200
	v_sub_f32_e32 v3, v3, v19
	v_sub_f32_e32 v4, v4, v22
	s_waitcnt vmcnt(21)
	v_mul_f32_e32 v19, v16, v36
	s_waitcnt vmcnt(20)
	v_fma_f32 v19, v15, v35, -v19
	v_mul_f32_e32 v15, v15, v36
	v_fmac_f32_e32 v15, v16, v35
	buffer_load_dword v16, off, s[0:3], 0 offset:212
	buffer_load_dword v22, off, s[0:3], 0 offset:208
	v_sub_f32_e32 v3, v3, v15
	v_sub_f32_e32 v4, v4, v19
	s_waitcnt vmcnt(21)
	v_mul_f32_e32 v15, v10, v46
	s_waitcnt vmcnt(20)
	v_fma_f32 v15, v9, v45, -v15
	v_sub_f32_e32 v4, v4, v15
	buffer_load_dword v15, off, s[0:3], 0 offset:4
	buffer_load_dword v19, off, s[0:3], 0
	buffer_load_dword v25, off, s[0:3], 0 offset:224
	buffer_load_dword v26, off, s[0:3], 0 offset:228
	;; [unrolled: 1-line block ×4, first 2 shown]
	v_mul_f32_e32 v9, v9, v46
	v_fmac_f32_e32 v9, v10, v45
	v_sub_f32_e32 v3, v3, v9
	s_waitcnt vmcnt(25)
	v_mul_f32_e32 v9, v12, v50
	s_waitcnt vmcnt(24)
	v_fma_f32 v9, v11, v49, -v9
	v_sub_f32_e32 v4, v4, v9
	s_waitcnt vmcnt(23)
	v_mul_f32_e32 v9, v38, v63
	buffer_load_dword v29, off, s[0:3], 0 offset:20
	buffer_load_dword v30, off, s[0:3], 0 offset:16
	s_waitcnt vmcnt(24)
	v_fma_f32 v9, v37, v64, -v9
	v_mul_f32_e32 v10, v11, v50
	v_sub_f32_e32 v4, v4, v9
	s_waitcnt vmcnt(23)
	v_mul_f32_e32 v9, v34, v65
	v_fmac_f32_e32 v10, v12, v49
	v_sub_f32_e32 v3, v3, v10
	v_mul_f32_e32 v10, v37, v63
	v_fmac_f32_e32 v10, v38, v64
	v_sub_f32_e32 v3, v3, v10
	v_mul_f32_e32 v10, v33, v65
	s_waitcnt vmcnt(22)
	v_fma_f32 v9, v33, v61, -v9
	v_sub_f32_e32 v4, v4, v9
	v_fmac_f32_e32 v10, v34, v61
	v_sub_f32_e32 v3, v3, v10
	s_waitcnt vmcnt(21)
	v_mul_f32_e32 v9, v40, v53
	s_waitcnt vmcnt(20)
	v_fma_f32 v9, v39, v54, -v9
	v_sub_f32_e32 v4, v4, v9
	v_mul_f32_e32 v10, v39, v53
	v_fmac_f32_e32 v10, v40, v54
	v_sub_f32_e32 v3, v3, v10
	s_waitcnt vmcnt(19)
	v_mul_f32_e32 v9, v42, v7
	v_mul_f32_e32 v7, v41, v7
	s_waitcnt vmcnt(18)
	v_fma_f32 v9, v41, v8, -v9
	v_fmac_f32_e32 v7, v42, v8
	buffer_load_dword v8, off, s[0:3], 0 offset:28
	buffer_load_dword v31, off, s[0:3], 0 offset:24
	v_sub_f32_e32 v3, v3, v7
	v_sub_f32_e32 v4, v4, v9
	s_waitcnt vmcnt(19)
	v_mul_f32_e32 v7, v44, v13
	s_waitcnt vmcnt(18)
	v_fma_f32 v7, v43, v14, -v7
	v_sub_f32_e32 v4, v4, v7
	buffer_load_dword v7, off, s[0:3], 0 offset:36
	buffer_load_dword v32, off, s[0:3], 0 offset:32
	;; [unrolled: 1-line block ×4, first 2 shown]
	v_mul_f32_e32 v9, v43, v13
	v_fmac_f32_e32 v9, v44, v14
	v_sub_f32_e32 v3, v3, v9
	s_waitcnt vmcnt(21)
	v_mul_f32_e32 v9, v48, v17
	v_mul_f32_e32 v10, v47, v17
	s_waitcnt vmcnt(20)
	v_fma_f32 v9, v47, v18, -v9
	v_fmac_f32_e32 v10, v48, v18
	v_sub_f32_e32 v4, v4, v9
	v_sub_f32_e32 v3, v3, v10
	s_waitcnt vmcnt(19)
	v_mul_f32_e32 v9, v52, v23
	v_mul_f32_e32 v10, v51, v23
	buffer_load_dword v23, off, s[0:3], 0 offset:52
	buffer_load_dword v35, off, s[0:3], 0 offset:48
	s_waitcnt vmcnt(20)
	v_fma_f32 v9, v51, v21, -v9
	v_fmac_f32_e32 v10, v52, v21
	v_sub_f32_e32 v4, v4, v9
	v_sub_f32_e32 v3, v3, v10
	s_waitcnt vmcnt(19)
	v_mul_f32_e32 v9, v56, v20
	v_mul_f32_e32 v10, v55, v20
	s_waitcnt vmcnt(18)
	v_fma_f32 v9, v55, v24, -v9
	v_fmac_f32_e32 v10, v56, v24
	buffer_load_dword v24, off, s[0:3], 0 offset:60
	buffer_load_dword v36, off, s[0:3], 0 offset:56
	v_sub_f32_e32 v4, v4, v9
	v_sub_f32_e32 v3, v3, v10
	s_waitcnt vmcnt(19)
	v_mul_f32_e32 v9, v60, v16
	v_mul_f32_e32 v10, v59, v16
	s_waitcnt vmcnt(18)
	v_fma_f32 v9, v59, v22, -v9
	v_fmac_f32_e32 v10, v60, v22
	v_sub_f32_e32 v13, v4, v9
	v_sub_f32_e32 v4, v3, v10
	ds_read_b128 v[9:12], v228 offset:7952
	v_mul_f32_e32 v3, v2, v4
	v_mul_f32_e32 v4, v1, v4
	v_fma_f32 v3, v1, v13, -v3
	buffer_load_dword v1, off, s[0:3], 0 offset:68
	buffer_load_dword v47, off, s[0:3], 0 offset:64
	v_fmac_f32_e32 v4, v2, v13
	buffer_store_dword v3, off, s[0:3], 0 offset:216
	buffer_store_dword v4, off, s[0:3], 0 offset:220
	ds_write2_b64 v227, v[3:4], v[5:6] offset0:128 offset1:160
	buffer_load_dword v3, off, s[0:3], 0 offset:76
	buffer_load_dword v4, off, s[0:3], 0 offset:72
	s_waitcnt vmcnt(23) lgkmcnt(1)
	v_mul_f32_e32 v2, v12, v15
	v_mul_f32_e32 v5, v11, v15
	s_waitcnt vmcnt(22)
	v_fma_f32 v2, v11, v19, -v2
	v_fmac_f32_e32 v5, v12, v19
	ds_read_b128 v[11:14], v228 offset:7696
	buffer_load_dword v6, off, s[0:3], 0 offset:84
	buffer_load_dword v48, off, s[0:3], 0 offset:80
	;; [unrolled: 1-line block ×6, first 2 shown]
	s_waitcnt vmcnt(25) lgkmcnt(0)
	v_mul_f32_e32 v15, v14, v27
	s_waitcnt vmcnt(24)
	v_fma_f32 v19, v13, v28, -v15
	ds_read_b128 v[15:18], v228 offset:7440
	v_mul_f32_e32 v13, v13, v27
	v_sub_f32_e32 v5, v26, v5
	v_fmac_f32_e32 v13, v14, v28
	v_sub_f32_e32 v2, v25, v2
	v_sub_f32_e32 v5, v5, v13
	s_waitcnt vmcnt(23) lgkmcnt(0)
	v_mul_f32_e32 v13, v18, v29
	v_mul_f32_e32 v14, v17, v29
	v_sub_f32_e32 v2, v2, v19
	s_waitcnt vmcnt(22)
	v_fma_f32 v13, v17, v30, -v13
	v_fmac_f32_e32 v14, v18, v30
	ds_read_b128 v[17:20], v228 offset:7184
	v_sub_f32_e32 v2, v2, v13
	v_sub_f32_e32 v5, v5, v14
	s_waitcnt vmcnt(21) lgkmcnt(0)
	v_mul_f32_e32 v13, v20, v8
	v_mul_f32_e32 v8, v19, v8
	s_waitcnt vmcnt(20)
	v_fma_f32 v13, v19, v31, -v13
	v_fmac_f32_e32 v8, v20, v31
	ds_read_b128 v[19:22], v228 offset:6928
	buffer_load_dword v42, off, s[0:3], 0 offset:108
	buffer_load_dword v41, off, s[0:3], 0 offset:104
	ds_read_b128 v[25:28], v228 offset:6672
	buffer_load_dword v44, off, s[0:3], 0 offset:116
	buffer_load_dword v43, off, s[0:3], 0 offset:112
	v_sub_f32_e32 v5, v5, v8
	s_waitcnt vmcnt(23) lgkmcnt(1)
	v_mul_f32_e32 v8, v22, v7
	v_mul_f32_e32 v7, v21, v7
	v_sub_f32_e32 v2, v2, v13
	s_waitcnt vmcnt(22)
	v_fma_f32 v8, v21, v32, -v8
	v_fmac_f32_e32 v7, v22, v32
	v_sub_f32_e32 v2, v2, v8
	v_sub_f32_e32 v5, v5, v7
	s_waitcnt vmcnt(21) lgkmcnt(0)
	v_mul_f32_e32 v7, v28, v33
	v_mul_f32_e32 v8, v27, v33
	s_waitcnt vmcnt(20)
	v_fma_f32 v7, v27, v34, -v7
	v_fmac_f32_e32 v8, v28, v34
	ds_read_b128 v[27:30], v228 offset:6416
	buffer_load_dword v46, off, s[0:3], 0 offset:124
	buffer_load_dword v45, off, s[0:3], 0 offset:120
	v_sub_f32_e32 v2, v2, v7
	v_sub_f32_e32 v5, v5, v8
	s_waitcnt vmcnt(21) lgkmcnt(0)
	v_mul_f32_e32 v7, v30, v23
	v_mul_f32_e32 v8, v29, v23
	s_waitcnt vmcnt(20)
	v_fma_f32 v7, v29, v35, -v7
	v_fmac_f32_e32 v8, v30, v35
	ds_read_b128 v[29:32], v228 offset:6160
	buffer_load_dword v66, off, s[0:3], 0 offset:132
	buffer_load_dword v65, off, s[0:3], 0 offset:128
	v_sub_f32_e32 v2, v2, v7
	v_sub_f32_e32 v5, v5, v8
	s_waitcnt vmcnt(21) lgkmcnt(0)
	v_mul_f32_e32 v7, v32, v24
	v_mul_f32_e32 v8, v31, v24
	s_waitcnt vmcnt(20)
	v_fma_f32 v7, v31, v36, -v7
	v_fmac_f32_e32 v8, v32, v36
	ds_read_b128 v[31:34], v228 offset:5904
	buffer_load_dword v68, off, s[0:3], 0 offset:140
	buffer_load_dword v67, off, s[0:3], 0 offset:136
	ds_read_b128 v[35:38], v228 offset:5648
	ds_read_b128 v[21:24], v228 offset:5392
	v_sub_f32_e32 v2, v2, v7
	s_waitcnt vmcnt(21) lgkmcnt(2)
	v_mul_f32_e32 v7, v34, v1
	v_mul_f32_e32 v1, v33, v1
	v_sub_f32_e32 v5, v5, v8
	s_waitcnt vmcnt(20)
	v_fmac_f32_e32 v1, v34, v47
	v_sub_f32_e32 v1, v5, v1
	s_waitcnt vmcnt(17) lgkmcnt(1)
	v_mul_f32_e32 v5, v38, v3
	v_mul_f32_e32 v3, v37, v3
	v_fma_f32 v7, v33, v47, -v7
	s_waitcnt vmcnt(16)
	v_fmac_f32_e32 v3, v38, v4
	v_sub_f32_e32 v2, v2, v7
	v_fma_f32 v5, v37, v4, -v5
	v_sub_f32_e32 v7, v1, v3
	s_waitcnt vmcnt(15) lgkmcnt(0)
	v_mul_f32_e32 v1, v24, v6
	buffer_load_dword v14, off, s[0:3], 0 offset:156
	buffer_load_dword v13, off, s[0:3], 0 offset:152
	v_sub_f32_e32 v5, v2, v5
	s_waitcnt vmcnt(16)
	v_fma_f32 v8, v23, v48, -v1
	ds_read_b128 v[1:4], v228 offset:5136
	buffer_load_dword v33, off, s[0:3], 0 offset:164
	buffer_load_dword v34, off, s[0:3], 0 offset:160
	v_mul_f32_e32 v6, v23, v6
	v_fmac_f32_e32 v6, v24, v48
	v_sub_f32_e32 v23, v5, v8
	s_waitcnt vmcnt(17) lgkmcnt(0)
	v_mul_f32_e32 v5, v4, v49
	v_sub_f32_e32 v24, v7, v6
	s_waitcnt vmcnt(14)
	v_fma_f32 v37, v3, v50, -v5
	ds_read_b128 v[5:8], v228 offset:4880
	v_mul_f32_e32 v3, v3, v49
	v_fmac_f32_e32 v3, v4, v50
	v_sub_f32_e32 v4, v23, v37
	v_sub_f32_e32 v3, v24, v3
	s_waitcnt lgkmcnt(0)
	v_mul_f32_e32 v23, v8, v40
	buffer_load_dword v24, off, s[0:3], 0 offset:172
	v_fma_f32 v23, v7, v39, -v23
	v_mul_f32_e32 v7, v7, v40
	v_fmac_f32_e32 v7, v8, v39
	buffer_load_dword v8, off, s[0:3], 0 offset:168
	ds_read_b128 v[59:62], v228 offset:4624
	ds_read_b128 v[55:58], v228 offset:4368
	buffer_load_dword v71, off, s[0:3], 0 offset:180
	buffer_load_dword v72, off, s[0:3], 0 offset:176
	v_sub_f32_e32 v4, v4, v23
	v_sub_f32_e32 v3, v3, v7
	ds_read_b128 v[51:54], v228 offset:4112
	s_waitcnt vmcnt(17) lgkmcnt(2)
	v_mul_f32_e32 v7, v62, v42
	v_mul_f32_e32 v23, v61, v42
	s_waitcnt vmcnt(16)
	v_fma_f32 v7, v61, v41, -v7
	v_fmac_f32_e32 v23, v62, v41
	v_sub_f32_e32 v4, v4, v7
	v_sub_f32_e32 v3, v3, v23
	s_waitcnt vmcnt(15) lgkmcnt(1)
	v_mul_f32_e32 v7, v58, v44
	v_mul_f32_e32 v23, v57, v44
	s_waitcnt vmcnt(14)
	v_fma_f32 v7, v57, v43, -v7
	v_fmac_f32_e32 v23, v58, v43
	buffer_load_dword v57, off, s[0:3], 0 offset:188
	buffer_load_dword v58, off, s[0:3], 0 offset:184
	v_sub_f32_e32 v4, v4, v7
	v_sub_f32_e32 v3, v3, v23
	ds_read_b128 v[47:50], v228 offset:3856
	s_waitcnt vmcnt(15) lgkmcnt(1)
	v_mul_f32_e32 v7, v54, v46
	v_mul_f32_e32 v23, v53, v46
	s_waitcnt vmcnt(14)
	v_fma_f32 v7, v53, v45, -v7
	v_fmac_f32_e32 v23, v54, v45
	buffer_load_dword v53, off, s[0:3], 0 offset:196
	buffer_load_dword v54, off, s[0:3], 0 offset:192
	v_sub_f32_e32 v4, v4, v7
	v_sub_f32_e32 v3, v3, v23
	ds_read_b128 v[43:46], v228 offset:3600
	s_waitcnt vmcnt(15) lgkmcnt(1)
	v_mul_f32_e32 v7, v50, v66
	v_mul_f32_e32 v23, v49, v66
	s_waitcnt vmcnt(14)
	v_fma_f32 v7, v49, v65, -v7
	v_fmac_f32_e32 v23, v50, v65
	buffer_load_dword v49, off, s[0:3], 0 offset:204
	buffer_load_dword v50, off, s[0:3], 0 offset:200
	ds_read_b128 v[37:40], v228 offset:3344
	v_sub_f32_e32 v4, v4, v7
	v_sub_f32_e32 v3, v3, v23
	s_waitcnt vmcnt(15) lgkmcnt(1)
	v_mul_f32_e32 v7, v46, v68
	v_mul_f32_e32 v23, v45, v68
	s_waitcnt vmcnt(14)
	v_fma_f32 v7, v45, v67, -v7
	v_fmac_f32_e32 v23, v46, v67
	buffer_load_dword v45, off, s[0:3], 0 offset:212
	buffer_load_dword v46, off, s[0:3], 0 offset:208
	v_sub_f32_e32 v4, v4, v7
	v_sub_f32_e32 v3, v3, v23
	s_waitcnt lgkmcnt(0)
	v_mul_f32_e32 v7, v40, v63
	v_mul_f32_e32 v23, v39, v63
	v_fma_f32 v7, v39, v64, -v7
	v_fmac_f32_e32 v23, v40, v64
	ds_read_b128 v[39:42], v228 offset:3088
	ds_read_b128 v[61:64], v228 offset:2576
	buffer_load_dword v91, off, s[0:3], 0 offset:220
	v_sub_f32_e32 v4, v4, v7
	buffer_load_dword v7, off, s[0:3], 0 offset:216
	ds_read_b128 v[65:68], v228 offset:2832
	v_sub_f32_e32 v3, v3, v23
	s_waitcnt vmcnt(17) lgkmcnt(2)
	v_mul_f32_e32 v23, v42, v14
	s_waitcnt vmcnt(16)
	v_fma_f32 v23, v41, v13, -v23
	v_mul_f32_e32 v14, v41, v14
	v_sub_f32_e32 v4, v4, v23
	buffer_store_dword v3, off, s[0:3], 0 offset:228
	v_fmac_f32_e32 v14, v42, v13
	buffer_store_dword v4, off, s[0:3], 0 offset:224
	v_sub_f32_e32 v3, v3, v14
	s_waitcnt vmcnt(17) lgkmcnt(0)
	v_mul_f32_e32 v13, v68, v33
	v_mul_f32_e32 v14, v67, v33
	buffer_load_dword v23, off, s[0:3], 0 offset:4
	buffer_load_dword v33, off, s[0:3], 0
	s_waitcnt vmcnt(18)
	v_fmac_f32_e32 v14, v68, v34
	v_fma_f32 v13, v67, v34, -v13
	v_sub_f32_e32 v3, v3, v14
	buffer_load_dword v14, off, s[0:3], 0 offset:232
	buffer_load_dword v34, off, s[0:3], 0 offset:236
	buffer_load_dword v41, off, s[0:3], 0 offset:12
	buffer_load_dword v42, off, s[0:3], 0 offset:8
	v_sub_f32_e32 v4, v4, v13
	ds_read_b128 v[67:70], v228 offset:2320
	s_waitcnt vmcnt(21)
	v_mul_f32_e32 v13, v64, v24
	v_mul_f32_e32 v24, v63, v24
	s_waitcnt vmcnt(20)
	v_fma_f32 v13, v63, v8, -v13
	v_fmac_f32_e32 v24, v64, v8
	v_sub_f32_e32 v4, v4, v13
	v_sub_f32_e32 v3, v3, v24
	buffer_load_dword v13, off, s[0:3], 0 offset:20
	buffer_load_dword v24, off, s[0:3], 0 offset:16
	s_waitcnt vmcnt(21) lgkmcnt(0)
	v_mul_f32_e32 v8, v70, v71
	v_mul_f32_e32 v63, v69, v71
	s_waitcnt vmcnt(20)
	v_fma_f32 v8, v69, v72, -v8
	v_fmac_f32_e32 v63, v70, v72
	ds_read_b128 v[69:72], v228 offset:2064
	v_sub_f32_e32 v4, v4, v8
	buffer_load_dword v64, off, s[0:3], 0 offset:28
	buffer_load_dword v92, off, s[0:3], 0 offset:24
	v_sub_f32_e32 v3, v3, v63
	s_waitcnt vmcnt(21) lgkmcnt(0)
	v_mul_f32_e32 v8, v72, v57
	v_mul_f32_e32 v57, v71, v57
	s_waitcnt vmcnt(20)
	v_fma_f32 v8, v71, v58, -v8
	v_fmac_f32_e32 v57, v72, v58
	ds_read_b128 v[71:74], v228 offset:1808
	buffer_load_dword v58, off, s[0:3], 0 offset:36
	buffer_load_dword v63, off, s[0:3], 0 offset:32
	v_sub_f32_e32 v4, v4, v8
	v_sub_f32_e32 v3, v3, v57
	ds_read_b128 v[75:78], v228 offset:1552
	s_waitcnt vmcnt(21) lgkmcnt(1)
	v_mul_f32_e32 v8, v74, v53
	s_waitcnt vmcnt(20)
	v_fma_f32 v8, v73, v54, -v8
	v_mul_f32_e32 v53, v73, v53
	buffer_load_dword v57, off, s[0:3], 0 offset:44
	buffer_load_dword v73, off, s[0:3], 0 offset:40
	v_fmac_f32_e32 v53, v74, v54
	v_sub_f32_e32 v4, v4, v8
	v_sub_f32_e32 v3, v3, v53
	ds_read_b128 v[79:82], v228 offset:1296
	buffer_load_dword v53, off, s[0:3], 0 offset:52
	buffer_load_dword v54, off, s[0:3], 0 offset:48
	s_waitcnt vmcnt(23) lgkmcnt(1)
	v_mul_f32_e32 v8, v78, v49
	v_mul_f32_e32 v49, v77, v49
	s_waitcnt vmcnt(22)
	v_fmac_f32_e32 v49, v78, v50
	v_fma_f32 v8, v77, v50, -v8
	v_sub_f32_e32 v3, v3, v49
	buffer_load_dword v49, off, s[0:3], 0 offset:60
	buffer_load_dword v50, off, s[0:3], 0 offset:56
	ds_read_b128 v[83:86], v228 offset:1040
	v_sub_f32_e32 v4, v4, v8
	s_waitcnt vmcnt(23) lgkmcnt(1)
	v_mul_f32_e32 v8, v82, v45
	v_mul_f32_e32 v45, v81, v45
	s_waitcnt vmcnt(22)
	v_fmac_f32_e32 v45, v82, v46
	v_fma_f32 v8, v81, v46, -v8
	v_sub_f32_e32 v3, v3, v45
	buffer_load_dword v45, off, s[0:3], 0 offset:68
	buffer_load_dword v46, off, s[0:3], 0 offset:64
	ds_read_b128 v[87:90], v228 offset:784
	v_sub_f32_e32 v4, v4, v8
	s_waitcnt vmcnt(23) lgkmcnt(1)
	v_mul_f32_e32 v74, v85, v91
	v_mul_f32_e32 v8, v86, v91
	s_waitcnt vmcnt(22)
	v_fmac_f32_e32 v74, v86, v7
	v_fma_f32 v8, v85, v7, -v8
	v_sub_f32_e32 v3, v3, v74
	v_sub_f32_e32 v4, v4, v8
	s_waitcnt lgkmcnt(0)
	v_mul_f32_e32 v7, v90, v3
	v_fma_f32 v7, v89, v4, -v7
	buffer_load_dword v74, off, s[0:3], 0 offset:76
	buffer_load_dword v77, off, s[0:3], 0 offset:72
	v_mul_f32_e32 v8, v89, v3
	v_fmac_f32_e32 v8, v90, v4
	buffer_store_dword v7, off, s[0:3], 0 offset:224
	buffer_store_dword v8, off, s[0:3], 0 offset:228
	buffer_load_dword v78, off, s[0:3], 0 offset:84
	buffer_load_dword v81, off, s[0:3], 0 offset:80
	s_waitcnt vmcnt(25)
	v_mul_f32_e32 v4, v9, v23
	v_mul_f32_e32 v3, v10, v23
	s_waitcnt vmcnt(24)
	v_fmac_f32_e32 v4, v10, v33
	v_fma_f32 v3, v9, v33, -v3
	s_waitcnt vmcnt(22)
	v_sub_f32_e32 v4, v34, v4
	buffer_load_dword v33, off, s[0:3], 0 offset:92
	buffer_load_dword v34, off, s[0:3], 0 offset:88
	s_waitcnt vmcnt(23)
	v_mul_f32_e32 v9, v12, v41
	v_sub_f32_e32 v3, v14, v3
	s_waitcnt vmcnt(22)
	v_fma_f32 v9, v11, v42, -v9
	v_mul_f32_e32 v10, v11, v41
	v_fmac_f32_e32 v10, v12, v42
	v_sub_f32_e32 v9, v3, v9
	v_sub_f32_e32 v10, v4, v10
	s_waitcnt vmcnt(21)
	v_mul_f32_e32 v3, v16, v13
	s_waitcnt vmcnt(20)
	v_fma_f32 v11, v15, v24, -v3
	buffer_load_dword v4, off, s[0:3], 0 offset:100
	buffer_load_dword v3, off, s[0:3], 0 offset:96
	v_mul_f32_e32 v12, v15, v13
	v_sub_f32_e32 v11, v9, v11
	v_fmac_f32_e32 v12, v16, v24
	v_sub_f32_e32 v12, v10, v12
	s_waitcnt vmcnt(21)
	v_mul_f32_e32 v9, v18, v64
	s_waitcnt vmcnt(20)
	v_fma_f32 v13, v17, v92, -v9
	v_mul_f32_e32 v14, v17, v64
	buffer_load_dword v10, off, s[0:3], 0 offset:108
	buffer_load_dword v9, off, s[0:3], 0 offset:104
	v_fmac_f32_e32 v14, v18, v92
	v_sub_f32_e32 v13, v11, v13
	v_sub_f32_e32 v14, v12, v14
	s_waitcnt vmcnt(21)
	v_mul_f32_e32 v11, v20, v58
	s_waitcnt vmcnt(20)
	v_fma_f32 v15, v19, v63, -v11
	buffer_load_dword v12, off, s[0:3], 0 offset:116
	buffer_load_dword v11, off, s[0:3], 0 offset:112
	v_mul_f32_e32 v16, v19, v58
	v_fmac_f32_e32 v16, v20, v63
	v_sub_f32_e32 v13, v13, v15
	v_sub_f32_e32 v14, v14, v16
	s_waitcnt vmcnt(21)
	v_mul_f32_e32 v15, v26, v57
	s_waitcnt vmcnt(20)
	v_fma_f32 v17, v25, v73, -v15
	buffer_load_dword v16, off, s[0:3], 0 offset:124
	buffer_load_dword v15, off, s[0:3], 0 offset:120
	v_mul_f32_e32 v18, v25, v57
	v_fmac_f32_e32 v18, v26, v73
	v_sub_f32_e32 v13, v13, v17
	s_waitcnt vmcnt(21)
	v_mul_f32_e32 v17, v28, v53
	v_sub_f32_e32 v14, v14, v18
	s_waitcnt vmcnt(20)
	v_fma_f32 v19, v27, v54, -v17
	buffer_load_dword v18, off, s[0:3], 0 offset:132
	buffer_load_dword v17, off, s[0:3], 0 offset:128
	v_mul_f32_e32 v20, v27, v53
	v_fmac_f32_e32 v20, v28, v54
	v_sub_f32_e32 v13, v13, v19
	s_waitcnt vmcnt(21)
	v_mul_f32_e32 v19, v30, v49
	v_sub_f32_e32 v14, v14, v20
	s_waitcnt vmcnt(20)
	v_fma_f32 v23, v29, v50, -v19
	buffer_load_dword v20, off, s[0:3], 0 offset:140
	buffer_load_dword v19, off, s[0:3], 0 offset:136
	v_mul_f32_e32 v24, v29, v49
	v_sub_f32_e32 v13, v13, v23
	v_fmac_f32_e32 v24, v30, v50
	s_waitcnt vmcnt(21)
	v_mul_f32_e32 v23, v32, v45
	s_waitcnt vmcnt(20)
	v_fma_f32 v25, v31, v46, -v23
	v_sub_f32_e32 v14, v14, v24
	buffer_load_dword v24, off, s[0:3], 0 offset:148
	buffer_load_dword v23, off, s[0:3], 0 offset:144
	v_mul_f32_e32 v26, v31, v45
	v_sub_f32_e32 v27, v13, v25
	v_fmac_f32_e32 v26, v32, v46
	v_sub_f32_e32 v28, v14, v26
	buffer_load_dword v26, off, s[0:3], 0 offset:156
	buffer_load_dword v25, off, s[0:3], 0 offset:152
	s_waitcnt vmcnt(23)
	v_mul_f32_e32 v13, v36, v74
	s_waitcnt vmcnt(22)
	v_fma_f32 v29, v35, v77, -v13
	v_mul_f32_e32 v30, v35, v74
	v_sub_f32_e32 v27, v27, v29
	s_waitcnt vmcnt(19)
	v_mul_f32_e32 v29, v22, v78
	v_fmac_f32_e32 v30, v36, v77
	s_waitcnt vmcnt(18)
	v_fma_f32 v29, v21, v81, -v29
	v_mul_f32_e32 v21, v21, v78
	buffer_load_dword v13, off, s[0:3], 0 offset:164
	buffer_load_dword v14, off, s[0:3], 0 offset:160
	v_sub_f32_e32 v28, v28, v30
	v_fmac_f32_e32 v21, v22, v81
	v_sub_f32_e32 v21, v28, v21
	s_waitcnt vmcnt(19)
	v_mul_f32_e32 v28, v2, v33
	buffer_load_dword v22, off, s[0:3], 0 offset:172
	buffer_load_dword v30, off, s[0:3], 0 offset:168
	s_waitcnt vmcnt(20)
	v_fma_f32 v28, v1, v34, -v28
	v_mul_f32_e32 v1, v1, v33
	v_sub_f32_e32 v27, v27, v29
	v_fmac_f32_e32 v1, v2, v34
	v_sub_f32_e32 v2, v27, v28
	v_sub_f32_e32 v1, v21, v1
	buffer_load_dword v21, off, s[0:3], 0 offset:180
	buffer_load_dword v27, off, s[0:3], 0 offset:176
	s_waitcnt vmcnt(21)
	v_mul_f32_e32 v28, v6, v4
	v_mul_f32_e32 v4, v5, v4
	s_waitcnt vmcnt(20)
	v_fmac_f32_e32 v4, v6, v3
	v_fma_f32 v28, v5, v3, -v28
	v_sub_f32_e32 v1, v1, v4
	buffer_load_dword v3, off, s[0:3], 0 offset:188
	buffer_load_dword v4, off, s[0:3], 0 offset:184
	v_sub_f32_e32 v2, v2, v28
	s_waitcnt vmcnt(21)
	v_mul_f32_e32 v5, v60, v10
	v_mul_f32_e32 v6, v59, v10
	s_waitcnt vmcnt(20)
	v_fma_f32 v5, v59, v9, -v5
	v_fmac_f32_e32 v6, v60, v9
	v_sub_f32_e32 v2, v2, v5
	v_sub_f32_e32 v1, v1, v6
	buffer_load_dword v5, off, s[0:3], 0 offset:196
	buffer_load_dword v6, off, s[0:3], 0 offset:192
	s_waitcnt vmcnt(21)
	v_mul_f32_e32 v9, v56, v12
	s_waitcnt vmcnt(20)
	v_fma_f32 v9, v55, v11, -v9
	v_mul_f32_e32 v10, v55, v12
	v_fmac_f32_e32 v10, v56, v11
	v_sub_f32_e32 v2, v2, v9
	buffer_load_dword v9, off, s[0:3], 0 offset:204
	v_sub_f32_e32 v1, v1, v10
	buffer_load_dword v10, off, s[0:3], 0 offset:200
	s_waitcnt vmcnt(21)
	v_mul_f32_e32 v11, v52, v16
	v_mul_f32_e32 v12, v51, v16
	s_waitcnt vmcnt(20)
	v_fma_f32 v11, v51, v15, -v11
	v_fmac_f32_e32 v12, v52, v15
	buffer_load_dword v15, off, s[0:3], 0 offset:212
	buffer_load_dword v16, off, s[0:3], 0 offset:208
	v_sub_f32_e32 v2, v2, v11
	v_sub_f32_e32 v1, v1, v12
	s_waitcnt vmcnt(21)
	v_mul_f32_e32 v11, v48, v18
	v_mul_f32_e32 v12, v47, v18
	s_waitcnt vmcnt(20)
	v_fma_f32 v11, v47, v17, -v11
	v_fmac_f32_e32 v12, v48, v17
	buffer_load_dword v17, off, s[0:3], 0 offset:220
	buffer_load_dword v18, off, s[0:3], 0 offset:216
	v_sub_f32_e32 v2, v2, v11
	v_sub_f32_e32 v1, v1, v12
	;; [unrolled: 10-line block ×3, first 2 shown]
	s_waitcnt vmcnt(21)
	v_mul_f32_e32 v11, v38, v24
	s_waitcnt vmcnt(20)
	v_fma_f32 v11, v37, v23, -v11
	v_mul_f32_e32 v12, v37, v24
	v_sub_f32_e32 v2, v2, v11
	v_fmac_f32_e32 v12, v38, v23
	s_waitcnt vmcnt(19)
	v_mul_f32_e32 v11, v40, v26
	s_waitcnt vmcnt(18)
	v_fma_f32 v11, v39, v25, -v11
	v_sub_f32_e32 v1, v1, v12
	v_mul_f32_e32 v12, v39, v26
	v_sub_f32_e32 v2, v2, v11
	v_fmac_f32_e32 v12, v40, v25
	v_sub_f32_e32 v1, v1, v12
	buffer_load_dword v23, off, s[0:3], 0 offset:4
	buffer_load_dword v24, off, s[0:3], 0
	s_waitcnt vmcnt(19)
	v_mul_f32_e32 v11, v66, v13
	s_waitcnt vmcnt(18)
	v_fma_f32 v11, v65, v14, -v11
	v_mul_f32_e32 v12, v65, v13
	v_sub_f32_e32 v2, v2, v11
	v_fmac_f32_e32 v12, v66, v14
	s_waitcnt vmcnt(17)
	v_mul_f32_e32 v11, v62, v22
	s_waitcnt vmcnt(16)
	v_fma_f32 v11, v61, v30, -v11
	v_mul_f32_e32 v22, v61, v22
	v_sub_f32_e32 v1, v1, v12
	buffer_load_dword v12, off, s[0:3], 0 offset:240
	buffer_load_dword v25, off, s[0:3], 0 offset:244
	;; [unrolled: 1-line block ×4, first 2 shown]
	v_fmac_f32_e32 v22, v62, v30
	v_sub_f32_e32 v2, v2, v11
	s_waitcnt vmcnt(19)
	v_mul_f32_e32 v11, v68, v21
	v_sub_f32_e32 v1, v1, v22
	s_waitcnt vmcnt(18)
	v_fma_f32 v11, v67, v27, -v11
	buffer_load_dword v22, off, s[0:3], 0 offset:20
	v_sub_f32_e32 v2, v2, v11
	buffer_load_dword v11, off, s[0:3], 0 offset:16
	v_mul_f32_e32 v21, v67, v21
	v_fmac_f32_e32 v21, v68, v27
	v_sub_f32_e32 v1, v1, v21
	s_waitcnt vmcnt(19)
	v_mul_f32_e32 v21, v70, v3
	s_waitcnt vmcnt(18)
	v_fma_f32 v21, v69, v4, -v21
	v_sub_f32_e32 v2, v2, v21
	buffer_load_dword v21, off, s[0:3], 0 offset:28
	buffer_load_dword v27, off, s[0:3], 0 offset:24
	;; [unrolled: 1-line block ×4, first 2 shown]
	v_mul_f32_e32 v3, v69, v3
	v_fmac_f32_e32 v3, v70, v4
	v_sub_f32_e32 v1, v1, v3
	s_waitcnt vmcnt(21)
	v_mul_f32_e32 v3, v72, v5
	v_mul_f32_e32 v4, v71, v5
	s_waitcnt vmcnt(20)
	v_fma_f32 v3, v71, v6, -v3
	v_fmac_f32_e32 v4, v72, v6
	v_sub_f32_e32 v2, v2, v3
	v_sub_f32_e32 v1, v1, v4
	s_waitcnt vmcnt(19)
	v_mul_f32_e32 v3, v76, v9
	v_mul_f32_e32 v4, v75, v9
	s_waitcnt vmcnt(18)
	v_fma_f32 v3, v75, v10, -v3
	v_fmac_f32_e32 v4, v76, v10
	buffer_load_dword v9, off, s[0:3], 0 offset:44
	buffer_load_dword v10, off, s[0:3], 0 offset:40
	v_sub_f32_e32 v2, v2, v3
	v_sub_f32_e32 v1, v1, v4
	s_waitcnt vmcnt(19)
	v_mul_f32_e32 v3, v80, v15
	v_mul_f32_e32 v4, v79, v15
	s_waitcnt vmcnt(18)
	v_fma_f32 v3, v79, v16, -v3
	v_fmac_f32_e32 v4, v80, v16
	buffer_load_dword v15, off, s[0:3], 0 offset:52
	buffer_load_dword v16, off, s[0:3], 0 offset:48
	v_sub_f32_e32 v1, v1, v4
	s_waitcnt vmcnt(19)
	v_mul_f32_e32 v4, v83, v17
	v_sub_f32_e32 v2, v2, v3
	v_mul_f32_e32 v3, v84, v17
	s_waitcnt vmcnt(18)
	v_fmac_f32_e32 v4, v84, v18
	v_fma_f32 v3, v83, v18, -v3
	v_sub_f32_e32 v6, v1, v4
	v_sub_f32_e32 v5, v2, v3
	s_waitcnt vmcnt(17)
	v_mul_f32_e32 v1, v88, v19
	s_waitcnt vmcnt(16)
	v_fma_f32 v17, v87, v20, -v1
	v_mul_f32_e32 v18, v87, v19
	ds_read2_b64 v[1:4], v228 offset1:66
	buffer_load_dword v19, off, s[0:3], 0 offset:60
	buffer_load_dword v31, off, s[0:3], 0 offset:56
	v_fmac_f32_e32 v18, v88, v20
	v_sub_f32_e32 v6, v6, v18
	ds_read_b128 v[61:64], v228 offset:7936
	buffer_load_dword v18, off, s[0:3], 0 offset:68
	buffer_load_dword v20, off, s[0:3], 0 offset:64
	v_sub_f32_e32 v17, v5, v17
	s_waitcnt lgkmcnt(1)
	v_mul_f32_e32 v5, v4, v6
	v_mul_f32_e32 v6, v3, v6
	v_fma_f32 v5, v3, v17, -v5
	v_fmac_f32_e32 v6, v4, v17
	buffer_store_dword v5, off, s[0:3], 0 offset:232
	buffer_store_dword v6, off, s[0:3], 0 offset:236
	ds_write2_b64 v227, v[5:6], v[7:8] offset0:64 offset1:96
	ds_read_b128 v[65:68], v228 offset:7680
	buffer_load_dword v17, off, s[0:3], 0 offset:76
	buffer_load_dword v32, off, s[0:3], 0 offset:72
	ds_read_b128 v[69:72], v228 offset:7424
	s_waitcnt vmcnt(23) lgkmcnt(3)
	v_mul_f32_e32 v3, v64, v23
	v_mul_f32_e32 v4, v63, v23
	s_waitcnt vmcnt(22)
	v_fma_f32 v3, v63, v24, -v3
	v_fmac_f32_e32 v4, v64, v24
	buffer_load_dword v23, off, s[0:3], 0 offset:84
	buffer_load_dword v24, off, s[0:3], 0 offset:80
	s_waitcnt vmcnt(23)
	v_sub_f32_e32 v3, v12, v3
	s_waitcnt vmcnt(22)
	v_sub_f32_e32 v4, v25, v4
	s_waitcnt vmcnt(21) lgkmcnt(1)
	v_mul_f32_e32 v5, v68, v26
	v_mul_f32_e32 v6, v67, v26
	s_waitcnt vmcnt(20)
	v_fma_f32 v5, v67, v28, -v5
	v_fmac_f32_e32 v6, v68, v28
	buffer_load_dword v25, off, s[0:3], 0 offset:92
	buffer_load_dword v26, off, s[0:3], 0 offset:88
	v_sub_f32_e32 v3, v3, v5
	v_sub_f32_e32 v4, v4, v6
	s_waitcnt vmcnt(21) lgkmcnt(0)
	v_mul_f32_e32 v5, v72, v22
	v_mul_f32_e32 v6, v71, v22
	s_waitcnt vmcnt(20)
	v_fma_f32 v5, v71, v11, -v5
	v_fmac_f32_e32 v6, v72, v11
	ds_read_b128 v[71:74], v228 offset:7168
	buffer_load_dword v22, off, s[0:3], 0 offset:100
	buffer_load_dword v28, off, s[0:3], 0 offset:96
	v_sub_f32_e32 v3, v3, v5
	v_sub_f32_e32 v4, v4, v6
	ds_read_b128 v[75:78], v228 offset:6912
	ds_read_b128 v[87:90], v228 offset:6400
	s_waitcnt vmcnt(21) lgkmcnt(2)
	v_mul_f32_e32 v5, v74, v21
	v_mul_f32_e32 v6, v73, v21
	buffer_load_dword v21, off, s[0:3], 0 offset:108
	s_waitcnt vmcnt(21)
	v_fma_f32 v5, v73, v27, -v5
	v_fmac_f32_e32 v6, v74, v27
	buffer_load_dword v27, off, s[0:3], 0 offset:104
	v_sub_f32_e32 v3, v3, v5
	v_sub_f32_e32 v5, v4, v6
	s_waitcnt vmcnt(21) lgkmcnt(1)
	v_mul_f32_e32 v4, v78, v29
	v_mul_f32_e32 v6, v77, v29
	s_waitcnt vmcnt(20)
	v_fma_f32 v4, v77, v30, -v4
	v_fmac_f32_e32 v6, v78, v30
	ds_read_b128 v[77:80], v228 offset:6656
	v_sub_f32_e32 v7, v3, v4
	buffer_load_dword v4, off, s[0:3], 0 offset:116
	buffer_load_dword v3, off, s[0:3], 0 offset:112
	v_sub_f32_e32 v8, v5, v6
	s_waitcnt vmcnt(21) lgkmcnt(0)
	v_mul_f32_e32 v5, v80, v9
	v_mul_f32_e32 v9, v79, v9
	s_waitcnt vmcnt(20)
	v_fma_f32 v5, v79, v10, -v5
	v_fmac_f32_e32 v9, v80, v10
	v_sub_f32_e32 v7, v7, v5
	buffer_load_dword v6, off, s[0:3], 0 offset:124
	buffer_load_dword v5, off, s[0:3], 0 offset:120
	v_sub_f32_e32 v9, v8, v9
	s_waitcnt vmcnt(21)
	v_mul_f32_e32 v8, v90, v15
	s_waitcnt vmcnt(20)
	v_fma_f32 v8, v89, v16, -v8
	v_mul_f32_e32 v10, v89, v15
	v_fmac_f32_e32 v10, v90, v16
	ds_read_b128 v[89:92], v228 offset:6144
	v_sub_f32_e32 v11, v7, v8
	buffer_load_dword v8, off, s[0:3], 0 offset:132
	buffer_load_dword v7, off, s[0:3], 0 offset:128
	v_sub_f32_e32 v12, v9, v10
	s_waitcnt vmcnt(21) lgkmcnt(0)
	v_mul_f32_e32 v9, v92, v19
	v_mul_f32_e32 v15, v91, v19
	s_waitcnt vmcnt(20)
	v_fma_f32 v9, v91, v31, -v9
	v_fmac_f32_e32 v15, v92, v31
	ds_read_b128 v[91:94], v228 offset:5888
	v_sub_f32_e32 v11, v11, v9
	buffer_load_dword v10, off, s[0:3], 0 offset:140
	buffer_load_dword v9, off, s[0:3], 0 offset:136
	v_sub_f32_e32 v15, v12, v15
	s_waitcnt vmcnt(21) lgkmcnt(0)
	v_mul_f32_e32 v12, v94, v18
	v_mul_f32_e32 v16, v93, v18
	s_waitcnt vmcnt(20)
	v_fma_f32 v12, v93, v20, -v12
	v_fmac_f32_e32 v16, v94, v20
	ds_read_b128 v[93:96], v228 offset:5632
	v_sub_f32_e32 v18, v11, v12
	buffer_load_dword v12, off, s[0:3], 0 offset:148
	buffer_load_dword v11, off, s[0:3], 0 offset:144
	v_sub_f32_e32 v15, v15, v16
	ds_read_b128 v[79:82], v228 offset:5376
	s_waitcnt vmcnt(19) lgkmcnt(1)
	v_mul_f32_e32 v16, v96, v17
	s_waitcnt vmcnt(18)
	v_fma_f32 v16, v95, v32, -v16
	v_mul_f32_e32 v19, v95, v17
	v_sub_f32_e32 v18, v18, v16
	buffer_load_dword v17, off, s[0:3], 0 offset:156
	buffer_load_dword v16, off, s[0:3], 0 offset:152
	ds_read_b128 v[83:86], v228 offset:5120
	ds_read_b128 v[57:60], v228 offset:4864
	v_fmac_f32_e32 v19, v96, v32
	s_waitcnt vmcnt(19) lgkmcnt(2)
	v_mul_f32_e32 v20, v81, v23
	v_sub_f32_e32 v15, v15, v19
	v_mul_f32_e32 v19, v82, v23
	s_waitcnt vmcnt(18)
	v_fmac_f32_e32 v20, v82, v24
	v_fma_f32 v19, v81, v24, -v19
	v_sub_f32_e32 v15, v15, v20
	s_waitcnt vmcnt(17) lgkmcnt(1)
	v_mul_f32_e32 v20, v85, v25
	v_sub_f32_e32 v18, v18, v19
	v_mul_f32_e32 v19, v86, v25
	s_waitcnt vmcnt(16)
	v_fmac_f32_e32 v20, v86, v26
	v_fma_f32 v19, v85, v26, -v19
	v_sub_f32_e32 v20, v15, v20
	s_waitcnt vmcnt(15) lgkmcnt(0)
	v_mul_f32_e32 v15, v60, v22
	v_sub_f32_e32 v18, v18, v19
	s_waitcnt vmcnt(14)
	v_fma_f32 v23, v59, v28, -v15
	buffer_load_dword v15, off, s[0:3], 0 offset:172
	buffer_load_dword v19, off, s[0:3], 0 offset:168
	ds_read_b128 v[53:56], v228 offset:4608
	v_sub_f32_e32 v18, v18, v23
	buffer_load_dword v23, off, s[0:3], 0 offset:180
	buffer_load_dword v24, off, s[0:3], 0 offset:176
	v_mul_f32_e32 v22, v59, v22
	v_fmac_f32_e32 v22, v60, v28
	v_sub_f32_e32 v20, v20, v22
	s_waitcnt vmcnt(17) lgkmcnt(0)
	v_mul_f32_e32 v22, v56, v21
	s_waitcnt vmcnt(16)
	v_fma_f32 v22, v55, v27, -v22
	v_sub_f32_e32 v18, v18, v22
	buffer_load_dword v22, off, s[0:3], 0 offset:188
	ds_read_b128 v[49:52], v228 offset:4352
	buffer_load_dword v25, off, s[0:3], 0 offset:184
	v_mul_f32_e32 v21, v55, v21
	v_fmac_f32_e32 v21, v56, v27
	v_sub_f32_e32 v20, v20, v21
	ds_read_b128 v[45:48], v228 offset:4096
	ds_read_b128 v[41:44], v228 offset:3840
	s_waitcnt vmcnt(17) lgkmcnt(2)
	v_mul_f32_e32 v21, v52, v4
	s_waitcnt vmcnt(16)
	v_fma_f32 v21, v51, v3, -v21
	v_mul_f32_e32 v4, v51, v4
	v_fmac_f32_e32 v4, v52, v3
	v_sub_f32_e32 v3, v18, v21
	buffer_load_dword v21, off, s[0:3], 0 offset:196
	buffer_load_dword v27, off, s[0:3], 0 offset:192
	s_waitcnt vmcnt(17) lgkmcnt(1)
	v_mul_f32_e32 v18, v48, v6
	s_waitcnt vmcnt(16)
	v_fma_f32 v18, v47, v5, -v18
	v_mul_f32_e32 v6, v47, v6
	v_sub_f32_e32 v4, v20, v4
	v_fmac_f32_e32 v6, v48, v5
	v_sub_f32_e32 v18, v3, v18
	v_sub_f32_e32 v20, v4, v6
	s_waitcnt vmcnt(15) lgkmcnt(0)
	v_mul_f32_e32 v3, v44, v8
	s_waitcnt vmcnt(14)
	v_fma_f32 v26, v43, v7, -v3
	ds_read_b128 v[3:6], v228 offset:3584
	buffer_load_dword v29, off, s[0:3], 0 offset:204
	buffer_load_dword v30, off, s[0:3], 0 offset:200
	v_mul_f32_e32 v8, v43, v8
	v_fmac_f32_e32 v8, v44, v7
	v_sub_f32_e32 v18, v18, v26
	v_sub_f32_e32 v20, v20, v8
	s_waitcnt vmcnt(15) lgkmcnt(0)
	v_mul_f32_e32 v7, v6, v10
	v_mul_f32_e32 v10, v5, v10
	s_waitcnt vmcnt(14)
	v_fma_f32 v26, v5, v9, -v7
	v_fmac_f32_e32 v10, v6, v9
	ds_read_b128 v[5:8], v228 offset:3328
	buffer_load_dword v31, off, s[0:3], 0 offset:212
	buffer_load_dword v35, off, s[0:3], 0 offset:208
	v_sub_f32_e32 v18, v18, v26
	v_sub_f32_e32 v20, v20, v10
	s_waitcnt vmcnt(15) lgkmcnt(0)
	v_mul_f32_e32 v9, v8, v12
	v_mul_f32_e32 v12, v7, v12
	s_waitcnt vmcnt(14)
	v_fma_f32 v26, v7, v11, -v9
	v_fmac_f32_e32 v12, v8, v11
	ds_read_b128 v[7:10], v228 offset:3072
	buffer_load_dword v39, off, s[0:3], 0 offset:220
	buffer_load_dword v40, off, s[0:3], 0 offset:216
	v_sub_f32_e32 v18, v18, v26
	v_sub_f32_e32 v20, v20, v12
	s_waitcnt vmcnt(15) lgkmcnt(0)
	v_mul_f32_e32 v11, v10, v17
	v_mul_f32_e32 v17, v9, v17
	s_waitcnt vmcnt(14)
	v_fma_f32 v26, v9, v16, -v11
	v_fmac_f32_e32 v17, v10, v16
	ds_read_b128 v[9:12], v228 offset:2816
	v_sub_f32_e32 v16, v18, v26
	v_sub_f32_e32 v17, v20, v17
	buffer_load_dword v43, off, s[0:3], 0 offset:228
	buffer_load_dword v44, off, s[0:3], 0 offset:224
	s_waitcnt lgkmcnt(0)
	v_mul_f32_e32 v18, v12, v13
	v_mul_f32_e32 v20, v11, v13
	v_fma_f32 v18, v11, v14, -v18
	v_fmac_f32_e32 v20, v12, v14
	ds_read_b128 v[11:14], v228 offset:2560
	v_sub_f32_e32 v26, v16, v18
	v_sub_f32_e32 v20, v17, v20
	buffer_load_dword v47, off, s[0:3], 0 offset:236
	buffer_load_dword v48, off, s[0:3], 0 offset:232
	s_waitcnt vmcnt(17) lgkmcnt(0)
	v_mul_f32_e32 v16, v14, v15
	s_waitcnt vmcnt(16)
	v_fma_f32 v28, v13, v19, -v16
	v_mul_f32_e32 v13, v13, v15
	ds_read_b128 v[15:18], v228 offset:2304
	v_fmac_f32_e32 v13, v14, v19
	buffer_store_dword v20, off, s[0:3], 0 offset:244
	v_sub_f32_e32 v14, v26, v28
	v_sub_f32_e32 v13, v20, v13
	s_waitcnt vmcnt(16) lgkmcnt(0)
	v_mul_f32_e32 v19, v18, v23
	v_mul_f32_e32 v23, v17, v23
	s_waitcnt vmcnt(15)
	v_fma_f32 v26, v17, v24, -v19
	v_fmac_f32_e32 v23, v18, v24
	ds_read_b128 v[17:20], v228 offset:2048
	buffer_store_dword v14, off, s[0:3], 0 offset:240
	buffer_load_dword v51, off, s[0:3], 0 offset:4
	buffer_load_dword v52, off, s[0:3], 0
	v_sub_f32_e32 v13, v13, v23
	v_sub_f32_e32 v14, v14, v26
	s_waitcnt vmcnt(17) lgkmcnt(0)
	v_mul_f32_e32 v23, v20, v22
	s_waitcnt vmcnt(16)
	v_fma_f32 v28, v19, v25, -v23
	v_mul_f32_e32 v19, v19, v22
	buffer_load_dword v55, off, s[0:3], 0 offset:248
	buffer_load_dword v56, off, s[0:3], 0 offset:252
	;; [unrolled: 1-line block ×4, first 2 shown]
	v_fmac_f32_e32 v19, v20, v25
	ds_read_b128 v[23:26], v228 offset:1792
	v_sub_f32_e32 v13, v13, v19
	v_sub_f32_e32 v14, v14, v28
	buffer_load_dword v63, off, s[0:3], 0 offset:20
	buffer_load_dword v64, off, s[0:3], 0 offset:16
	s_waitcnt vmcnt(21) lgkmcnt(0)
	v_mul_f32_e32 v19, v26, v21
	v_mul_f32_e32 v20, v25, v21
	s_waitcnt vmcnt(20)
	v_fma_f32 v19, v25, v27, -v19
	v_fmac_f32_e32 v20, v26, v27
	ds_read_b128 v[25:28], v228 offset:1536
	buffer_load_dword v67, off, s[0:3], 0 offset:28
	buffer_load_dword v68, off, s[0:3], 0 offset:24
	v_sub_f32_e32 v14, v14, v19
	v_sub_f32_e32 v13, v13, v20
	s_waitcnt vmcnt(21) lgkmcnt(0)
	v_mul_f32_e32 v19, v28, v29
	v_mul_f32_e32 v20, v27, v29
	s_waitcnt vmcnt(20)
	v_fma_f32 v19, v27, v30, -v19
	v_fmac_f32_e32 v20, v28, v30
	ds_read_b128 v[27:30], v228 offset:1280
	buffer_load_dword v73, off, s[0:3], 0 offset:36
	buffer_load_dword v74, off, s[0:3], 0 offset:32
	v_sub_f32_e32 v14, v14, v19
	v_sub_f32_e32 v13, v13, v20
	s_waitcnt vmcnt(21) lgkmcnt(0)
	v_mul_f32_e32 v19, v30, v31
	v_mul_f32_e32 v20, v29, v31
	ds_read_b128 v[31:34], v228 offset:1024
	s_waitcnt vmcnt(20)
	v_fma_f32 v19, v29, v35, -v19
	buffer_load_dword v29, off, s[0:3], 0 offset:44
	buffer_load_dword v81, off, s[0:3], 0 offset:40
	v_fmac_f32_e32 v20, v30, v35
	ds_read_b128 v[35:38], v228 offset:768
	v_sub_f32_e32 v14, v14, v19
	v_sub_f32_e32 v13, v13, v20
	s_waitcnt vmcnt(21) lgkmcnt(1)
	v_mul_f32_e32 v19, v34, v39
	v_mul_f32_e32 v20, v33, v39
	s_waitcnt vmcnt(20)
	v_fma_f32 v19, v33, v40, -v19
	v_fmac_f32_e32 v20, v34, v40
	v_sub_f32_e32 v14, v14, v19
	v_sub_f32_e32 v13, v13, v20
	buffer_load_dword v30, off, s[0:3], 0 offset:52
	buffer_load_dword v82, off, s[0:3], 0 offset:48
	;; [unrolled: 1-line block ×4, first 2 shown]
	s_waitcnt vmcnt(23) lgkmcnt(0)
	v_mul_f32_e32 v19, v38, v43
	v_mul_f32_e32 v20, v37, v43
	s_waitcnt vmcnt(22)
	v_fma_f32 v19, v37, v44, -v19
	v_fmac_f32_e32 v20, v38, v44
	ds_read_b128 v[37:40], v228 offset:512
	v_sub_f32_e32 v14, v14, v19
	buffer_load_dword v43, off, s[0:3], 0 offset:68
	buffer_load_dword v44, off, s[0:3], 0 offset:64
	v_sub_f32_e32 v13, v13, v20
	s_waitcnt vmcnt(23) lgkmcnt(0)
	v_mul_f32_e32 v19, v40, v47
	s_waitcnt vmcnt(22)
	v_fma_f32 v85, v39, v48, -v19
	ds_read_b128 v[19:22], v228 offset:256
	v_mul_f32_e32 v39, v39, v47
	v_fmac_f32_e32 v39, v40, v48
	v_sub_f32_e32 v40, v14, v85
	v_sub_f32_e32 v14, v13, v39
	s_waitcnt lgkmcnt(0)
	v_mul_f32_e32 v13, v22, v14
	buffer_load_dword v39, off, s[0:3], 0 offset:76
	buffer_load_dword v47, off, s[0:3], 0 offset:72
	v_fma_f32 v13, v21, v40, -v13
	v_mul_f32_e32 v14, v21, v14
	v_fmac_f32_e32 v14, v22, v40
	buffer_store_dword v13, off, s[0:3], 0 offset:240
	buffer_store_dword v14, off, s[0:3], 0 offset:244
	buffer_load_dword v48, off, s[0:3], 0 offset:84
	buffer_load_dword v85, off, s[0:3], 0 offset:80
	s_waitcnt vmcnt(25)
	v_mul_f32_e32 v21, v62, v51
	v_mul_f32_e32 v22, v61, v51
	s_waitcnt vmcnt(24)
	v_fma_f32 v21, v61, v52, -v21
	v_fmac_f32_e32 v22, v62, v52
	s_waitcnt vmcnt(23)
	v_sub_f32_e32 v21, v55, v21
	s_waitcnt vmcnt(22)
	v_sub_f32_e32 v22, v56, v22
	buffer_load_dword v55, off, s[0:3], 0 offset:92
	buffer_load_dword v56, off, s[0:3], 0 offset:88
	;; [unrolled: 1-line block ×4, first 2 shown]
	s_waitcnt vmcnt(25)
	v_mul_f32_e32 v40, v66, v59
	v_mul_f32_e32 v51, v65, v59
	s_waitcnt vmcnt(24)
	v_fma_f32 v40, v65, v60, -v40
	v_fmac_f32_e32 v51, v66, v60
	buffer_load_dword v66, off, s[0:3], 0 offset:108
	buffer_load_dword v65, off, s[0:3], 0 offset:104
	v_sub_f32_e32 v22, v22, v51
	s_waitcnt vmcnt(25)
	v_mul_f32_e32 v51, v69, v63
	buffer_load_dword v62, off, s[0:3], 0 offset:116
	buffer_load_dword v61, off, s[0:3], 0 offset:112
	s_waitcnt vmcnt(26)
	v_fmac_f32_e32 v51, v70, v64
	v_sub_f32_e32 v22, v22, v51
	s_waitcnt vmcnt(25)
	v_mul_f32_e32 v51, v71, v67
	s_waitcnt vmcnt(24)
	v_fmac_f32_e32 v51, v72, v68
	buffer_load_dword v60, off, s[0:3], 0 offset:124
	buffer_load_dword v59, off, s[0:3], 0 offset:120
	v_sub_f32_e32 v22, v22, v51
	v_sub_f32_e32 v21, v21, v40
	v_mul_f32_e32 v40, v70, v63
	v_fma_f32 v40, v69, v64, -v40
	v_sub_f32_e32 v21, v21, v40
	v_mul_f32_e32 v40, v72, v67
	s_waitcnt vmcnt(25)
	v_mul_f32_e32 v51, v75, v73
	s_waitcnt vmcnt(24)
	v_fmac_f32_e32 v51, v76, v74
	v_sub_f32_e32 v22, v22, v51
	buffer_load_dword v52, off, s[0:3], 0 offset:132
	buffer_load_dword v51, off, s[0:3], 0 offset:128
	v_fma_f32 v40, v71, v68, -v40
	v_sub_f32_e32 v21, v21, v40
	v_mul_f32_e32 v40, v76, v73
	v_fma_f32 v40, v75, v74, -v40
	v_sub_f32_e32 v21, v21, v40
	s_waitcnt vmcnt(25)
	v_mul_f32_e32 v40, v78, v29
	v_mul_f32_e32 v29, v77, v29
	s_waitcnt vmcnt(24)
	v_fmac_f32_e32 v29, v78, v81
	v_fma_f32 v40, v77, v81, -v40
	v_sub_f32_e32 v22, v22, v29
	v_sub_f32_e32 v21, v21, v40
	s_waitcnt vmcnt(23)
	v_mul_f32_e32 v29, v88, v30
	s_waitcnt vmcnt(22)
	v_fma_f32 v29, v87, v82, -v29
	v_mul_f32_e32 v30, v87, v30
	v_fmac_f32_e32 v30, v88, v82
	v_sub_f32_e32 v21, v21, v29
	s_waitcnt vmcnt(21)
	v_mul_f32_e32 v29, v90, v33
	v_sub_f32_e32 v22, v22, v30
	s_waitcnt vmcnt(20)
	v_fma_f32 v29, v89, v34, -v29
	v_mul_f32_e32 v30, v89, v33
	v_fmac_f32_e32 v30, v90, v34
	v_sub_f32_e32 v29, v21, v29
	s_waitcnt vmcnt(19)
	v_mul_f32_e32 v21, v92, v43
	v_sub_f32_e32 v30, v22, v30
	s_waitcnt vmcnt(18)
	v_fma_f32 v33, v91, v44, -v21
	buffer_load_dword v22, off, s[0:3], 0 offset:140
	buffer_load_dword v21, off, s[0:3], 0 offset:136
	v_mul_f32_e32 v34, v91, v43
	v_fmac_f32_e32 v34, v92, v44
	v_sub_f32_e32 v40, v29, v33
	v_sub_f32_e32 v43, v30, v34
	buffer_load_dword v30, off, s[0:3], 0 offset:148
	buffer_load_dword v29, off, s[0:3], 0 offset:144
	s_waitcnt vmcnt(21)
	v_mul_f32_e32 v33, v94, v39
	v_mul_f32_e32 v39, v93, v39
	s_waitcnt vmcnt(20)
	v_fma_f32 v44, v93, v47, -v33
	v_fmac_f32_e32 v39, v94, v47
	buffer_load_dword v34, off, s[0:3], 0 offset:156
	buffer_load_dword v33, off, s[0:3], 0 offset:152
	v_sub_f32_e32 v43, v43, v39
	s_waitcnt vmcnt(19)
	v_mul_f32_e32 v39, v80, v48
	v_sub_f32_e32 v44, v40, v44
	s_waitcnt vmcnt(18)
	v_fma_f32 v47, v79, v85, -v39
	buffer_load_dword v40, off, s[0:3], 0 offset:164
	buffer_load_dword v39, off, s[0:3], 0 offset:160
	v_mul_f32_e32 v48, v79, v48
	v_fmac_f32_e32 v48, v80, v85
	v_sub_f32_e32 v63, v44, v47
	v_sub_f32_e32 v64, v43, v48
	buffer_load_dword v44, off, s[0:3], 0 offset:172
	buffer_load_dword v43, off, s[0:3], 0 offset:168
	s_waitcnt vmcnt(21)
	v_mul_f32_e32 v47, v84, v55
	v_mul_f32_e32 v55, v83, v55
	s_waitcnt vmcnt(20)
	v_fma_f32 v67, v83, v56, -v47
	v_fmac_f32_e32 v55, v84, v56
	buffer_load_dword v48, off, s[0:3], 0 offset:180
	buffer_load_dword v47, off, s[0:3], 0 offset:176
	v_sub_f32_e32 v64, v64, v55
	s_waitcnt vmcnt(21)
	v_mul_f32_e32 v55, v58, v86
	v_sub_f32_e32 v63, v63, v67
	s_waitcnt vmcnt(20)
	v_fma_f32 v67, v57, v95, -v55
	buffer_load_dword v56, off, s[0:3], 0 offset:188
	buffer_load_dword v55, off, s[0:3], 0 offset:184
	v_mul_f32_e32 v57, v57, v86
	v_fmac_f32_e32 v57, v58, v95
	v_sub_f32_e32 v64, v64, v57
	buffer_load_dword v58, off, s[0:3], 0 offset:196
	buffer_load_dword v57, off, s[0:3], 0 offset:192
	v_sub_f32_e32 v63, v63, v67
	s_waitcnt vmcnt(23)
	v_mul_f32_e32 v67, v54, v66
	v_mul_f32_e32 v66, v53, v66
	s_waitcnt vmcnt(22)
	v_fma_f32 v67, v53, v65, -v67
	v_fmac_f32_e32 v66, v54, v65
	buffer_load_dword v54, off, s[0:3], 0 offset:204
	buffer_load_dword v53, off, s[0:3], 0 offset:200
	v_sub_f32_e32 v65, v63, v67
	s_waitcnt vmcnt(23)
	v_mul_f32_e32 v63, v50, v62
	v_sub_f32_e32 v66, v64, v66
	s_waitcnt vmcnt(22)
	v_fma_f32 v67, v49, v61, -v63
	buffer_load_dword v64, off, s[0:3], 0 offset:212
	buffer_load_dword v63, off, s[0:3], 0 offset:208
	v_mul_f32_e32 v49, v49, v62
	v_fmac_f32_e32 v49, v50, v61
	v_sub_f32_e32 v61, v65, v67
	v_sub_f32_e32 v62, v66, v49
	buffer_load_dword v50, off, s[0:3], 0 offset:220
	buffer_load_dword v49, off, s[0:3], 0 offset:216
	s_waitcnt vmcnt(25)
	v_mul_f32_e32 v65, v46, v60
	s_waitcnt vmcnt(24)
	v_fma_f32 v65, v45, v59, -v65
	v_mul_f32_e32 v45, v45, v60
	v_fmac_f32_e32 v45, v46, v59
	buffer_load_dword v46, off, s[0:3], 0 offset:228
	buffer_load_dword v59, off, s[0:3], 0 offset:224
	v_sub_f32_e32 v60, v61, v65
	s_waitcnt vmcnt(25)
	v_mul_f32_e32 v61, v42, v52
	v_sub_f32_e32 v45, v62, v45
	s_waitcnt vmcnt(24)
	v_fma_f32 v61, v41, v51, -v61
	buffer_load_dword v62, off, s[0:3], 0 offset:236
	buffer_load_dword v65, off, s[0:3], 0 offset:232
	v_mul_f32_e32 v41, v41, v52
	v_fmac_f32_e32 v41, v42, v51
	v_sub_f32_e32 v41, v45, v41
	buffer_load_dword v45, off, s[0:3], 0 offset:244
	buffer_load_dword v51, off, s[0:3], 0 offset:240
	v_sub_f32_e32 v42, v60, v61
	s_waitcnt vmcnt(27)
	v_mul_f32_e32 v52, v4, v22
	s_waitcnt vmcnt(26)
	v_fma_f32 v52, v3, v21, -v52
	v_mul_f32_e32 v3, v3, v22
	v_fmac_f32_e32 v3, v4, v21
	v_sub_f32_e32 v3, v41, v3
	s_waitcnt vmcnt(25)
	v_mul_f32_e32 v21, v6, v30
	s_waitcnt vmcnt(24)
	v_fma_f32 v21, v5, v29, -v21
	v_mul_f32_e32 v5, v5, v30
	v_fmac_f32_e32 v5, v6, v29
	v_sub_f32_e32 v4, v42, v52
	v_sub_f32_e32 v3, v3, v5
	;; [unrolled: 1-line block ×3, first 2 shown]
	s_waitcnt vmcnt(23)
	v_mul_f32_e32 v5, v8, v34
	v_mul_f32_e32 v6, v7, v34
	s_waitcnt vmcnt(22)
	v_fma_f32 v5, v7, v33, -v5
	v_fmac_f32_e32 v6, v8, v33
	v_sub_f32_e32 v4, v4, v5
	v_sub_f32_e32 v3, v3, v6
	s_waitcnt vmcnt(21)
	v_mul_f32_e32 v5, v10, v40
	v_mul_f32_e32 v6, v9, v40
	s_waitcnt vmcnt(20)
	v_fma_f32 v5, v9, v39, -v5
	v_fmac_f32_e32 v6, v10, v39
	v_sub_f32_e32 v4, v4, v5
	v_sub_f32_e32 v3, v3, v6
	;; [unrolled: 8-line block ×12, first 2 shown]
	v_mul_f32_e32 v3, v2, v4
	v_mul_f32_e32 v4, v1, v4
	v_fma_f32 v3, v1, v5, -v3
	v_fmac_f32_e32 v4, v2, v5
	buffer_store_dword v3, off, s[0:3], 0 offset:248
	buffer_store_dword v4, off, s[0:3], 0 offset:252
	ds_write2_b64 v227, v[3:4], v[13:14] offset1:32
.LBB168_43:
	s_cmp_gt_i32 s14, -1
	s_cbranch_scc0 .LBB168_68
; %bb.44:
	s_cmp_lt_u32 s14, 27
	s_cbranch_scc1 .LBB168_52
; %bb.45:
	s_lshl_b32 s15, s14, 8
	v_add_u32_e32 v47, s15, v227
	v_add_u32_e32 v1, 0xffffff00, v47
	;; [unrolled: 1-line block ×3, first 2 shown]
	ds_read_b64 v[3:4], v47
	v_add_u32_e32 v9, 0xfffffd00, v47
	ds_read_b64 v[5:6], v1
	ds_read_b64 v[7:8], v2
	;; [unrolled: 1-line block ×3, first 2 shown]
	v_add_u32_e32 v10, 0xfffff900, v47
	s_waitcnt lgkmcnt(3)
	buffer_store_dword v4, off, s[0:3], 0 offset:4
	buffer_store_dword v3, off, s[0:3], 0
	s_waitcnt lgkmcnt(2)
	buffer_store_dword v6, off, s[0:3], 0 offset:12
	buffer_store_dword v5, off, s[0:3], 0 offset:8
	s_waitcnt lgkmcnt(1)
	buffer_store_dword v8, off, s[0:3], 0 offset:20
	buffer_store_dword v7, off, s[0:3], 0 offset:16
	;; [unrolled: 3-line block ×3, first 2 shown]
	v_add_u32_e32 v2, 0xfffffc00, v47
	v_add_u32_e32 v4, 0xfffffb00, v47
	;; [unrolled: 1-line block ×3, first 2 shown]
	ds_read_b64 v[2:3], v2
	ds_read_b64 v[8:9], v4
	;; [unrolled: 1-line block ×4, first 2 shown]
	s_waitcnt lgkmcnt(3)
	buffer_store_dword v3, off, s[0:3], 0 offset:36
	buffer_store_dword v2, off, s[0:3], 0 offset:32
	s_waitcnt lgkmcnt(2)
	buffer_store_dword v9, off, s[0:3], 0 offset:44
	buffer_store_dword v8, off, s[0:3], 0 offset:40
	;; [unrolled: 3-line block ×4, first 2 shown]
	v_add_u32_e32 v9, 0xfffff800, v47
	v_add_u32_e32 v11, 0xfffff700, v47
	;; [unrolled: 1-line block ×4, first 2 shown]
	ds_read_b64 v[9:10], v9
	ds_read_b64 v[15:16], v11
	;; [unrolled: 1-line block ×4, first 2 shown]
	s_waitcnt lgkmcnt(3)
	buffer_store_dword v10, off, s[0:3], 0 offset:68
	buffer_store_dword v9, off, s[0:3], 0 offset:64
	s_waitcnt lgkmcnt(2)
	buffer_store_dword v15, off, s[0:3], 0 offset:72
	buffer_store_dword v16, off, s[0:3], 0 offset:76
	s_waitcnt lgkmcnt(1)
	buffer_store_dword v11, off, s[0:3], 0 offset:80
	buffer_store_dword v12, off, s[0:3], 0 offset:84
	s_waitcnt lgkmcnt(0)
	buffer_store_dword v13, off, s[0:3], 0 offset:88
	buffer_store_dword v14, off, s[0:3], 0 offset:92
	v_add_u32_e32 v10, 0xfffff400, v47
	ds_read_b64 v[17:18], v10
	v_add_u32_e32 v10, 0xfffff300, v47
	v_add_u32_e32 v19, 0xfffff100, v47
	v_add_u32_e32 v14, 0xfffff200, v47
	ds_read_b64 v[21:22], v10
	ds_read_b64 v[23:24], v14
	ds_read_b64 v[19:20], v19
	s_waitcnt lgkmcnt(3)
	buffer_store_dword v17, off, s[0:3], 0 offset:96
	buffer_store_dword v18, off, s[0:3], 0 offset:100
	s_waitcnt lgkmcnt(2)
	buffer_store_dword v21, off, s[0:3], 0 offset:104
	buffer_store_dword v22, off, s[0:3], 0 offset:108
	s_waitcnt lgkmcnt(1)
	buffer_store_dword v24, off, s[0:3], 0 offset:116
	buffer_store_dword v23, off, s[0:3], 0 offset:112
	s_waitcnt lgkmcnt(0)
	buffer_store_dword v19, off, s[0:3], 0 offset:120
	buffer_store_dword v20, off, s[0:3], 0 offset:124
	v_add_u32_e32 v10, 0xfffff000, v47
	ds_read_b64 v[24:25], v10
	v_add_u32_e32 v10, 0xffffef00, v47
	v_add_u32_e32 v26, 0xffffed00, v47
	v_add_u32_e32 v14, 0xffffee00, v47
	ds_read_b64 v[30:31], v10
	ds_read_b64 v[28:29], v14
	ds_read_b64 v[26:27], v26
	;; [unrolled: 20-line block ×4, first 2 shown]
	s_cmp_gt_i32 s9, s14
	s_waitcnt lgkmcnt(3)
	buffer_store_dword v39, off, s[0:3], 0 offset:192
	buffer_store_dword v40, off, s[0:3], 0 offset:196
	s_waitcnt lgkmcnt(2)
	buffer_store_dword v44, off, s[0:3], 0 offset:204
	buffer_store_dword v43, off, s[0:3], 0 offset:200
	s_waitcnt lgkmcnt(1)
	buffer_store_dword v46, off, s[0:3], 0 offset:212
	buffer_store_dword v45, off, s[0:3], 0 offset:208
	s_waitcnt lgkmcnt(0)
	buffer_store_dword v41, off, s[0:3], 0 offset:216
	buffer_store_dword v42, off, s[0:3], 0 offset:220
	s_cbranch_scc1 .LBB168_47
; %bb.46:
	buffer_load_dword v48, off, s[0:3], 0
	buffer_load_dword v10, off, s[0:3], 0 offset:4
	buffer_load_dword v14, off, s[0:3], 0 offset:8
	;; [unrolled: 1-line block ×5, first 2 shown]
	s_cbranch_execz .LBB168_48
	s_branch .LBB168_51
.LBB168_47:
                                        ; implicit-def: $vgpr10
                                        ; implicit-def: $vgpr48
                                        ; implicit-def: $vgpr14
                                        ; implicit-def: $vgpr32
                                        ; implicit-def: $vgpr36
                                        ; implicit-def: $vgpr46
.LBB168_48:
	buffer_load_dword v48, off, s[0:3], 0
	buffer_load_dword v10, off, s[0:3], 0 offset:4
	buffer_load_dword v14, off, s[0:3], 0 offset:8
	;; [unrolled: 1-line block ×14, first 2 shown]
	s_lshl_b32 s12, s26, 8
	s_lshl_b32 s13, s14, 3
	v_lshl_or_b32 v58, v0, 3, s12
	s_add_i32 s12, s12, s13
	v_add_u32_e32 v58, 0x1f00, v58
	s_addk_i32 s12, 0xfe28
	s_mov_b32 s13, s9
.LBB168_49:                             ; =>This Inner Loop Header: Depth=1
	v_mov_b32_e32 v111, s12
	ds_read_b64 v[115:116], v58
	ds_read2_b64 v[59:62], v111 offset0:26 offset1:27
	ds_read2_b64 v[63:66], v111 offset0:24 offset1:25
	;; [unrolled: 1-line block ×13, first 2 shown]
	ds_read2_b64 v[111:114], v111 offset1:1
	s_add_i32 s13, s13, -1
	s_addk_i32 s12, 0xff00
	v_add_u32_e32 v58, 0xffffff00, v58
	s_waitcnt lgkmcnt(13)
	v_mul_f32_e32 v117, v62, v116
	v_mul_f32_e32 v62, v62, v115
	v_mul_f32_e32 v118, v60, v116
	v_mul_f32_e32 v60, v60, v115
	s_waitcnt lgkmcnt(12)
	v_mul_f32_e32 v119, v66, v116
	v_mul_f32_e32 v66, v66, v115
	v_mul_f32_e32 v120, v64, v116
	v_mul_f32_e32 v64, v64, v115
	;; [unrolled: 5-line block ×14, first 2 shown]
	v_fma_f32 v117, v61, v115, -v117
	v_fmac_f32_e32 v62, v61, v116
	v_fma_f32 v61, v59, v115, -v118
	v_fmac_f32_e32 v60, v59, v116
	;; [unrolled: 2-line block ×28, first 2 shown]
	s_cmp_gt_i32 s13, s14
	s_waitcnt vmcnt(14)
	v_sub_f32_e32 v48, v48, v117
	s_waitcnt vmcnt(13)
	v_sub_f32_e32 v10, v10, v62
	;; [unrolled: 2-line block ×6, first 2 shown]
	v_sub_f32_e32 v1, v1, v65
	s_waitcnt vmcnt(8)
	v_sub_f32_e32 v57, v57, v64
	v_sub_f32_e32 v2, v2, v63
	v_sub_f32_e32 v3, v3, v70
	v_sub_f32_e32 v8, v8, v69
	s_waitcnt vmcnt(7)
	v_sub_f32_e32 v56, v56, v68
	v_sub_f32_e32 v6, v6, v67
	v_sub_f32_e32 v7, v7, v74
	v_sub_f32_e32 v4, v4, v73
	v_sub_f32_e32 v5, v5, v72
	v_sub_f32_e32 v9, v9, v71
	s_waitcnt vmcnt(6)
	v_sub_f32_e32 v55, v55, v78
	v_sub_f32_e32 v15, v15, v77
	;; [unrolled: 7-line block ×8, first 2 shown]
	v_sub_f32_e32 v42, v42, v112
	s_cbranch_scc1 .LBB168_49
; %bb.50:
	buffer_store_dword v48, off, s[0:3], 0
	buffer_store_dword v10, off, s[0:3], 0 offset:4
	buffer_store_dword v14, off, s[0:3], 0 offset:8
	;; [unrolled: 1-line block ×55, first 2 shown]
.LBB168_51:
	buffer_load_dword v21, off, s[0:3], 0 offset:24
	buffer_load_dword v28, off, s[0:3], 0 offset:28
	s_add_i32 s13, s14, -1
	s_add_i32 s21, s14, -3
	s_lshl_b32 s22, s13, 3
	s_lshl_b32 s20, s13, 8
	;; [unrolled: 1-line block ×3, first 2 shown]
	s_add_i32 s12, s15, 0xfffffe00
	s_lshl_b32 s13, s21, 8
	s_add_i32 s21, s22, s15
	s_add_i32 s22, s22, s20
	;; [unrolled: 1-line block ×6, first 2 shown]
	v_mov_b32_e32 v1, s21
	v_mov_b32_e32 v5, s22
	;; [unrolled: 1-line block ×4, first 2 shown]
	buffer_load_dword v39, off, s[0:3], 0 offset:32
	buffer_load_dword v40, off, s[0:3], 0 offset:36
	buffer_load_dword v41, off, s[0:3], 0 offset:40
	buffer_load_dword v42, off, s[0:3], 0 offset:44
	buffer_load_dword v22, off, s[0:3], 0 offset:48
	buffer_load_dword v23, off, s[0:3], 0 offset:52
	v_mov_b32_e32 v11, s28
	v_mov_b32_e32 v12, s23
	ds_read2_b64 v[1:4], v1 offset1:1
	ds_read_b64 v[19:20], v5
	ds_read2_b64 v[5:8], v6 offset1:1
	ds_read2_b64 v[15:18], v9 offset1:1
	;; [unrolled: 1-line block ×3, first 2 shown]
	ds_read_b64 v[37:38], v12
	s_waitcnt vmcnt(12) lgkmcnt(5)
	v_mul_f32_e32 v9, v4, v10
	v_mul_f32_e32 v10, v3, v10
	v_fmac_f32_e32 v10, v4, v48
	v_fma_f32 v9, v3, v48, -v9
	v_mul_f32_e32 v4, v1, v10
	v_mul_f32_e32 v3, v2, v10
	s_waitcnt lgkmcnt(3)
	v_mul_f32_e32 v12, v7, v10
	v_fmac_f32_e32 v4, v2, v9
	v_mul_f32_e32 v13, v6, v10
	v_fma_f32 v1, v1, v9, -v3
	v_fmac_f32_e32 v12, v8, v9
	s_waitcnt vmcnt(10)
	v_sub_f32_e32 v4, v32, v4
	v_mul_f32_e32 v29, v5, v10
	v_fma_f32 v3, v5, v9, -v13
	v_sub_f32_e32 v1, v14, v1
	s_waitcnt vmcnt(8)
	v_sub_f32_e32 v5, v46, v12
	v_mul_f32_e32 v12, v19, v4
	v_mul_f32_e32 v11, v8, v10
	v_fmac_f32_e32 v29, v6, v9
	v_mul_f32_e32 v6, v20, v4
	v_fmac_f32_e32 v12, v20, v1
	v_fma_f32 v2, v7, v9, -v11
	v_fma_f32 v11, v19, v1, -v6
	s_waitcnt lgkmcnt(2)
	v_mul_f32_e32 v1, v18, v12
	v_mul_f32_e32 v4, v17, v12
	v_sub_f32_e32 v2, v36, v2
	v_fma_f32 v1, v17, v11, -v1
	v_fmac_f32_e32 v4, v18, v11
	v_sub_f32_e32 v1, v2, v1
	v_sub_f32_e32 v2, v5, v4
	s_waitcnt lgkmcnt(1)
	v_mul_f32_e32 v14, v26, v2
	v_mul_f32_e32 v7, v15, v12
	;; [unrolled: 1-line block ×3, first 2 shown]
	v_fmac_f32_e32 v14, v27, v1
	v_mul_f32_e32 v6, v16, v12
	v_fmac_f32_e32 v7, v16, v11
	v_fma_f32 v13, v26, v1, -v4
	v_mul_f32_e32 v2, v24, v14
	v_fma_f32 v6, v15, v11, -v6
	v_mul_f32_e32 v1, v25, v14
	v_fmac_f32_e32 v2, v25, v13
	v_fma_f32 v1, v24, v13, -v1
	s_add_i32 s21, s14, -5
	s_add_i32 s22, s15, 0xfffffc00
	s_lshl_b32 s23, s21, 3
	s_lshl_b32 s21, s21, 8
	s_add_i32 s25, s23, s15
	s_add_i32 s27, s23, s20
	;; [unrolled: 1-line block ×6, first 2 shown]
	v_mov_b32_e32 v17, s30
	v_mov_b32_e32 v18, s23
	s_add_i32 s23, s14, -7
	s_sub_i32 s37, s14, 21
	s_lshl_b32 s38, s37, 3
	s_waitcnt vmcnt(7)
	v_sub_f32_e32 v3, v21, v3
	s_waitcnt vmcnt(6)
	v_sub_f32_e32 v4, v28, v29
	v_sub_f32_e32 v4, v4, v7
	v_sub_f32_e32 v3, v3, v6
	v_sub_f32_e32 v16, v4, v2
	v_sub_f32_e32 v19, v3, v1
	s_waitcnt lgkmcnt(0)
	v_mul_f32_e32 v1, v38, v16
	v_fma_f32 v1, v37, v19, -v1
	buffer_store_dword v1, off, s[0:3], 0 offset:24
	buffer_load_dword v15, off, s[0:3], 0 offset:24
	v_mov_b32_e32 v1, s25
	v_mov_b32_e32 v2, s27
	;; [unrolled: 1-line block ×4, first 2 shown]
	ds_read2_b64 v[24:27], v1 offset1:1
	ds_read2_b64 v[28:31], v2 offset1:1
	;; [unrolled: 1-line block ×5, first 2 shown]
	ds_read_b64 v[17:18], v18
	s_waitcnt lgkmcnt(5)
	v_mul_f32_e32 v20, v27, v10
	v_mul_f32_e32 v21, v26, v10
	;; [unrolled: 1-line block ×4, first 2 shown]
	v_fma_f32 v20, v26, v9, -v20
	v_fmac_f32_e32 v21, v27, v9
	v_fma_f32 v24, v24, v9, -v36
	v_fmac_f32_e32 v43, v25, v9
	s_waitcnt lgkmcnt(4)
	v_mul_f32_e32 v25, v31, v12
	v_mul_f32_e32 v26, v30, v12
	;; [unrolled: 1-line block ×4, first 2 shown]
	v_fma_f32 v25, v30, v11, -v25
	v_fmac_f32_e32 v26, v31, v11
	v_fma_f32 v27, v28, v11, -v27
	s_waitcnt lgkmcnt(3)
	v_mul_f32_e32 v28, v35, v14
	v_mul_f32_e32 v30, v33, v14
	s_waitcnt vmcnt(7)
	v_sub_f32_e32 v20, v39, v20
	s_waitcnt vmcnt(6)
	v_sub_f32_e32 v21, v40, v21
	;; [unrolled: 2-line block ×3, first 2 shown]
	v_mul_f32_e32 v16, v37, v16
	v_fmac_f32_e32 v36, v29, v11
	v_mul_f32_e32 v29, v34, v14
	v_fma_f32 v28, v34, v13, -v28
	v_fma_f32 v30, v32, v13, -v30
	v_sub_f32_e32 v20, v20, v25
	v_sub_f32_e32 v21, v21, v26
	;; [unrolled: 1-line block ×3, first 2 shown]
	v_fmac_f32_e32 v16, v38, v19
	v_mul_f32_e32 v31, v32, v14
	v_fmac_f32_e32 v29, v35, v13
	s_waitcnt vmcnt(4)
	v_sub_f32_e32 v32, v42, v43
	v_sub_f32_e32 v24, v20, v28
	;; [unrolled: 1-line block ×3, first 2 shown]
	s_waitcnt lgkmcnt(2)
	v_mul_f32_e32 v30, v8, v16
	v_mul_f32_e32 v28, v7, v16
	v_fmac_f32_e32 v31, v33, v13
	v_sub_f32_e32 v27, v32, v36
	v_sub_f32_e32 v25, v21, v29
	v_mul_f32_e32 v29, v5, v16
	v_sub_f32_e32 v27, v27, v31
	v_mul_f32_e32 v31, v6, v16
	buffer_load_dword v19, off, s[0:3], 0 offset:24
	buffer_load_dword v20, off, s[0:3], 0 offset:24
	;; [unrolled: 1-line block ×7, first 2 shown]
	s_lshl_b32 s27, s23, 3
	s_add_i32 s25, s15, 0xfffffa00
	s_add_i32 s28, s27, s15
	;; [unrolled: 1-line block ×8, first 2 shown]
	v_mov_b32_e32 v36, s31
	v_mov_b32_e32 v40, s33
	v_mov_b32_e32 v44, s34
	v_mov_b32_e32 v45, s35
	s_lshl_b32 s23, s23, 8
	s_add_i32 s27, s27, s23
	s_add_i32 s36, s14, -15
	s_sub_i32 s40, s14, 17
	s_lshl_b32 s41, s40, 3
	s_sub_i32 s42, s14, 19
	s_lshl_b32 s43, s42, 3
	s_lshl_b32 s40, s40, 8
	;; [unrolled: 1-line block ×3, first 2 shown]
	s_sub_i32 s44, s14, 23
	s_lshl_b32 s45, s44, 3
	s_lshl_b32 s37, s37, 8
	s_sub_i32 s46, s14, 25
	s_lshl_b32 s44, s44, 8
	s_waitcnt vmcnt(7)
	v_fma_f32 v7, v7, v15, -v30
	v_fmac_f32_e32 v28, v8, v15
	v_fmac_f32_e32 v29, v6, v15
	v_sub_f32_e32 v6, v24, v7
	v_sub_f32_e32 v7, v25, v28
	s_waitcnt lgkmcnt(1)
	v_mul_f32_e32 v33, v3, v7
	v_mul_f32_e32 v24, v4, v7
	v_fmac_f32_e32 v33, v4, v6
	v_fma_f32 v32, v3, v6, -v24
	v_mul_f32_e32 v4, v1, v33
	v_fma_f32 v5, v5, v15, -v31
	v_sub_f32_e32 v8, v27, v29
	v_mul_f32_e32 v3, v2, v33
	v_fmac_f32_e32 v4, v2, v32
	v_sub_f32_e32 v5, v26, v5
	v_fma_f32 v1, v1, v32, -v3
	v_sub_f32_e32 v2, v8, v4
	v_sub_f32_e32 v1, v5, v1
	s_waitcnt lgkmcnt(0)
	v_mul_f32_e32 v3, v18, v2
	v_mul_f32_e32 v2, v17, v2
	v_fmac_f32_e32 v2, v18, v1
	v_fma_f32 v3, v17, v1, -v3
	buffer_store_dword v2, off, s[0:3], 0 offset:44
	buffer_load_dword v18, off, s[0:3], 0 offset:44
	v_mov_b32_e32 v1, s28
	buffer_store_dword v3, off, s[0:3], 0 offset:40
	buffer_load_dword v17, off, s[0:3], 0 offset:40
	buffer_load_dword v8, off, s[0:3], 0 offset:56
	;; [unrolled: 1-line block ×3, first 2 shown]
	v_mov_b32_e32 v2, s29
	v_mov_b32_e32 v3, s30
	ds_read2_b64 v[4:7], v1 offset1:1
	ds_read2_b64 v[24:27], v2 offset1:1
	;; [unrolled: 1-line block ×7, first 2 shown]
	s_waitcnt lgkmcnt(6)
	v_mul_f32_e32 v1, v7, v10
	v_mul_f32_e32 v2, v6, v10
	v_fma_f32 v1, v6, v9, -v1
	v_fmac_f32_e32 v2, v7, v9
	s_waitcnt lgkmcnt(5)
	v_mul_f32_e32 v3, v27, v12
	v_mul_f32_e32 v6, v26, v12
	v_fma_f32 v3, v26, v11, -v3
	v_fmac_f32_e32 v6, v27, v11
	s_waitcnt lgkmcnt(4)
	v_mul_f32_e32 v26, v30, v14
	v_sub_f32_e32 v2, v23, v2
	v_mul_f32_e32 v7, v31, v14
	v_fmac_f32_e32 v26, v31, v13
	v_sub_f32_e32 v1, v22, v1
	v_sub_f32_e32 v2, v2, v6
	s_waitcnt lgkmcnt(3)
	v_mul_f32_e32 v6, v38, v16
	v_fma_f32 v7, v30, v13, -v7
	v_sub_f32_e32 v1, v1, v3
	v_sub_f32_e32 v2, v2, v26
	v_mul_f32_e32 v3, v39, v16
	v_fmac_f32_e32 v6, v39, v15
	v_sub_f32_e32 v1, v1, v7
	v_fma_f32 v3, v38, v15, -v3
	v_sub_f32_e32 v2, v2, v6
	s_waitcnt lgkmcnt(2)
	v_mul_f32_e32 v6, v42, v33
	v_sub_f32_e32 v1, v1, v3
	v_mul_f32_e32 v3, v43, v33
	v_fmac_f32_e32 v6, v43, v32
	v_fma_f32 v3, v42, v32, -v3
	v_sub_f32_e32 v6, v2, v6
	v_sub_f32_e32 v7, v1, v3
	buffer_load_dword v26, off, s[0:3], 0 offset:40
	buffer_load_dword v3, off, s[0:3], 0 offset:40
	;; [unrolled: 1-line block ×14, first 2 shown]
	v_mul_f32_e32 v44, v5, v10
	v_add_u32_e32 v39, s20, v227
	v_add_u32_e32 v31, s22, v227
	;; [unrolled: 1-line block ×5, first 2 shown]
	s_waitcnt vmcnt(18) lgkmcnt(1)
	v_mul_f32_e32 v23, v57, v18
	v_mul_f32_e32 v22, v58, v18
	s_waitcnt vmcnt(16)
	v_fmac_f32_e32 v23, v58, v17
	v_fma_f32 v22, v57, v17, -v22
	v_sub_f32_e32 v23, v6, v23
	v_sub_f32_e32 v22, v7, v22
	s_waitcnt lgkmcnt(0)
	v_mul_f32_e32 v30, v62, v23
	v_mov_b32_e32 v6, s27
	v_fma_f32 v30, v61, v22, -v30
	v_mul_f32_e32 v23, v61, v23
	ds_read_b64 v[6:7], v6
	v_fmac_f32_e32 v23, v62, v22
	buffer_store_dword v30, off, s[0:3], 0 offset:48
	buffer_store_dword v23, off, s[0:3], 0 offset:52
	buffer_load_dword v45, off, s[0:3], 0 offset:48
	buffer_load_dword v46, off, s[0:3], 0 offset:52
	;; [unrolled: 1-line block ×3, first 2 shown]
	s_nop 0
	buffer_load_dword v23, off, s[0:3], 0 offset:68
	buffer_load_dword v87, off, s[0:3], 0 offset:72
	;; [unrolled: 1-line block ×5, first 2 shown]
	s_nop 0
	buffer_store_dword v9, off, s[0:3], 0
	buffer_store_dword v10, off, s[0:3], 0 offset:4
	ds_write_b64 v47, v[9:10]
	v_mul_f32_e32 v10, v4, v10
	v_fma_f32 v4, v4, v9, -v44
	buffer_load_dword v44, off, s[0:3], 0
	buffer_load_dword v57, off, s[0:3], 0 offset:4
	v_add_u32_e32 v30, s12, v227
	v_fmac_f32_e32 v10, v5, v9
	buffer_store_dword v11, off, s[0:3], 0 offset:8
	buffer_store_dword v12, off, s[0:3], 0 offset:12
	ds_write_b64 v39, v[11:12]
	v_mul_f32_e32 v5, v25, v12
	v_mul_f32_e32 v9, v24, v12
	v_fma_f32 v5, v24, v11, -v5
	v_fmac_f32_e32 v9, v25, v11
	buffer_load_dword v12, off, s[0:3], 0 offset:8
	buffer_load_dword v24, off, s[0:3], 0 offset:12
	s_nop 0
	buffer_store_dword v13, off, s[0:3], 0 offset:16
	buffer_store_dword v14, off, s[0:3], 0 offset:20
	ds_write_b64 v30, v[13:14]
	v_mul_f32_e32 v11, v29, v14
	v_mul_f32_e32 v14, v28, v14
	s_waitcnt vmcnt(35)
	v_sub_f32_e32 v4, v8, v4
	s_waitcnt vmcnt(34)
	v_sub_f32_e32 v8, v34, v10
	v_fmac_f32_e32 v14, v29, v13
	v_sub_f32_e32 v4, v4, v5
	v_sub_f32_e32 v5, v8, v9
	v_mul_f32_e32 v9, v36, v16
	v_fma_f32 v11, v28, v13, -v11
	v_sub_f32_e32 v5, v5, v14
	v_mul_f32_e32 v8, v37, v16
	v_fmac_f32_e32 v9, v37, v15
	v_sub_f32_e32 v4, v4, v11
	v_fma_f32 v8, v36, v15, -v8
	v_sub_f32_e32 v5, v5, v9
	v_mul_f32_e32 v9, v40, v33
	v_sub_f32_e32 v4, v4, v8
	v_mul_f32_e32 v8, v41, v33
	v_fmac_f32_e32 v9, v41, v32
	v_fma_f32 v8, v40, v32, -v8
	v_sub_f32_e32 v5, v5, v9
	v_mul_f32_e32 v9, v55, v18
	v_sub_f32_e32 v4, v4, v8
	v_mul_f32_e32 v8, v56, v18
	v_fmac_f32_e32 v9, v56, v17
	v_fma_f32 v8, v55, v17, -v8
	v_sub_f32_e32 v5, v5, v9
	buffer_store_dword v16, off, s[0:3], 0 offset:28
	ds_write_b64 v42, v[15:16]
	buffer_store_dword v32, off, s[0:3], 0 offset:32
	buffer_store_dword v33, off, s[0:3], 0 offset:36
	ds_write_b64 v31, v[32:33]
	ds_write_b64 v43, v[17:18]
	v_sub_f32_e32 v4, v4, v8
	buffer_load_dword v123, off, s[0:3], 0 offset:48
	buffer_load_dword v124, off, s[0:3], 0 offset:48
	;; [unrolled: 1-line block ×16, first 2 shown]
	s_add_i32 s27, s14, -9
	s_lshl_b32 s29, s27, 3
	s_add_i32 s28, s29, s15
	s_lshl_b32 s27, s27, 8
	s_waitcnt vmcnt(35)
	v_mul_f32_e32 v9, v59, v46
	v_mul_f32_e32 v8, v60, v46
	v_fmac_f32_e32 v9, v60, v45
	v_fma_f32 v8, v59, v45, -v8
	v_sub_f32_e32 v5, v5, v9
	v_sub_f32_e32 v4, v4, v8
	s_waitcnt lgkmcnt(6)
	v_mul_f32_e32 v8, v7, v5
	v_fma_f32 v8, v6, v4, -v8
	v_mul_f32_e32 v5, v6, v5
	ds_write_b64 v38, v[45:46]
	v_fmac_f32_e32 v5, v7, v4
	buffer_store_dword v8, off, s[0:3], 0 offset:56
	buffer_store_dword v5, off, s[0:3], 0 offset:60
	buffer_load_dword v55, off, s[0:3], 0 offset:56
	buffer_load_dword v56, off, s[0:3], 0 offset:60
	;; [unrolled: 1-line block ×5, first 2 shown]
	v_mov_b32_e32 v4, s28
	s_add_i32 s28, s29, s20
	v_mov_b32_e32 v8, s28
	ds_read2_b64 v[4:7], v4 offset1:1
	ds_read2_b64 v[8:11], v8 offset1:1
	s_add_i32 s28, s29, s12
	buffer_load_dword v32, off, s[0:3], 0 offset:4
	buffer_load_dword v127, off, s[0:3], 0 offset:4
	;; [unrolled: 1-line block ×7, first 2 shown]
	buffer_load_dword v128, off, s[0:3], 0
	buffer_load_dword v129, off, s[0:3], 0
	;; [unrolled: 1-line block ×7, first 2 shown]
	s_waitcnt vmcnt(46) lgkmcnt(1)
	v_mul_f32_e32 v13, v7, v57
	v_fma_f32 v13, v6, v44, -v13
	v_mul_f32_e32 v6, v6, v57
	v_fmac_f32_e32 v6, v7, v44
	v_sub_f32_e32 v7, v22, v13
	s_waitcnt vmcnt(42) lgkmcnt(0)
	v_mul_f32_e32 v13, v11, v24
	v_fma_f32 v13, v10, v12, -v13
	v_mul_f32_e32 v10, v10, v24
	v_sub_f32_e32 v6, v23, v6
	v_fmac_f32_e32 v10, v11, v12
	v_sub_f32_e32 v6, v6, v10
	v_mov_b32_e32 v10, s28
	s_add_i32 s28, s29, s13
	v_mov_b32_e32 v14, s28
	buffer_load_dword v130, off, s[0:3], 0 offset:12
	buffer_load_dword v131, off, s[0:3], 0 offset:12
	;; [unrolled: 1-line block ×14, first 2 shown]
	v_sub_f32_e32 v7, v7, v13
	ds_read2_b64 v[10:13], v10 offset1:1
	ds_read2_b64 v[14:17], v14 offset1:1
	s_add_i32 s28, s29, s22
	buffer_load_dword v134, off, s[0:3], 0 offset:20
	buffer_load_dword v135, off, s[0:3], 0 offset:20
	buffer_load_dword v116, off, s[0:3], 0 offset:20
	buffer_load_dword v108, off, s[0:3], 0 offset:20
	buffer_load_dword v98, off, s[0:3], 0 offset:20
	buffer_load_dword v71, off, s[0:3], 0 offset:20
	buffer_load_dword v40, off, s[0:3], 0 offset:20
	buffer_load_dword v136, off, s[0:3], 0 offset:16
	buffer_load_dword v137, off, s[0:3], 0 offset:16
	buffer_load_dword v117, off, s[0:3], 0 offset:16
	buffer_load_dword v109, off, s[0:3], 0 offset:16
	buffer_load_dword v99, off, s[0:3], 0 offset:16
	buffer_load_dword v72, off, s[0:3], 0 offset:16
	buffer_load_dword v41, off, s[0:3], 0 offset:16
	s_waitcnt vmcnt(50) lgkmcnt(1)
	v_mul_f32_e32 v22, v13, v18
	s_waitcnt vmcnt(49)
	v_fma_f32 v22, v12, v25, -v22
	v_mul_f32_e32 v12, v12, v18
	v_fmac_f32_e32 v12, v13, v25
	v_sub_f32_e32 v7, v7, v22
	v_sub_f32_e32 v6, v6, v12
	buffer_load_dword v12, off, s[0:3], 0 offset:28
	buffer_load_dword v138, off, s[0:3], 0 offset:28
	;; [unrolled: 1-line block ×7, first 2 shown]
	s_waitcnt vmcnt(51) lgkmcnt(0)
	v_mul_f32_e32 v13, v17, v28
	v_fma_f32 v13, v16, v19, -v13
	v_mul_f32_e32 v16, v16, v28
	v_sub_f32_e32 v7, v7, v13
	v_mov_b32_e32 v13, s28
	s_add_i32 s28, s29, s21
	v_fmac_f32_e32 v16, v17, v19
	v_mov_b32_e32 v22, s28
	v_sub_f32_e32 v6, v6, v16
	ds_read2_b64 v[16:19], v13 offset1:1
	ds_read2_b64 v[22:25], v22 offset1:1
	s_add_i32 s28, s29, s25
	buffer_load_dword v13, off, s[0:3], 0 offset:36
	buffer_load_dword v139, off, s[0:3], 0 offset:36
	;; [unrolled: 1-line block ×14, first 2 shown]
	s_waitcnt vmcnt(62) lgkmcnt(1)
	v_mul_f32_e32 v28, v19, v30
	v_fma_f32 v28, v18, v29, -v28
	v_mul_f32_e32 v18, v18, v30
	v_fmac_f32_e32 v18, v19, v29
	v_sub_f32_e32 v6, v6, v18
	s_waitcnt lgkmcnt(0)
	v_mul_f32_e32 v18, v25, v27
	v_sub_f32_e32 v7, v7, v28
	v_fma_f32 v18, v24, v26, -v18
	v_mul_f32_e32 v19, v24, v27
	v_sub_f32_e32 v7, v7, v18
	v_mov_b32_e32 v18, s28
	s_add_i32 s28, s29, s23
	v_fmac_f32_e32 v19, v25, v26
	ds_read2_b64 v[24:27], v18 offset1:1
	v_mov_b32_e32 v18, s28
	v_sub_f32_e32 v6, v6, v19
	ds_read2_b64 v[28:31], v18 offset1:1
	buffer_load_dword v19, off, s[0:3], 0 offset:60
	buffer_load_dword v142, off, s[0:3], 0 offset:56
	s_waitcnt lgkmcnt(1)
	v_mul_f32_e32 v18, v27, v46
	v_fma_f32 v18, v26, v45, -v18
	v_mul_f32_e32 v26, v26, v46
	v_fmac_f32_e32 v26, v27, v45
	v_sub_f32_e32 v6, v6, v26
	s_waitcnt lgkmcnt(0)
	v_mul_f32_e32 v26, v30, v56
	s_add_i32 s28, s15, 0xfffff800
	v_fmac_f32_e32 v26, v31, v55
	s_add_i32 s30, s29, s28
	v_sub_f32_e32 v26, v6, v26
	v_mov_b32_e32 v6, s30
	buffer_load_dword v143, off, s[0:3], 0 offset:60
	buffer_load_dword v121, off, s[0:3], 0 offset:60
	;; [unrolled: 1-line block ×12, first 2 shown]
	ds_read2_b64 v[59:62], v6 offset1:1
	v_sub_f32_e32 v7, v7, v18
	v_mul_f32_e32 v18, v31, v56
	v_fma_f32 v18, v30, v55, -v18
	v_sub_f32_e32 v18, v7, v18
	s_add_i32 s29, s29, s27
	s_waitcnt lgkmcnt(0)
	v_mul_f32_e32 v27, v62, v26
	v_mov_b32_e32 v6, s29
	v_fma_f32 v57, v61, v18, -v27
	v_mul_f32_e32 v58, v61, v26
	ds_read_b64 v[6:7], v6
	v_fmac_f32_e32 v58, v62, v18
	buffer_store_dword v57, off, s[0:3], 0 offset:64
	buffer_store_dword v58, off, s[0:3], 0 offset:68
	buffer_load_dword v61, off, s[0:3], 0 offset:68
	buffer_load_dword v62, off, s[0:3], 0 offset:64
	v_mul_f32_e32 v18, v5, v32
	s_waitcnt vmcnt(62)
	v_fma_f32 v18, v4, v128, -v18
	v_mul_f32_e32 v4, v4, v32
	v_fmac_f32_e32 v4, v5, v128
	v_sub_f32_e32 v5, v87, v18
	v_mul_f32_e32 v18, v9, v130
	s_waitcnt vmcnt(59)
	v_fma_f32 v18, v8, v132, -v18
	v_mul_f32_e32 v8, v8, v130
	v_sub_f32_e32 v4, v88, v4
	v_fmac_f32_e32 v8, v9, v132
	v_sub_f32_e32 v4, v4, v8
	s_waitcnt vmcnt(52)
	v_mul_f32_e32 v8, v11, v134
	v_sub_f32_e32 v5, v5, v18
	s_waitcnt vmcnt(45)
	v_fma_f32 v8, v10, v136, -v8
	v_mul_f32_e32 v9, v10, v134
	v_fmac_f32_e32 v9, v11, v136
	v_sub_f32_e32 v5, v5, v8
	s_waitcnt vmcnt(38)
	v_mul_f32_e32 v8, v15, v12
	v_sub_f32_e32 v4, v4, v9
	v_fma_f32 v8, v14, v20, -v8
	v_mul_f32_e32 v9, v14, v12
	v_fmac_f32_e32 v9, v15, v20
	v_sub_f32_e32 v5, v5, v8
	v_sub_f32_e32 v4, v4, v9
	s_add_i32 s29, s14, -11
	s_lshl_b32 s31, s29, 3
	s_waitcnt vmcnt(31)
	v_mul_f32_e32 v8, v17, v13
	s_waitcnt vmcnt(24)
	v_fma_f32 v8, v16, v140, -v8
	v_mul_f32_e32 v9, v16, v13
	v_fmac_f32_e32 v9, v17, v140
	v_sub_f32_e32 v5, v5, v8
	v_mul_f32_e32 v8, v23, v51
	v_sub_f32_e32 v4, v4, v9
	v_fma_f32 v8, v22, v3, -v8
	v_mul_f32_e32 v9, v22, v51
	v_fmac_f32_e32 v9, v23, v3
	v_sub_f32_e32 v3, v5, v8
	v_mul_f32_e32 v8, v24, v125
	v_sub_f32_e32 v4, v4, v9
	v_mul_f32_e32 v5, v25, v125
	v_fmac_f32_e32 v8, v25, v123
	v_fma_f32 v5, v24, v123, -v5
	v_sub_f32_e32 v4, v4, v8
	v_sub_f32_e32 v3, v3, v5
	s_add_i32 s30, s31, s15
	s_lshl_b32 s29, s29, 8
	s_waitcnt vmcnt(17)
	v_mul_f32_e32 v8, v28, v19
	v_mul_f32_e32 v5, v29, v19
	s_waitcnt vmcnt(16)
	v_fmac_f32_e32 v8, v29, v142
	v_fma_f32 v5, v28, v142, -v5
	v_sub_f32_e32 v4, v4, v8
	v_mul_f32_e32 v8, v59, v58
	v_sub_f32_e32 v3, v3, v5
	v_mul_f32_e32 v5, v60, v58
	v_fmac_f32_e32 v8, v60, v57
	v_fma_f32 v5, v59, v57, -v5
	v_sub_f32_e32 v4, v4, v8
	v_sub_f32_e32 v3, v3, v5
	s_waitcnt lgkmcnt(0)
	v_mul_f32_e32 v5, v7, v4
	v_mul_f32_e32 v60, v6, v4
	v_fma_f32 v59, v6, v3, -v5
	v_fmac_f32_e32 v60, v7, v3
	v_mov_b32_e32 v3, s30
	s_add_i32 s30, s31, s20
	ds_read2_b64 v[9:12], v3 offset1:1
	v_mov_b32_e32 v3, s30
	ds_read2_b64 v[5:8], v3 offset1:1
	s_add_i32 s30, s31, s12
	buffer_store_dword v59, off, s[0:3], 0 offset:72
	s_waitcnt lgkmcnt(1)
	v_mul_f32_e32 v3, v12, v127
	v_fma_f32 v3, v11, v129, -v3
	v_mul_f32_e32 v4, v11, v127
	s_waitcnt lgkmcnt(0)
	v_mul_f32_e32 v11, v8, v131
	v_fmac_f32_e32 v4, v12, v129
	v_fma_f32 v11, v7, v133, -v11
	v_mul_f32_e32 v7, v7, v131
	v_sub_f32_e32 v4, v115, v4
	v_fmac_f32_e32 v7, v8, v133
	buffer_store_dword v4, off, s[0:3], 0 offset:84
	v_sub_f32_e32 v4, v4, v7
	v_mov_b32_e32 v7, s30
	ds_read2_b64 v[15:18], v7 offset1:1
	s_add_i32 s30, s31, s13
	v_sub_f32_e32 v3, v89, v3
	v_mov_b32_e32 v7, s30
	v_sub_f32_e32 v3, v3, v11
	ds_read2_b64 v[11:14], v7 offset1:1
	s_waitcnt lgkmcnt(1)
	v_mul_f32_e32 v7, v18, v135
	v_fma_f32 v7, v17, v137, -v7
	buffer_store_dword v3, off, s[0:3], 0 offset:80
	v_mul_f32_e32 v8, v17, v135
	v_sub_f32_e32 v3, v3, v7
	s_waitcnt lgkmcnt(0)
	v_mul_f32_e32 v7, v14, v138
	v_fmac_f32_e32 v8, v18, v137
	v_fma_f32 v7, v13, v21, -v7
	s_add_i32 s30, s31, s22
	v_sub_f32_e32 v4, v4, v8
	v_mul_f32_e32 v8, v13, v138
	v_sub_f32_e32 v3, v3, v7
	v_mov_b32_e32 v7, s30
	v_fmac_f32_e32 v8, v14, v21
	ds_read2_b64 v[21:24], v7 offset1:1
	s_add_i32 s30, s31, s21
	v_mov_b32_e32 v7, s30
	ds_read2_b64 v[17:20], v7 offset1:1
	s_add_i32 s30, s31, s25
	s_waitcnt lgkmcnt(1)
	v_mul_f32_e32 v7, v24, v139
	v_fma_f32 v7, v23, v141, -v7
	v_sub_f32_e32 v3, v3, v7
	s_waitcnt lgkmcnt(0)
	v_mul_f32_e32 v7, v20, v2
	v_fma_f32 v7, v19, v1, -v7
	v_mul_f32_e32 v2, v19, v2
	buffer_store_dword v60, off, s[0:3], 0 offset:76
	v_fmac_f32_e32 v2, v20, v1
	v_sub_f32_e32 v1, v3, v7
	v_mov_b32_e32 v3, s30
	buffer_load_dword v128, off, s[0:3], 0 offset:88
	buffer_load_dword v129, off, s[0:3], 0 offset:92
	ds_read2_b64 v[27:30], v3 offset1:1
	s_add_i32 s30, s31, s23
	v_sub_f32_e32 v4, v4, v8
	v_mul_f32_e32 v8, v23, v139
	v_mov_b32_e32 v3, s30
	v_fmac_f32_e32 v8, v24, v141
	ds_read2_b64 v[23:26], v3 offset1:1
	v_sub_f32_e32 v4, v4, v8
	s_waitcnt lgkmcnt(1)
	v_mul_f32_e32 v3, v30, v126
	v_sub_f32_e32 v2, v4, v2
	v_fma_f32 v3, v29, v124, -v3
	v_mul_f32_e32 v4, v29, v126
	v_fmac_f32_e32 v4, v30, v124
	v_sub_f32_e32 v1, v1, v3
	s_waitcnt vmcnt(21) lgkmcnt(0)
	v_mul_f32_e32 v3, v26, v143
	v_sub_f32_e32 v2, v2, v4
	s_waitcnt vmcnt(15)
	v_fma_f32 v3, v25, v144, -v3
	v_mul_f32_e32 v4, v25, v143
	s_add_i32 s30, s31, s28
	v_fmac_f32_e32 v4, v26, v144
	v_sub_f32_e32 v20, v1, v3
	v_mov_b32_e32 v1, s30
	s_add_i32 s30, s31, s27
	v_sub_f32_e32 v25, v2, v4
	v_mov_b32_e32 v2, s30
	ds_read2_b64 v[29:32], v1 offset1:1
	ds_read2_b64 v[1:4], v2 offset1:1
	s_add_i32 s30, s15, 0xfffff600
	s_add_i32 s33, s31, s30
	buffer_load_dword v123, off, s[0:3], 0 offset:68
	buffer_load_dword v26, off, s[0:3], 0 offset:68
	buffer_load_dword v14, off, s[0:3], 0 offset:68
	buffer_load_dword v8, off, s[0:3], 0 offset:68
	buffer_load_dword v7, off, s[0:3], 0 offset:68
	buffer_load_dword v51, off, s[0:3], 0 offset:68
	buffer_load_dword v88, off, s[0:3], 0 offset:68
	s_waitcnt vmcnt(14) lgkmcnt(1)
	v_mul_f32_e32 v124, v32, v61
	s_waitcnt vmcnt(13)
	v_fma_f32 v124, v31, v62, -v124
	v_mul_f32_e32 v31, v31, v61
	v_fmac_f32_e32 v31, v32, v62
	v_sub_f32_e32 v25, v25, v31
	s_waitcnt lgkmcnt(0)
	v_mul_f32_e32 v31, v4, v60
	v_sub_f32_e32 v20, v20, v124
	v_fma_f32 v31, v3, v59, -v31
	v_mul_f32_e32 v3, v3, v60
	v_fmac_f32_e32 v3, v4, v59
	v_sub_f32_e32 v4, v20, v31
	v_mov_b32_e32 v20, s33
	buffer_load_dword v130, off, s[0:3], 0 offset:64
	buffer_load_dword v132, off, s[0:3], 0 offset:64
	;; [unrolled: 1-line block ×7, first 2 shown]
	ds_read2_b64 v[124:127], v20 offset1:1
	s_add_i32 s31, s31, s29
	v_sub_f32_e32 v3, v25, v3
	v_mov_b32_e32 v20, s31
	buffer_load_dword v131, off, s[0:3], 0 offset:76
	ds_read_b64 v[31:32], v20
	s_waitcnt lgkmcnt(1)
	v_mul_f32_e32 v20, v127, v3
	v_fma_f32 v20, v126, v4, -v20
	v_mul_f32_e32 v62, v126, v3
	buffer_load_dword v126, off, s[0:3], 0 offset:72
	v_fmac_f32_e32 v62, v127, v4
	buffer_store_dword v20, off, s[0:3], 0 offset:80
	buffer_store_dword v62, off, s[0:3], 0 offset:84
	buffer_load_dword v61, off, s[0:3], 0 offset:80
	v_mul_f32_e32 v3, v10, v92
	v_fma_f32 v127, v9, v100, -v3
	v_mul_f32_e32 v9, v9, v92
	v_fmac_f32_e32 v9, v10, v100
	buffer_load_dword v10, off, s[0:3], 0 offset:96
	buffer_load_dword v133, off, s[0:3], 0 offset:100
	;; [unrolled: 1-line block ×6, first 2 shown]
	v_mul_f32_e32 v100, v6, v101
	v_fma_f32 v100, v5, v104, -v100
	v_mul_f32_e32 v5, v5, v101
	v_fmac_f32_e32 v5, v6, v104
	s_add_i32 s31, s14, -13
	s_lshl_b32 s34, s31, 3
	s_add_i32 s33, s34, s15
	s_lshl_b32 s31, s31, 8
	s_waitcnt vmcnt(26)
	v_sub_f32_e32 v92, v128, v127
	s_waitcnt vmcnt(25)
	v_sub_f32_e32 v9, v129, v9
	v_sub_f32_e32 v5, v9, v5
	v_mul_f32_e32 v9, v16, v116
	v_sub_f32_e32 v6, v92, v100
	v_fma_f32 v9, v15, v117, -v9
	v_mul_f32_e32 v15, v15, v116
	v_sub_f32_e32 v6, v6, v9
	v_mul_f32_e32 v9, v12, v118
	v_fmac_f32_e32 v15, v16, v117
	v_fma_f32 v9, v11, v63, -v9
	v_mul_f32_e32 v11, v11, v118
	v_sub_f32_e32 v5, v5, v15
	v_fmac_f32_e32 v11, v12, v63
	v_sub_f32_e32 v5, v5, v11
	v_mul_f32_e32 v11, v21, v119
	v_sub_f32_e32 v6, v6, v9
	v_mul_f32_e32 v9, v22, v119
	v_fmac_f32_e32 v11, v22, v120
	v_fma_f32 v9, v21, v120, -v9
	v_sub_f32_e32 v5, v5, v11
	v_mul_f32_e32 v11, v17, v79
	v_sub_f32_e32 v6, v6, v9
	v_mul_f32_e32 v9, v18, v79
	v_fmac_f32_e32 v11, v18, v64
	v_fma_f32 v9, v17, v64, -v9
	;; [unrolled: 6-line block ×4, first 2 shown]
	v_sub_f32_e32 v5, v5, v11
	s_waitcnt vmcnt(24)
	v_mul_f32_e32 v11, v29, v123
	v_sub_f32_e32 v6, v6, v9
	v_mul_f32_e32 v9, v30, v123
	s_waitcnt vmcnt(17)
	v_fmac_f32_e32 v11, v30, v130
	v_fma_f32 v9, v29, v130, -v9
	v_sub_f32_e32 v12, v5, v11
	v_mul_f32_e32 v23, v124, v62
	v_sub_f32_e32 v9, v6, v9
	buffer_load_dword v15, off, s[0:3], 0 offset:76
	buffer_load_dword v21, off, s[0:3], 0 offset:76
	buffer_load_dword v11, off, s[0:3], 0 offset:76
	buffer_load_dword v5, off, s[0:3], 0 offset:76
	buffer_load_dword v92, off, s[0:3], 0 offset:76
	buffer_load_dword v100, off, s[0:3], 0 offset:76
	buffer_load_dword v79, off, s[0:3], 0 offset:76
	s_waitcnt vmcnt(17)
	v_mul_f32_e32 v16, v2, v131
	buffer_load_dword v18, off, s[0:3], 0 offset:72
	buffer_load_dword v24, off, s[0:3], 0 offset:72
	;; [unrolled: 1-line block ×7, first 2 shown]
	s_waitcnt vmcnt(23)
	v_fma_f32 v16, v1, v126, -v16
	v_mul_f32_e32 v1, v1, v131
	v_fmac_f32_e32 v1, v2, v126
	v_sub_f32_e32 v1, v12, v1
	v_mul_f32_e32 v12, v125, v62
	s_waitcnt vmcnt(20)
	v_fmac_f32_e32 v23, v125, v61
	v_sub_f32_e32 v2, v9, v16
	v_fma_f32 v12, v124, v61, -v12
	v_sub_f32_e32 v1, v1, v23
	v_sub_f32_e32 v2, v2, v12
	s_waitcnt lgkmcnt(0)
	v_mul_f32_e32 v12, v32, v1
	v_mul_f32_e32 v1, v31, v1
	v_fma_f32 v12, v31, v2, -v12
	v_fmac_f32_e32 v1, v32, v2
	buffer_load_dword v22, off, s[0:3], 0 offset:80
	buffer_load_dword v123, off, s[0:3], 0 offset:80
	;; [unrolled: 1-line block ×7, first 2 shown]
	s_nop 0
	buffer_store_dword v12, off, s[0:3], 0 offset:88
	buffer_store_dword v1, off, s[0:3], 0 offset:92
	v_mov_b32_e32 v1, s33
	s_add_i32 s33, s34, s20
	ds_read2_b64 v[27:30], v1 offset1:1
	v_mov_b32_e32 v1, s33
	ds_read2_b64 v[116:119], v1 offset1:1
	buffer_load_dword v63, off, s[0:3], 0 offset:88
	buffer_load_dword v64, off, s[0:3], 0 offset:92
	s_waitcnt lgkmcnt(1)
	v_mul_f32_e32 v2, v29, v78
	v_fmac_f32_e32 v2, v30, v85
	s_waitcnt lgkmcnt(0)
	v_mul_f32_e32 v12, v118, v91
	s_waitcnt vmcnt(29)
	v_sub_f32_e32 v2, v133, v2
	v_fmac_f32_e32 v12, v119, v94
	v_sub_f32_e32 v2, v2, v12
	buffer_load_dword v12, off, s[0:3], 0 offset:84
	v_mul_f32_e32 v1, v30, v78
	v_fma_f32 v1, v29, v85, -v1
	v_sub_f32_e32 v1, v10, v1
	v_mul_f32_e32 v10, v119, v91
	v_fma_f32 v10, v118, v94, -v10
	s_add_i32 s33, s34, s12
	v_sub_f32_e32 v1, v1, v10
	v_mov_b32_e32 v10, s33
	ds_read2_b64 v[29:32], v10 offset1:1
	s_add_i32 s33, s34, s13
	v_mov_b32_e32 v10, s33
	ds_read2_b64 v[126:129], v10 offset1:1
	s_add_i32 s33, s34, s22
	s_waitcnt lgkmcnt(1)
	v_mul_f32_e32 v10, v32, v108
	v_fma_f32 v10, v31, v109, -v10
	v_mul_f32_e32 v23, v31, v108
	v_sub_f32_e32 v1, v1, v10
	s_waitcnt lgkmcnt(0)
	v_mul_f32_e32 v10, v129, v110
	v_fmac_f32_e32 v23, v32, v109
	v_fma_f32 v10, v128, v53, -v10
	v_sub_f32_e32 v2, v2, v23
	v_mul_f32_e32 v23, v128, v110
	v_sub_f32_e32 v1, v1, v10
	v_mov_b32_e32 v10, s33
	v_fmac_f32_e32 v23, v129, v53
	ds_read2_b64 v[128:131], v10 offset1:1
	s_add_i32 s33, s34, s21
	v_mov_b32_e32 v10, s33
	ds_read2_b64 v[133:136], v10 offset1:1
	buffer_store_dword v1, off, s[0:3], 0 offset:96
	s_waitcnt lgkmcnt(1)
	v_mul_f32_e32 v10, v131, v111
	v_fma_f32 v10, v130, v112, -v10
	v_sub_f32_e32 v1, v1, v10
	s_waitcnt lgkmcnt(0)
	v_mul_f32_e32 v10, v136, v66
	v_fma_f32 v10, v135, v65, -v10
	s_add_i32 s33, s34, s25
	buffer_store_dword v2, off, s[0:3], 0 offset:100
	v_sub_f32_e32 v2, v2, v23
	v_mul_f32_e32 v23, v130, v111
	v_sub_f32_e32 v1, v1, v10
	v_mov_b32_e32 v10, s33
	v_fmac_f32_e32 v23, v131, v112
	ds_read2_b64 v[108:111], v10 offset1:1
	s_add_i32 s33, s34, s23
	v_sub_f32_e32 v2, v2, v23
	v_mul_f32_e32 v23, v135, v66
	v_mov_b32_e32 v10, s33
	v_fmac_f32_e32 v23, v136, v65
	ds_read2_b64 v[135:138], v10 offset1:1
	s_waitcnt lgkmcnt(1)
	v_mul_f32_e32 v10, v111, v77
	v_fma_f32 v10, v110, v76, -v10
	v_sub_f32_e32 v1, v1, v10
	v_sub_f32_e32 v2, v2, v23
	s_waitcnt lgkmcnt(0)
	v_mul_f32_e32 v10, v138, v113
	v_mul_f32_e32 v23, v110, v77
	v_fma_f32 v10, v137, v114, -v10
	s_add_i32 s33, s34, s28
	v_fmac_f32_e32 v23, v111, v76
	v_sub_f32_e32 v1, v1, v10
	v_mov_b32_e32 v10, s33
	v_sub_f32_e32 v2, v2, v23
	v_mul_f32_e32 v23, v137, v113
	ds_read2_b64 v[110:113], v10 offset1:1
	s_add_i32 s33, s34, s27
	v_mov_b32_e32 v10, s33
	v_fmac_f32_e32 v23, v138, v114
	ds_read2_b64 v[137:140], v10 offset1:1
	s_waitcnt lgkmcnt(1)
	v_mul_f32_e32 v10, v113, v26
	v_fma_f32 v10, v112, v132, -v10
	v_sub_f32_e32 v2, v2, v23
	v_mul_f32_e32 v23, v112, v26
	v_sub_f32_e32 v1, v1, v10
	s_waitcnt vmcnt(27) lgkmcnt(0)
	v_mul_f32_e32 v10, v140, v15
	v_fmac_f32_e32 v23, v113, v132
	s_waitcnt vmcnt(20)
	v_fma_f32 v10, v139, v18, -v10
	v_mul_f32_e32 v15, v139, v15
	s_add_i32 s33, s34, s30
	v_sub_f32_e32 v2, v2, v23
	v_fmac_f32_e32 v15, v140, v18
	v_sub_f32_e32 v1, v1, v10
	v_mov_b32_e32 v10, s33
	s_add_i32 s33, s34, s29
	v_sub_f32_e32 v2, v2, v15
	v_mov_b32_e32 v15, s33
	ds_read2_b64 v[139:142], v10 offset1:1
	ds_read2_b64 v[143:146], v15 offset1:1
	s_add_i32 s33, s15, 0xfffff400
	s_add_i32 s35, s34, s33
	buffer_load_dword v26, off, s[0:3], 0 offset:84
	buffer_load_dword v18, off, s[0:3], 0 offset:84
	;; [unrolled: 1-line block ×7, first 2 shown]
	s_waitcnt vmcnt(9) lgkmcnt(1)
	v_mul_f32_e32 v15, v142, v12
	v_mul_f32_e32 v12, v141, v12
	v_fma_f32 v15, v141, v22, -v15
	v_fmac_f32_e32 v12, v142, v22
	s_waitcnt lgkmcnt(0)
	v_mul_f32_e32 v22, v146, v64
	v_sub_f32_e32 v1, v1, v15
	v_fma_f32 v22, v145, v63, -v22
	v_mul_f32_e32 v23, v145, v64
	v_sub_f32_e32 v1, v1, v22
	v_mov_b32_e32 v22, s35
	v_sub_f32_e32 v2, v2, v12
	buffer_load_dword v31, off, s[0:3], 0 offset:92
	buffer_load_dword v32, off, s[0:3], 0 offset:92
	buffer_load_dword v12, off, s[0:3], 0 offset:92
	buffer_load_dword v124, off, s[0:3], 0 offset:92
	buffer_load_dword v131, off, s[0:3], 0 offset:92
	buffer_load_dword v91, off, s[0:3], 0 offset:92
	buffer_load_dword v77, off, s[0:3], 0 offset:92
	buffer_load_dword v112, off, s[0:3], 0 offset:88
	buffer_load_dword v130, off, s[0:3], 0 offset:88
	buffer_load_dword v15, off, s[0:3], 0 offset:88
	buffer_load_dword v125, off, s[0:3], 0 offset:88
	buffer_load_dword v132, off, s[0:3], 0 offset:88
	buffer_load_dword v94, off, s[0:3], 0 offset:88
	buffer_load_dword v78, off, s[0:3], 0 offset:88
	v_fmac_f32_e32 v23, v146, v63
	ds_read2_b64 v[145:148], v22 offset1:1
	v_sub_f32_e32 v2, v2, v23
	s_add_i32 s34, s34, s31
	v_mov_b32_e32 v22, s34
	ds_read_b64 v[22:23], v22
	s_waitcnt lgkmcnt(1)
	v_mul_f32_e32 v65, v148, v2
	v_fma_f32 v65, v147, v1, -v65
	v_mul_f32_e32 v66, v147, v2
	v_fmac_f32_e32 v66, v148, v1
	buffer_store_dword v65, off, s[0:3], 0 offset:96
	buffer_store_dword v66, off, s[0:3], 0 offset:100
	buffer_load_dword v65, off, s[0:3], 0 offset:96
	v_mul_f32_e32 v2, v27, v93
	v_mul_f32_e32 v1, v28, v93
	v_fmac_f32_e32 v2, v28, v95
	v_fma_f32 v1, v27, v95, -v1
	v_sub_f32_e32 v2, v4, v2
	v_mul_f32_e32 v4, v116, v96
	v_sub_f32_e32 v1, v3, v1
	v_mul_f32_e32 v3, v117, v96
	v_fmac_f32_e32 v4, v117, v97
	v_fma_f32 v3, v116, v97, -v3
	v_sub_f32_e32 v2, v2, v4
	v_mul_f32_e32 v4, v29, v98
	v_sub_f32_e32 v1, v1, v3
	;; [unrolled: 6-line block ×9, first 2 shown]
	v_mul_f32_e32 v3, v138, v21
	v_fmac_f32_e32 v4, v138, v24
	v_fma_f32 v3, v137, v24, -v3
	v_sub_f32_e32 v2, v2, v4
	s_waitcnt vmcnt(23)
	v_mul_f32_e32 v4, v139, v26
	v_sub_f32_e32 v1, v1, v3
	v_mul_f32_e32 v3, v140, v26
	v_fmac_f32_e32 v4, v140, v123
	v_fma_f32 v3, v139, v123, -v3
	v_sub_f32_e32 v2, v2, v4
	s_waitcnt vmcnt(16)
	v_mul_f32_e32 v4, v143, v31
	v_sub_f32_e32 v1, v1, v3
	v_mul_f32_e32 v3, v144, v31
	s_waitcnt vmcnt(9)
	v_fmac_f32_e32 v4, v144, v112
	v_mul_f32_e32 v27, v145, v66
	v_fma_f32 v3, v143, v112, -v3
	v_sub_f32_e32 v24, v2, v4
	v_mul_f32_e32 v26, v146, v66
	s_add_i32 s34, s38, s22
	v_sub_f32_e32 v21, v1, v3
	v_mov_b32_e32 v1, s34
	s_lshl_b32 s34, s36, 3
	s_add_i32 s35, s34, s15
	ds_read2_b64 v[1:4], v1 offset1:1
	s_waitcnt vmcnt(0)
	v_fmac_f32_e32 v27, v146, v65
	v_fma_f32 v26, v145, v65, -v26
	v_sub_f32_e32 v24, v24, v27
	v_sub_f32_e32 v21, v21, v26
	s_waitcnt lgkmcnt(1)
	v_mul_f32_e32 v26, v23, v24
	v_mul_f32_e32 v27, v22, v24
	v_fma_f32 v26, v22, v21, -v26
	v_fmac_f32_e32 v27, v23, v21
	v_mov_b32_e32 v21, s35
	buffer_load_dword v54, off, s[0:3], 0 offset:96
	buffer_load_dword v14, off, s[0:3], 0 offset:96
	;; [unrolled: 1-line block ×7, first 2 shown]
	ds_read2_b64 v[21:24], v21 offset1:1
	s_add_i32 s35, s34, s20
	buffer_store_dword v26, off, s[0:3], 0 offset:104
	v_mov_b32_e32 v26, s35
	buffer_store_dword v27, off, s[0:3], 0 offset:108
	ds_read2_b64 v[26:29], v26 offset1:1
	s_waitcnt lgkmcnt(1)
	v_mul_f32_e32 v30, v24, v67
	v_fma_f32 v30, v23, v68, -v30
	v_mul_f32_e32 v23, v23, v67
	v_fmac_f32_e32 v23, v24, v68
	s_waitcnt lgkmcnt(0)
	v_mul_f32_e32 v24, v29, v69
	v_sub_f32_e32 v20, v20, v30
	v_fma_f32 v24, v28, v70, -v24
	s_add_i32 s35, s34, s12
	v_sub_f32_e32 v23, v25, v23
	v_mul_f32_e32 v25, v28, v69
	v_sub_f32_e32 v20, v20, v24
	v_mov_b32_e32 v24, s35
	v_fmac_f32_e32 v25, v29, v70
	ds_read2_b64 v[28:31], v24 offset1:1
	s_add_i32 s35, s34, s13
	v_mov_b32_e32 v24, s35
	ds_read2_b64 v[95:98], v24 offset1:1
	s_add_i32 s35, s34, s22
	s_waitcnt lgkmcnt(1)
	v_mul_f32_e32 v24, v31, v71
	v_fma_f32 v24, v30, v72, -v24
	v_sub_f32_e32 v20, v20, v24
	s_waitcnt lgkmcnt(0)
	v_mul_f32_e32 v24, v98, v74
	v_fma_f32 v24, v97, v35, -v24
	v_sub_f32_e32 v20, v20, v24
	v_mov_b32_e32 v24, s35
	ds_read2_b64 v[105:108], v24 offset1:1
	s_add_i32 s35, s34, s21
	v_mov_b32_e32 v24, s35
	ds_read2_b64 v[109:112], v24 offset1:1
	v_sub_f32_e32 v23, v23, v25
	s_waitcnt lgkmcnt(1)
	v_mul_f32_e32 v24, v108, v75
	v_fma_f32 v24, v107, v82, -v24
	v_sub_f32_e32 v20, v20, v24
	buffer_load_dword v24, off, s[0:3], 0 offset:100
	v_mul_f32_e32 v25, v30, v71
	v_fmac_f32_e32 v25, v31, v72
	v_sub_f32_e32 v23, v23, v25
	v_mul_f32_e32 v25, v97, v74
	v_fmac_f32_e32 v25, v98, v35
	v_sub_f32_e32 v23, v23, v25
	;; [unrolled: 3-line block ×3, first 2 shown]
	s_waitcnt lgkmcnt(0)
	v_mul_f32_e32 v25, v112, v49
	v_fma_f32 v25, v111, v48, -v25
	s_add_i32 s35, s34, s25
	v_sub_f32_e32 v20, v20, v25
	v_mov_b32_e32 v25, s35
	v_mul_f32_e32 v30, v111, v49
	ds_read2_b64 v[114:117], v25 offset1:1
	s_add_i32 s35, s34, s23
	buffer_store_dword v23, off, s[0:3], 0 offset:116
	v_fmac_f32_e32 v30, v112, v48
	buffer_store_dword v20, off, s[0:3], 0 offset:112
	v_mov_b32_e32 v31, s35
	v_sub_f32_e32 v23, v23, v30
	buffer_load_dword v25, off, s[0:3], 0 offset:104
	buffer_load_dword v30, off, s[0:3], 0 offset:108
	ds_read2_b64 v[136:139], v31 offset1:1
	s_waitcnt lgkmcnt(1)
	v_mul_f32_e32 v31, v117, v52
	v_fma_f32 v31, v116, v47, -v31
	v_sub_f32_e32 v20, v20, v31
	s_add_i32 s35, s34, s28
	s_waitcnt lgkmcnt(0)
	v_mul_f32_e32 v31, v139, v83
	v_fma_f32 v31, v138, v86, -v31
	v_mul_f32_e32 v35, v116, v52
	v_sub_f32_e32 v20, v20, v31
	v_mov_b32_e32 v31, s35
	v_fmac_f32_e32 v35, v117, v47
	ds_read2_b64 v[116:119], v31 offset1:1
	s_add_i32 s35, s34, s27
	v_sub_f32_e32 v23, v23, v35
	v_mul_f32_e32 v35, v138, v83
	v_mov_b32_e32 v31, s35
	v_fmac_f32_e32 v35, v139, v86
	ds_read2_b64 v[138:141], v31 offset1:1
	s_waitcnt lgkmcnt(1)
	v_mul_f32_e32 v31, v119, v8
	v_fma_f32 v31, v118, v19, -v31
	v_mul_f32_e32 v8, v118, v8
	v_sub_f32_e32 v23, v23, v35
	v_fmac_f32_e32 v8, v119, v19
	v_sub_f32_e32 v19, v20, v31
	s_waitcnt lgkmcnt(0)
	v_mul_f32_e32 v20, v141, v11
	v_mul_f32_e32 v11, v140, v11
	v_sub_f32_e32 v8, v23, v8
	v_fmac_f32_e32 v11, v141, v17
	s_add_i32 s35, s34, s30
	v_sub_f32_e32 v8, v8, v11
	v_mov_b32_e32 v11, s35
	s_add_i32 s35, s34, s29
	v_fma_f32 v20, v140, v17, -v20
	ds_read2_b64 v[140:143], v11 offset1:1
	v_mov_b32_e32 v11, s35
	v_sub_f32_e32 v17, v19, v20
	ds_read2_b64 v[144:147], v11 offset1:1
	buffer_load_dword v11, off, s[0:3], 0 offset:120
	buffer_load_dword v20, off, s[0:3], 0 offset:124
	s_waitcnt lgkmcnt(1)
	v_mul_f32_e32 v19, v143, v18
	v_fma_f32 v19, v142, v16, -v19
	v_mul_f32_e32 v18, v142, v18
	v_fmac_f32_e32 v18, v143, v16
	v_sub_f32_e32 v16, v17, v19
	s_waitcnt lgkmcnt(0)
	v_mul_f32_e32 v17, v147, v32
	v_sub_f32_e32 v8, v8, v18
	v_fma_f32 v17, v146, v130, -v17
	v_mul_f32_e32 v18, v146, v32
	s_add_i32 s35, s34, s33
	v_fmac_f32_e32 v18, v147, v130
	v_sub_f32_e32 v23, v16, v17
	v_mov_b32_e32 v16, s35
	s_add_i32 s35, s34, s31
	v_sub_f32_e32 v8, v8, v18
	v_mov_b32_e32 v31, s35
	ds_read2_b64 v[16:19], v16 offset1:1
	ds_read2_b64 v[166:169], v31 offset1:1
	buffer_load_dword v31, off, s[0:3], 0 offset:24
	buffer_load_dword v32, off, s[0:3], 0 offset:100
	;; [unrolled: 1-line block ×8, first 2 shown]
	s_add_i32 s35, s15, 0xfffff200
	s_add_i32 s34, s34, s35
	s_waitcnt vmcnt(14) lgkmcnt(1)
	v_mul_f32_e32 v35, v19, v24
	v_fma_f32 v35, v18, v54, -v35
	v_mul_f32_e32 v18, v18, v24
	v_fmac_f32_e32 v18, v19, v54
	v_sub_f32_e32 v19, v23, v35
	buffer_load_dword v23, off, s[0:3], 0 offset:40
	buffer_load_dword v24, off, s[0:3], 0 offset:44
	buffer_load_dword v68, off, s[0:3], 0 offset:108
	buffer_load_dword v35, off, s[0:3], 0 offset:108
	buffer_load_dword v52, off, s[0:3], 0 offset:108
	buffer_load_dword v158, off, s[0:3], 0 offset:108
	buffer_load_dword v133, off, s[0:3], 0 offset:108
	buffer_load_dword v108, off, s[0:3], 0 offset:108
	buffer_load_dword v82, off, s[0:3], 0 offset:108
	buffer_load_dword v67, off, s[0:3], 0 offset:104
	buffer_load_dword v47, off, s[0:3], 0 offset:104
	buffer_load_dword v54, off, s[0:3], 0 offset:104
	buffer_load_dword v160, off, s[0:3], 0 offset:104
	buffer_load_dword v135, off, s[0:3], 0 offset:104
	buffer_load_dword v111, off, s[0:3], 0 offset:104
	buffer_load_dword v83, off, s[0:3], 0 offset:104
	v_sub_f32_e32 v8, v8, v18
	s_lshl_b32 s36, s36, 8
	s_waitcnt vmcnt(26) lgkmcnt(0)
	v_mul_f32_e32 v18, v169, v30
	v_fma_f32 v18, v168, v25, -v18
	v_mul_f32_e32 v30, v168, v30
	v_fmac_f32_e32 v30, v169, v25
	v_sub_f32_e32 v25, v19, v18
	v_mov_b32_e32 v18, s34
	ds_read2_b64 v[168:171], v18 offset1:1
	v_sub_f32_e32 v8, v8, v30
	s_mul_i32 s34, s14, 0x108
	s_add_i32 s39, s34, 0xfffff088
	v_mov_b32_e32 v18, s39
	s_waitcnt lgkmcnt(0)
	v_mul_f32_e32 v30, v171, v8
	v_mul_f32_e32 v70, v170, v8
	;; [unrolled: 1-line block ×3, first 2 shown]
	v_fma_f32 v8, v21, v37, -v8
	v_mul_f32_e32 v21, v21, v36
	v_fmac_f32_e32 v21, v22, v37
	v_fma_f32 v69, v170, v25, -v30
	ds_read_b64 v[18:19], v18
	v_fmac_f32_e32 v70, v171, v25
	buffer_store_dword v69, off, s[0:3], 0 offset:112
	buffer_store_dword v70, off, s[0:3], 0 offset:116
	buffer_load_dword v22, off, s[0:3], 0 offset:128
	buffer_load_dword v25, off, s[0:3], 0 offset:132
	;; [unrolled: 1-line block ×6, first 2 shown]
	s_add_i32 s39, s41, s15
	s_waitcnt vmcnt(33)
	v_sub_f32_e32 v8, v11, v8
	s_waitcnt vmcnt(32)
	v_sub_f32_e32 v11, v20, v21
	v_mul_f32_e32 v20, v27, v38
	v_fma_f32 v20, v26, v39, -v20
	v_sub_f32_e32 v8, v8, v20
	v_mul_f32_e32 v20, v29, v40
	v_fma_f32 v20, v28, v41, -v20
	v_sub_f32_e32 v8, v8, v20
	v_mul_f32_e32 v20, v96, v42
	v_mul_f32_e32 v21, v26, v38
	v_fmac_f32_e32 v21, v27, v39
	v_sub_f32_e32 v11, v11, v21
	s_waitcnt vmcnt(31)
	v_fma_f32 v20, v95, v31, -v20
	v_sub_f32_e32 v8, v8, v20
	v_mul_f32_e32 v20, v106, v43
	v_fma_f32 v20, v105, v44, -v20
	v_mul_f32_e32 v21, v28, v40
	v_sub_f32_e32 v8, v8, v20
	v_fmac_f32_e32 v21, v29, v41
	v_mul_f32_e32 v26, v95, v42
	s_waitcnt vmcnt(22)
	v_mul_f32_e32 v20, v110, v24
	v_fma_f32 v20, v109, v23, -v20
	v_sub_f32_e32 v11, v11, v21
	v_fmac_f32_e32 v26, v96, v31
	v_sub_f32_e32 v8, v8, v20
	v_mul_f32_e32 v20, v115, v34
	v_sub_f32_e32 v11, v11, v26
	v_mul_f32_e32 v26, v105, v43
	v_fma_f32 v20, v114, v33, -v20
	v_fmac_f32_e32 v26, v106, v44
	v_mul_f32_e32 v24, v109, v24
	v_sub_f32_e32 v8, v8, v20
	v_mul_f32_e32 v20, v137, v45
	v_sub_f32_e32 v11, v11, v26
	v_fmac_f32_e32 v24, v110, v23
	v_mul_f32_e32 v23, v114, v34
	v_fma_f32 v20, v136, v46, -v20
	v_sub_f32_e32 v11, v11, v24
	v_fmac_f32_e32 v23, v115, v33
	v_mul_f32_e32 v28, v136, v45
	v_sub_f32_e32 v8, v8, v20
	v_mul_f32_e32 v20, v117, v7
	buffer_load_dword v21, off, s[0:3], 0 offset:24
	buffer_load_dword v163, off, s[0:3], 0 offset:24
	;; [unrolled: 1-line block ×18, first 2 shown]
	v_sub_f32_e32 v11, v11, v23
	v_fmac_f32_e32 v28, v137, v46
	v_fma_f32 v20, v116, v13, -v20
	v_mul_f32_e32 v7, v116, v7
	v_sub_f32_e32 v11, v11, v28
	v_fmac_f32_e32 v7, v117, v13
	buffer_load_dword v13, off, s[0:3], 0 offset:12
	buffer_load_dword v28, off, s[0:3], 0 offset:20
	v_sub_f32_e32 v8, v8, v20
	buffer_load_dword v20, off, s[0:3], 0 offset:8
	buffer_load_dword v23, off, s[0:3], 0
	v_sub_f32_e32 v7, v11, v7
	v_mul_f32_e32 v11, v139, v5
	v_fma_f32 v11, v138, v6, -v11
	v_mul_f32_e32 v5, v138, v5
	v_fmac_f32_e32 v5, v139, v6
	v_sub_f32_e32 v6, v8, v11
	v_mul_f32_e32 v8, v140, v10
	v_sub_f32_e32 v5, v7, v5
	v_mul_f32_e32 v7, v141, v10
	v_fmac_f32_e32 v8, v141, v9
	v_fma_f32 v7, v140, v9, -v7
	v_sub_f32_e32 v5, v5, v8
	v_mul_f32_e32 v8, v144, v12
	v_sub_f32_e32 v6, v6, v7
	v_mul_f32_e32 v7, v145, v12
	v_fmac_f32_e32 v8, v145, v15
	v_fma_f32 v7, v144, v15, -v7
	;; [unrolled: 6-line block ×3, first 2 shown]
	v_sub_f32_e32 v5, v5, v8
	s_waitcnt vmcnt(42)
	v_mul_f32_e32 v8, v166, v35
	v_sub_f32_e32 v6, v6, v7
	v_mul_f32_e32 v7, v167, v35
	s_waitcnt vmcnt(35)
	v_fmac_f32_e32 v8, v167, v47
	v_fma_f32 v7, v166, v47, -v7
	v_sub_f32_e32 v5, v5, v8
	v_mul_f32_e32 v8, v168, v70
	v_sub_f32_e32 v6, v6, v7
	v_mul_f32_e32 v7, v169, v70
	v_fmac_f32_e32 v8, v169, v69
	v_fma_f32 v7, v168, v69, -v7
	v_sub_f32_e32 v5, v5, v8
	v_sub_f32_e32 v6, v6, v7
	s_waitcnt lgkmcnt(0)
	v_mul_f32_e32 v7, v19, v5
	v_fma_f32 v71, v18, v6, -v7
	v_mul_f32_e32 v72, v18, v5
	v_fmac_f32_e32 v72, v19, v6
	buffer_store_dword v71, off, s[0:3], 0 offset:120
	buffer_store_dword v72, off, s[0:3], 0 offset:124
	buffer_load_dword v31, off, s[0:3], 0 offset:36
	buffer_load_dword v32, off, s[0:3], 0 offset:32
	buffer_load_dword v33, off, s[0:3], 0 offset:48
	buffer_load_dword v34, off, s[0:3], 0 offset:52
	v_mov_b32_e32 v5, s39
	s_add_i32 s39, s41, s20
	v_mov_b32_e32 v6, s39
	ds_read2_b64 v[9:12], v5 offset1:1
	ds_read2_b64 v[5:8], v6 offset1:1
	buffer_load_dword v180, off, s[0:3], 0 offset:4
	buffer_load_dword v166, off, s[0:3], 0 offset:4
	;; [unrolled: 1-line block ×4, first 2 shown]
	buffer_load_dword v181, off, s[0:3], 0
	buffer_load_dword v167, off, s[0:3], 0
	;; [unrolled: 1-line block ×4, first 2 shown]
	buffer_load_dword v182, off, s[0:3], 0 offset:12
	buffer_load_dword v168, off, s[0:3], 0 offset:12
	;; [unrolled: 1-line block ×9, first 2 shown]
	s_add_i32 s39, s41, s12
	s_waitcnt vmcnt(29) lgkmcnt(1)
	v_mul_f32_e32 v14, v12, v24
	s_waitcnt vmcnt(23)
	v_fma_f32 v14, v11, v23, -v14
	v_mul_f32_e32 v11, v11, v24
	v_fmac_f32_e32 v11, v12, v23
	v_sub_f32_e32 v12, v22, v14
	s_waitcnt lgkmcnt(0)
	v_mul_f32_e32 v14, v8, v13
	v_fma_f32 v14, v7, v20, -v14
	v_mul_f32_e32 v7, v7, v13
	v_sub_f32_e32 v11, v25, v11
	v_fmac_f32_e32 v7, v8, v20
	v_sub_f32_e32 v20, v11, v7
	v_mov_b32_e32 v7, s39
	s_add_i32 s39, s41, s13
	v_sub_f32_e32 v19, v12, v14
	v_mov_b32_e32 v8, s39
	ds_read2_b64 v[15:18], v7 offset1:1
	ds_read2_b64 v[11:14], v8 offset1:1
	buffer_load_dword v36, off, s[0:3], 0 offset:56
	buffer_load_dword v184, off, s[0:3], 0 offset:20
	;; [unrolled: 1-line block ×5, first 2 shown]
	s_add_i32 s39, s41, s22
	buffer_load_dword v185, off, s[0:3], 0 offset:16
	buffer_load_dword v8, off, s[0:3], 0 offset:16
	;; [unrolled: 1-line block ×4, first 2 shown]
	s_waitcnt lgkmcnt(1)
	v_mul_f32_e32 v22, v18, v28
	v_fma_f32 v22, v17, v29, -v22
	v_mul_f32_e32 v17, v17, v28
	v_fmac_f32_e32 v17, v18, v29
	v_sub_f32_e32 v18, v19, v22
	s_waitcnt lgkmcnt(0)
	v_mul_f32_e32 v19, v14, v30
	v_fma_f32 v19, v13, v21, -v19
	v_mul_f32_e32 v13, v13, v30
	v_sub_f32_e32 v17, v20, v17
	v_fmac_f32_e32 v13, v14, v21
	v_sub_f32_e32 v28, v17, v13
	v_mov_b32_e32 v13, s39
	s_add_i32 s39, s41, s21
	buffer_load_dword v186, off, s[0:3], 0 offset:28
	buffer_load_dword v170, off, s[0:3], 0 offset:28
	;; [unrolled: 1-line block ×4, first 2 shown]
	v_sub_f32_e32 v25, v18, v19
	v_mov_b32_e32 v14, s39
	ds_read2_b64 v[21:24], v13 offset1:1
	ds_read2_b64 v[17:20], v14 offset1:1
	s_add_i32 s39, s41, s25
	buffer_load_dword v13, off, s[0:3], 0 offset:36
	buffer_load_dword v171, off, s[0:3], 0 offset:36
	buffer_load_dword v142, off, s[0:3], 0 offset:36
	buffer_load_dword v114, off, s[0:3], 0 offset:36
	buffer_load_dword v14, off, s[0:3], 0 offset:32
	buffer_load_dword v172, off, s[0:3], 0 offset:32
	buffer_load_dword v143, off, s[0:3], 0 offset:32
	buffer_load_dword v115, off, s[0:3], 0 offset:32
	s_waitcnt vmcnt(41) lgkmcnt(1)
	v_mul_f32_e32 v29, v24, v31
	s_waitcnt vmcnt(40)
	v_fma_f32 v29, v23, v32, -v29
	v_mul_f32_e32 v23, v23, v31
	v_fmac_f32_e32 v23, v24, v32
	v_sub_f32_e32 v24, v25, v29
	s_waitcnt lgkmcnt(0)
	v_mul_f32_e32 v25, v20, v26
	v_fma_f32 v25, v19, v27, -v25
	v_mul_f32_e32 v19, v19, v26
	v_sub_f32_e32 v23, v28, v23
	v_fmac_f32_e32 v19, v20, v27
	v_sub_f32_e32 v32, v23, v19
	v_mov_b32_e32 v19, s39
	s_add_i32 s39, s41, s23
	v_sub_f32_e32 v31, v24, v25
	v_mov_b32_e32 v20, s39
	ds_read2_b64 v[27:30], v19 offset1:1
	ds_read2_b64 v[23:26], v20 offset1:1
	buffer_load_dword v19, off, s[0:3], 0 offset:52
	buffer_load_dword v173, off, s[0:3], 0 offset:52
	buffer_load_dword v144, off, s[0:3], 0 offset:52
	buffer_load_dword v116, off, s[0:3], 0 offset:52
	buffer_load_dword v20, off, s[0:3], 0 offset:48
	buffer_load_dword v174, off, s[0:3], 0 offset:48
	buffer_load_dword v145, off, s[0:3], 0 offset:48
	buffer_load_dword v117, off, s[0:3], 0 offset:48
	s_add_i32 s39, s41, s28
	s_waitcnt vmcnt(46) lgkmcnt(1)
	v_mul_f32_e32 v37, v30, v34
	v_fma_f32 v37, v29, v33, -v37
	v_mul_f32_e32 v29, v29, v34
	v_fmac_f32_e32 v29, v30, v33
	v_sub_f32_e32 v29, v32, v29
	buffer_store_dword v29, off, s[0:3], 0 offset:132
	buffer_load_dword v93, off, s[0:3], 0 offset:112
	buffer_load_dword v95, off, s[0:3], 0 offset:116
	;; [unrolled: 1-line block ×6, first 2 shown]
	v_sub_f32_e32 v30, v31, v37
	s_waitcnt vmcnt(36) lgkmcnt(0)
	v_mul_f32_e32 v31, v26, v35
	buffer_load_dword v188, off, s[0:3], 0 offset:56
	buffer_load_dword v176, off, s[0:3], 0 offset:56
	;; [unrolled: 1-line block ×4, first 2 shown]
	s_waitcnt vmcnt(39)
	v_fma_f32 v31, v25, v36, -v31
	v_mul_f32_e32 v25, v25, v35
	v_fmac_f32_e32 v25, v26, v36
	v_mov_b32_e32 v26, s39
	ds_read2_b64 v[33:36], v26 offset1:1
	s_add_i32 s39, s41, s27
	v_mov_b32_e32 v26, s39
	v_sub_f32_e32 v37, v30, v31
	v_sub_f32_e32 v25, v29, v25
	ds_read2_b64 v[29:32], v26 offset1:1
	s_waitcnt lgkmcnt(1)
	v_mul_f32_e32 v26, v36, v51
	v_fma_f32 v38, v35, v87, -v26
	v_mul_f32_e32 v35, v35, v51
	v_fmac_f32_e32 v35, v36, v87
	buffer_load_dword v26, off, s[0:3], 0 offset:124
	v_sub_f32_e32 v25, v25, v35
	s_waitcnt lgkmcnt(0)
	v_mul_f32_e32 v35, v32, v92
	buffer_store_dword v37, off, s[0:3], 0 offset:128
	v_sub_f32_e32 v36, v37, v38
	v_fma_f32 v35, v31, v101, -v35
	v_mul_f32_e32 v37, v31, v92
	buffer_load_dword v31, off, s[0:3], 0 offset:120
	s_add_i32 s39, s41, s30
	v_fmac_f32_e32 v37, v32, v101
	v_sub_f32_e32 v32, v36, v35
	v_mov_b32_e32 v35, s39
	ds_read2_b64 v[39:42], v35 offset1:1
	s_add_i32 s39, s41, s29
	v_mov_b32_e32 v35, s39
	v_sub_f32_e32 v25, v25, v37
	ds_read2_b64 v[35:38], v35 offset1:1
	s_waitcnt lgkmcnt(1)
	v_mul_f32_e32 v43, v42, v53
	v_fma_f32 v43, v41, v104, -v43
	v_mul_f32_e32 v41, v41, v53
	v_fmac_f32_e32 v41, v42, v104
	v_sub_f32_e32 v25, v25, v41
	s_waitcnt lgkmcnt(0)
	v_mul_f32_e32 v41, v38, v124
	v_fma_f32 v41, v37, v125, -v41
	v_mul_f32_e32 v37, v37, v124
	s_add_i32 s39, s41, s33
	v_fmac_f32_e32 v37, v38, v125
	v_mov_b32_e32 v38, s39
	ds_read2_b64 v[45:48], v38 offset1:1
	s_add_i32 s39, s41, s31
	v_sub_f32_e32 v32, v32, v43
	v_sub_f32_e32 v25, v25, v37
	v_mov_b32_e32 v37, s39
	v_sub_f32_e32 v32, v32, v41
	ds_read2_b64 v[41:44], v37 offset1:1
	s_waitcnt lgkmcnt(1)
	v_mul_f32_e32 v37, v48, v49
	v_mul_f32_e32 v38, v47, v49
	v_fma_f32 v37, v47, v50, -v37
	v_fmac_f32_e32 v38, v48, v50
	v_sub_f32_e32 v32, v32, v37
	v_sub_f32_e32 v25, v25, v38
	s_waitcnt lgkmcnt(0)
	v_mul_f32_e32 v37, v44, v52
	v_mul_f32_e32 v38, v43, v52
	v_fma_f32 v37, v43, v54, -v37
	v_fmac_f32_e32 v38, v44, v54
	s_add_i32 s39, s41, s35
	v_sub_f32_e32 v32, v32, v37
	v_sub_f32_e32 v37, v25, v38
	v_mov_b32_e32 v25, s39
	s_add_i32 s39, s41, s36
	v_mov_b32_e32 v38, s39
	ds_read2_b64 v[51:54], v25 offset1:1
	ds_read2_b64 v[47:50], v38 offset1:1
	buffer_load_dword v25, off, s[0:3], 0 offset:116
	buffer_load_dword v149, off, s[0:3], 0 offset:116
	;; [unrolled: 1-line block ×14, first 2 shown]
	s_add_i32 s39, s15, 0xfffff000
	s_waitcnt vmcnt(25) lgkmcnt(1)
	v_mul_f32_e32 v38, v54, v95
	v_fma_f32 v38, v53, v93, -v38
	v_mul_f32_e32 v53, v53, v95
	v_fmac_f32_e32 v53, v54, v93
	v_sub_f32_e32 v37, v37, v53
	buffer_load_dword v194, off, s[0:3], 0 offset:124
	buffer_load_dword v178, off, s[0:3], 0 offset:124
	;; [unrolled: 1-line block ×14, first 2 shown]
	v_sub_f32_e32 v32, v32, v38
	s_add_i32 s41, s41, s39
	s_waitcnt vmcnt(30) lgkmcnt(0)
	v_mul_f32_e32 v38, v50, v26
	v_mul_f32_e32 v26, v49, v26
	s_waitcnt vmcnt(28)
	v_fma_f32 v38, v49, v31, -v38
	v_fmac_f32_e32 v26, v50, v31
	v_mov_b32_e32 v31, s41
	ds_read2_b64 v[189:192], v31 offset1:1
	v_sub_f32_e32 v26, v37, v26
	v_sub_f32_e32 v49, v32, v38
	s_add_i32 s41, s34, 0xffffee78
	v_mov_b32_e32 v31, s41
	s_waitcnt lgkmcnt(0)
	v_mul_f32_e32 v37, v192, v26
	v_mul_f32_e32 v38, v191, v26
	;; [unrolled: 1-line block ×3, first 2 shown]
	v_fma_f32 v26, v9, v181, -v26
	v_mul_f32_e32 v9, v9, v180
	v_fmac_f32_e32 v9, v10, v181
	v_sub_f32_e32 v10, v161, v26
	v_mul_f32_e32 v26, v6, v182
	v_fma_f32 v26, v5, v183, -v26
	v_mul_f32_e32 v5, v5, v182
	v_sub_f32_e32 v9, v162, v9
	v_fmac_f32_e32 v5, v6, v183
	v_sub_f32_e32 v6, v10, v26
	v_mul_f32_e32 v10, v15, v184
	v_sub_f32_e32 v5, v9, v5
	v_mul_f32_e32 v9, v16, v184
	v_fmac_f32_e32 v10, v16, v185
	v_fma_f32 v9, v15, v185, -v9
	v_sub_f32_e32 v5, v5, v10
	v_mul_f32_e32 v10, v11, v186
	v_sub_f32_e32 v6, v6, v9
	v_mul_f32_e32 v9, v12, v186
	v_fmac_f32_e32 v10, v12, v163
	v_fma_f32 v9, v11, v163, -v9
	;; [unrolled: 6-line block ×6, first 2 shown]
	v_sub_f32_e32 v5, v5, v10
	v_mul_f32_e32 v10, v33, v88
	v_fma_f32 v37, v191, v49, -v37
	v_sub_f32_e32 v6, v6, v9
	v_mul_f32_e32 v9, v34, v88
	v_fmac_f32_e32 v10, v34, v89
	ds_read_b64 v[31:32], v31
	v_fmac_f32_e32 v38, v192, v49
	buffer_store_dword v37, off, s[0:3], 0 offset:128
	buffer_store_dword v38, off, s[0:3], 0 offset:132
	;; [unrolled: 1-line block ×3, first 2 shown]
	v_fma_f32 v9, v33, v89, -v9
	v_sub_f32_e32 v5, v5, v10
	v_mul_f32_e32 v10, v29, v100
	v_sub_f32_e32 v6, v6, v9
	v_mul_f32_e32 v9, v30, v100
	v_fmac_f32_e32 v10, v30, v120
	v_fma_f32 v9, v29, v120, -v9
	v_sub_f32_e32 v5, v5, v10
	v_mul_f32_e32 v10, v39, v122
	buffer_store_dword v6, off, s[0:3], 0 offset:136
	v_sub_f32_e32 v6, v6, v9
	v_mul_f32_e32 v9, v40, v122
	v_fmac_f32_e32 v10, v40, v121
	v_fma_f32 v9, v39, v121, -v9
	v_sub_f32_e32 v5, v5, v10
	v_mul_f32_e32 v10, v35, v131
	v_sub_f32_e32 v6, v6, v9
	v_mul_f32_e32 v9, v36, v131
	v_fmac_f32_e32 v10, v36, v132
	v_fma_f32 v9, v35, v132, -v9
	v_sub_f32_e32 v5, v5, v10
	v_mul_f32_e32 v10, v45, v150
	;; [unrolled: 6-line block ×3, first 2 shown]
	v_sub_f32_e32 v6, v6, v9
	v_mul_f32_e32 v9, v42, v158
	v_fmac_f32_e32 v10, v42, v160
	v_fma_f32 v9, v41, v160, -v9
	v_sub_f32_e32 v5, v5, v10
	s_waitcnt vmcnt(31)
	v_mul_f32_e32 v10, v51, v25
	v_sub_f32_e32 v6, v6, v9
	v_mul_f32_e32 v9, v52, v25
	s_waitcnt vmcnt(24)
	v_fmac_f32_e32 v10, v52, v193
	v_fma_f32 v9, v51, v193, -v9
	v_sub_f32_e32 v5, v5, v10
	s_waitcnt vmcnt(17)
	v_mul_f32_e32 v10, v47, v194
	v_sub_f32_e32 v6, v6, v9
	v_mul_f32_e32 v9, v48, v194
	s_waitcnt vmcnt(10)
	v_fmac_f32_e32 v10, v48, v195
	v_fma_f32 v9, v47, v195, -v9
	v_sub_f32_e32 v5, v5, v10
	v_mul_f32_e32 v10, v189, v38
	v_sub_f32_e32 v6, v6, v9
	v_mul_f32_e32 v9, v190, v38
	v_fmac_f32_e32 v10, v190, v37
	v_fma_f32 v9, v189, v37, -v9
	v_sub_f32_e32 v5, v5, v10
	v_sub_f32_e32 v6, v6, v9
	s_waitcnt lgkmcnt(0)
	v_mul_f32_e32 v9, v32, v5
	v_fma_f32 v39, v31, v6, -v9
	v_mul_f32_e32 v40, v31, v5
	v_fmac_f32_e32 v40, v32, v6
	buffer_store_dword v39, off, s[0:3], 0 offset:136
	buffer_store_dword v40, off, s[0:3], 0 offset:140
	buffer_load_dword v41, off, s[0:3], 0 offset:68
	buffer_load_dword v42, off, s[0:3], 0 offset:64
	s_add_i32 s41, s43, s15
	v_mov_b32_e32 v5, s41
	s_add_i32 s41, s43, s20
	ds_read2_b64 v[13:16], v5 offset1:1
	v_mov_b32_e32 v5, s41
	ds_read2_b64 v[9:12], v5 offset1:1
	s_add_i32 s41, s43, s12
	s_waitcnt lgkmcnt(1)
	v_mul_f32_e32 v5, v16, v166
	v_fma_f32 v5, v15, v167, -v5
	v_mul_f32_e32 v6, v15, v166
	s_waitcnt lgkmcnt(0)
	v_mul_f32_e32 v15, v12, v168
	v_fma_f32 v15, v11, v169, -v15
	v_mul_f32_e32 v11, v11, v168
	v_fmac_f32_e32 v6, v16, v167
	v_fmac_f32_e32 v11, v12, v169
	v_mov_b32_e32 v12, s41
	v_sub_f32_e32 v6, v155, v6
	ds_read2_b64 v[19:22], v12 offset1:1
	s_add_i32 s41, s43, s13
	v_sub_f32_e32 v5, v154, v5
	v_sub_f32_e32 v6, v6, v11
	v_mov_b32_e32 v11, s41
	v_sub_f32_e32 v5, v5, v15
	ds_read2_b64 v[15:18], v11 offset1:1
	s_waitcnt lgkmcnt(1)
	v_mul_f32_e32 v11, v22, v7
	v_mul_f32_e32 v7, v21, v7
	v_fmac_f32_e32 v7, v22, v8
	v_fma_f32 v11, v21, v8, -v11
	v_sub_f32_e32 v6, v6, v7
	s_waitcnt lgkmcnt(0)
	v_mul_f32_e32 v7, v18, v170
	v_sub_f32_e32 v5, v5, v11
	v_fma_f32 v7, v17, v152, -v7
	s_add_i32 s41, s43, s22
	v_sub_f32_e32 v5, v5, v7
	v_mov_b32_e32 v7, s41
	ds_read2_b64 v[25:28], v7 offset1:1
	s_add_i32 s41, s43, s21
	v_mov_b32_e32 v7, s41
	ds_read2_b64 v[21:24], v7 offset1:1
	s_add_i32 s41, s43, s25
	s_waitcnt lgkmcnt(1)
	v_mul_f32_e32 v7, v28, v171
	v_fma_f32 v7, v27, v172, -v7
	v_sub_f32_e32 v5, v5, v7
	s_waitcnt lgkmcnt(0)
	v_mul_f32_e32 v7, v24, v151
	v_fma_f32 v7, v23, v153, -v7
	v_mul_f32_e32 v8, v17, v170
	v_sub_f32_e32 v5, v5, v7
	v_mov_b32_e32 v7, s41
	v_fmac_f32_e32 v8, v18, v152
	ds_read2_b64 v[31:34], v7 offset1:1
	s_add_i32 s41, s43, s23
	v_sub_f32_e32 v6, v6, v8
	v_mul_f32_e32 v8, v27, v171
	v_mov_b32_e32 v7, s41
	v_fmac_f32_e32 v8, v28, v172
	ds_read2_b64 v[27:30], v7 offset1:1
	v_sub_f32_e32 v6, v6, v8
	v_mul_f32_e32 v8, v23, v151
	v_fmac_f32_e32 v8, v24, v153
	s_waitcnt lgkmcnt(1)
	v_mul_f32_e32 v7, v34, v173
	v_sub_f32_e32 v6, v6, v8
	v_fma_f32 v7, v33, v174, -v7
	v_mul_f32_e32 v8, v33, v173
	v_fmac_f32_e32 v8, v34, v174
	v_sub_f32_e32 v5, v5, v7
	s_waitcnt lgkmcnt(0)
	v_mul_f32_e32 v7, v30, v175
	v_sub_f32_e32 v6, v6, v8
	v_fma_f32 v7, v29, v176, -v7
	v_mul_f32_e32 v8, v29, v175
	s_add_i32 s41, s43, s28
	v_fmac_f32_e32 v8, v30, v176
	v_sub_f32_e32 v18, v5, v7
	v_mov_b32_e32 v5, s41
	s_add_i32 s41, s43, s27
	v_sub_f32_e32 v23, v6, v8
	v_mov_b32_e32 v6, s41
	ds_read2_b64 v[33:36], v5 offset1:1
	ds_read2_b64 v[5:8], v6 offset1:1
	s_add_i32 s41, s43, s30
	buffer_load_dword v17, off, s[0:3], 0 offset:68
	buffer_load_dword v11, off, s[0:3], 0 offset:68
	;; [unrolled: 1-line block ×14, first 2 shown]
	s_waitcnt vmcnt(15) lgkmcnt(1)
	v_mul_f32_e32 v24, v36, v41
	v_mul_f32_e32 v30, v35, v41
	s_waitcnt vmcnt(14)
	v_fma_f32 v24, v35, v42, -v24
	v_fmac_f32_e32 v30, v36, v42
	s_waitcnt lgkmcnt(0)
	v_mul_f32_e32 v35, v8, v79
	v_sub_f32_e32 v18, v18, v24
	v_sub_f32_e32 v23, v23, v30
	v_fma_f32 v35, v7, v80, -v35
	v_mul_f32_e32 v7, v7, v79
	buffer_store_dword v23, off, s[0:3], 0 offset:148
	v_fmac_f32_e32 v7, v8, v80
	v_sub_f32_e32 v8, v18, v35
	v_mov_b32_e32 v18, s41
	buffer_load_dword v24, off, s[0:3], 0 offset:132
	buffer_load_dword v30, off, s[0:3], 0 offset:128
	ds_read2_b64 v[166:169], v18 offset1:1
	s_add_i32 s41, s43, s29
	v_mov_b32_e32 v18, s41
	ds_read2_b64 v[170:173], v18 offset1:1
	v_sub_f32_e32 v7, v23, v7
	s_waitcnt lgkmcnt(1)
	v_mul_f32_e32 v23, v168, v85
	v_mul_f32_e32 v18, v169, v85
	v_fmac_f32_e32 v23, v169, v81
	v_fma_f32 v18, v168, v81, -v18
	v_sub_f32_e32 v7, v7, v23
	s_waitcnt lgkmcnt(0)
	v_mul_f32_e32 v23, v173, v91
	s_add_i32 s41, s43, s33
	buffer_store_dword v8, off, s[0:3], 0 offset:144
	v_sub_f32_e32 v8, v8, v18
	buffer_load_dword v18, off, s[0:3], 0 offset:140
	v_fma_f32 v23, v172, v94, -v23
	v_mul_f32_e32 v35, v172, v91
	v_mov_b32_e32 v36, s41
	v_fmac_f32_e32 v35, v173, v94
	v_sub_f32_e32 v8, v8, v23
	buffer_load_dword v23, off, s[0:3], 0 offset:136
	ds_read2_b64 v[172:175], v36 offset1:1
	s_add_i32 s41, s43, s31
	v_sub_f32_e32 v7, v7, v35
	v_mov_b32_e32 v35, s41
	ds_read2_b64 v[180:183], v35 offset1:1
	s_waitcnt lgkmcnt(1)
	v_mul_f32_e32 v35, v175, v123
	v_fma_f32 v35, v174, v113, -v35
	v_mul_f32_e32 v36, v174, v123
	v_sub_f32_e32 v8, v8, v35
	s_waitcnt lgkmcnt(0)
	v_mul_f32_e32 v35, v183, v133
	v_fmac_f32_e32 v36, v175, v113
	v_fma_f32 v35, v182, v135, -v35
	s_add_i32 s41, s43, s35
	v_sub_f32_e32 v7, v7, v36
	v_mul_f32_e32 v36, v182, v133
	v_sub_f32_e32 v8, v8, v35
	v_mov_b32_e32 v35, s41
	s_add_i32 s41, s43, s36
	v_fmac_f32_e32 v36, v183, v135
	ds_read2_b64 v[182:185], v35 offset1:1
	v_mov_b32_e32 v35, s41
	v_sub_f32_e32 v7, v7, v36
	ds_read2_b64 v[186:189], v35 offset1:1
	buffer_load_dword v36, off, s[0:3], 0 offset:152
	buffer_load_dword v79, off, s[0:3], 0 offset:156
	s_waitcnt lgkmcnt(1)
	v_mul_f32_e32 v35, v185, v149
	v_fma_f32 v35, v184, v177, -v35
	v_mul_f32_e32 v41, v184, v149
	v_fmac_f32_e32 v41, v185, v177
	v_sub_f32_e32 v8, v8, v35
	s_waitcnt lgkmcnt(0)
	v_mul_f32_e32 v35, v189, v178
	v_sub_f32_e32 v7, v7, v41
	v_fma_f32 v35, v188, v179, -v35
	v_mul_f32_e32 v41, v188, v178
	s_add_i32 s41, s43, s39
	v_fmac_f32_e32 v41, v189, v179
	v_sub_f32_e32 v8, v8, v35
	v_mov_b32_e32 v35, s41
	s_add_i32 s41, s43, s40
	v_sub_f32_e32 v7, v7, v41
	v_mov_b32_e32 v41, s41
	ds_read2_b64 v[174:177], v35 offset1:1
	ds_read2_b64 v[188:191], v41 offset1:1
	s_add_i32 s41, s15, 0xffffee00
	s_add_i32 s43, s43, s41
	buffer_load_dword v35, off, s[0:3], 0 offset:132
	buffer_load_dword v160, off, s[0:3], 0 offset:132
	;; [unrolled: 1-line block ×14, first 2 shown]
	s_waitcnt vmcnt(20) lgkmcnt(1)
	v_mul_f32_e32 v49, v177, v24
	v_mul_f32_e32 v24, v176, v24
	s_waitcnt vmcnt(19)
	v_fmac_f32_e32 v24, v177, v30
	v_fma_f32 v49, v176, v30, -v49
	v_sub_f32_e32 v7, v7, v24
	v_sub_f32_e32 v8, v8, v49
	buffer_load_dword v30, off, s[0:3], 0 offset:140
	buffer_load_dword v161, off, s[0:3], 0 offset:140
	;; [unrolled: 1-line block ×16, first 2 shown]
	s_waitcnt vmcnt(33) lgkmcnt(0)
	v_mul_f32_e32 v24, v191, v18
	v_mul_f32_e32 v18, v190, v18
	s_waitcnt vmcnt(32)
	v_fma_f32 v24, v190, v23, -v24
	v_sub_f32_e32 v80, v8, v24
	v_mov_b32_e32 v8, s43
	ds_read2_b64 v[176:179], v8 offset1:1
	v_fmac_f32_e32 v18, v191, v23
	v_sub_f32_e32 v18, v7, v18
	s_add_i32 s43, s34, 0xffffec68
	v_mov_b32_e32 v7, s43
	s_waitcnt lgkmcnt(0)
	v_mul_f32_e32 v23, v179, v18
	v_fma_f32 v23, v178, v80, -v23
	v_mul_f32_e32 v24, v178, v18
	v_mul_f32_e32 v18, v14, v134
	ds_read_b64 v[7:8], v7
	v_fmac_f32_e32 v24, v179, v80
	buffer_store_dword v23, off, s[0:3], 0 offset:144
	buffer_store_dword v24, off, s[0:3], 0 offset:148
	v_fma_f32 v18, v13, v136, -v18
	v_mul_f32_e32 v13, v13, v134
	v_fmac_f32_e32 v13, v14, v136
	buffer_load_dword v14, off, s[0:3], 0 offset:160
	buffer_load_dword v178, off, s[0:3], 0 offset:164
	s_add_i32 s43, s38, s15
	s_waitcnt vmcnt(35)
	v_sub_f32_e32 v18, v36, v18
	buffer_load_dword v36, off, s[0:3], 0 offset:80
	s_waitcnt vmcnt(35)
	v_sub_f32_e32 v13, v79, v13
	v_mul_f32_e32 v79, v10, v137
	v_fma_f32 v79, v9, v138, -v79
	v_mul_f32_e32 v9, v9, v137
	v_fmac_f32_e32 v9, v10, v138
	v_sub_f32_e32 v9, v13, v9
	v_mul_f32_e32 v13, v20, v139
	v_sub_f32_e32 v10, v18, v79
	v_fma_f32 v13, v19, v140, -v13
	v_sub_f32_e32 v10, v10, v13
	v_mul_f32_e32 v13, v16, v141
	v_fma_f32 v13, v15, v127, -v13
	v_sub_f32_e32 v10, v10, v13
	v_mul_f32_e32 v13, v26, v142
	;; [unrolled: 3-line block ×4, first 2 shown]
	v_fma_f32 v13, v31, v145, -v13
	v_mul_f32_e32 v18, v19, v139
	v_sub_f32_e32 v10, v10, v13
	v_mul_f32_e32 v13, v28, v146
	v_fmac_f32_e32 v18, v20, v140
	v_mul_f32_e32 v15, v15, v141
	v_fma_f32 v13, v27, v147, -v13
	v_sub_f32_e32 v9, v9, v18
	v_fmac_f32_e32 v15, v16, v127
	v_sub_f32_e32 v10, v10, v13
	v_mul_f32_e32 v13, v34, v17
	v_sub_f32_e32 v9, v9, v15
	v_mul_f32_e32 v15, v25, v142
	v_fma_f32 v13, v33, v29, -v13
	v_fmac_f32_e32 v15, v26, v143
	v_sub_f32_e32 v10, v10, v13
	buffer_load_dword v13, off, s[0:3], 0 offset:148
	buffer_load_dword v165, off, s[0:3], 0 offset:76
	;; [unrolled: 1-line block ×8, first 2 shown]
	v_sub_f32_e32 v9, v9, v15
	v_mul_f32_e32 v15, v21, v129
	buffer_load_dword v16, off, s[0:3], 0 offset:144
	buffer_load_dword v179, off, s[0:3], 0 offset:72
	;; [unrolled: 1-line block ×8, first 2 shown]
	v_fmac_f32_e32 v15, v22, v130
	v_sub_f32_e32 v9, v9, v15
	v_mul_f32_e32 v15, v31, v144
	v_fmac_f32_e32 v15, v32, v145
	v_sub_f32_e32 v9, v9, v15
	v_mul_f32_e32 v15, v27, v146
	;; [unrolled: 3-line block ×3, first 2 shown]
	v_fmac_f32_e32 v15, v34, v29
	v_sub_f32_e32 v9, v9, v15
	s_waitcnt vmcnt(22)
	v_mul_f32_e32 v15, v6, v85
	s_waitcnt vmcnt(21)
	v_fma_f32 v15, v5, v122, -v15
	v_mul_f32_e32 v5, v5, v85
	v_fmac_f32_e32 v5, v6, v122
	v_sub_f32_e32 v6, v10, v15
	v_mul_f32_e32 v10, v166, v76
	v_sub_f32_e32 v5, v9, v5
	v_mul_f32_e32 v9, v167, v76
	buffer_store_dword v5, off, s[0:3], 0 offset:156
	buffer_load_dword v164, off, s[0:3], 0 offset:80
	buffer_load_dword v145, off, s[0:3], 0 offset:80
	;; [unrolled: 1-line block ×7, first 2 shown]
	s_waitcnt vmcnt(24)
	v_fmac_f32_e32 v10, v167, v36
	v_fma_f32 v9, v166, v36, -v9
	v_sub_f32_e32 v5, v5, v10
	v_mul_f32_e32 v10, v170, v77
	v_sub_f32_e32 v6, v6, v9
	v_mul_f32_e32 v9, v171, v77
	v_fmac_f32_e32 v10, v171, v78
	v_fma_f32 v9, v170, v78, -v9
	v_sub_f32_e32 v5, v5, v10
	v_mul_f32_e32 v10, v172, v90
	v_sub_f32_e32 v6, v6, v9
	v_mul_f32_e32 v9, v173, v90
	;; [unrolled: 6-line block ×7, first 2 shown]
	v_fmac_f32_e32 v10, v189, v169
	v_fma_f32 v9, v188, v169, -v9
	v_sub_f32_e32 v5, v5, v10
	s_waitcnt vmcnt(23)
	v_mul_f32_e32 v10, v176, v13
	v_sub_f32_e32 v6, v6, v9
	v_mul_f32_e32 v9, v177, v13
	s_waitcnt vmcnt(15)
	v_fmac_f32_e32 v10, v177, v16
	v_fma_f32 v9, v176, v16, -v9
	v_sub_f32_e32 v5, v5, v10
	v_sub_f32_e32 v9, v6, v9
	s_waitcnt lgkmcnt(0)
	v_mul_f32_e32 v6, v7, v5
	v_fmac_f32_e32 v6, v8, v9
	buffer_load_dword v156, off, s[0:3], 0 offset:148
	buffer_load_dword v144, off, s[0:3], 0 offset:148
	;; [unrolled: 1-line block ×14, first 2 shown]
	v_add_u32_e32 v10, s23, v227
	buffer_store_dword v6, off, s[0:3], 0 offset:156
	buffer_load_dword v6, off, s[0:3], 0 offset:156
	ds_write_b64 v10, v[55:56]
	v_add_u32_e32 v10, s28, v227
	ds_write_b64 v10, v[57:58]
	v_add_u32_e32 v10, s27, v227
	;; [unrolled: 2-line block ×10, first 2 shown]
	v_mul_f32_e32 v5, v8, v5
	ds_write_b64 v10, v[39:40]
	v_add_u32_e32 v10, s41, v227
	v_fma_f32 v5, v7, v9, -v5
	ds_write_b64 v10, v[23:24]
	buffer_store_dword v5, off, s[0:3], 0 offset:152
	v_add_u32_e32 v7, s42, v227
	v_mov_b32_e32 v8, s43
	s_add_i32 s43, s38, s20
	ds_read2_b64 v[37:40], v8 offset1:1
	buffer_load_dword v60, off, s[0:3], 0 offset:156
	buffer_load_dword v147, off, s[0:3], 0 offset:156
	;; [unrolled: 1-line block ×7, first 2 shown]
	s_waitcnt vmcnt(8)
	ds_write_b64 v7, v[5:6]
	v_mov_b32_e32 v5, s43
	ds_read2_b64 v[33:36], v5 offset1:1
	s_waitcnt lgkmcnt(2)
	v_mul_f32_e32 v5, v40, v102
	v_fma_f32 v5, v39, v103, -v5
	v_sub_f32_e32 v5, v14, v5
	s_add_i32 s43, s38, s12
	s_waitcnt lgkmcnt(0)
	v_mul_f32_e32 v7, v36, v105
	v_fma_f32 v7, v35, v106, -v7
	v_mul_f32_e32 v8, v35, v105
	v_sub_f32_e32 v5, v5, v7
	v_mov_b32_e32 v7, s43
	buffer_load_dword v35, off, s[0:3], 0 offset:84
	ds_read2_b64 v[29:32], v7 offset1:1
	s_add_i32 s43, s38, s13
	v_mov_b32_e32 v7, s43
	ds_read2_b64 v[25:28], v7 offset1:1
	v_mul_f32_e32 v6, v39, v102
	v_fmac_f32_e32 v6, v40, v103
	v_sub_f32_e32 v6, v178, v6
	v_fmac_f32_e32 v8, v36, v106
	s_waitcnt lgkmcnt(1)
	v_mul_f32_e32 v7, v32, v109
	v_sub_f32_e32 v6, v6, v8
	v_fma_f32 v7, v31, v110, -v7
	v_mul_f32_e32 v8, v31, v109
	v_fmac_f32_e32 v8, v32, v110
	v_sub_f32_e32 v5, v5, v7
	s_waitcnt lgkmcnt(0)
	v_mul_f32_e32 v7, v28, v112
	v_sub_f32_e32 v6, v6, v8
	v_fma_f32 v7, v27, v98, -v7
	v_mul_f32_e32 v8, v27, v112
	buffer_load_dword v27, off, s[0:3], 0 offset:92
	v_fmac_f32_e32 v8, v28, v98
	buffer_load_dword v28, off, s[0:3], 0 offset:88
	v_sub_f32_e32 v5, v5, v7
	v_mul_f32_e32 v7, v4, v114
	v_fma_f32 v7, v3, v115, -v7
	v_mul_f32_e32 v3, v3, v114
	s_add_i32 s43, s38, s21
	v_fmac_f32_e32 v3, v4, v115
	v_sub_f32_e32 v4, v5, v7
	v_mov_b32_e32 v5, s43
	ds_read2_b64 v[21:24], v5 offset1:1
	s_add_i32 s43, s38, s25
	v_mov_b32_e32 v5, s43
	ds_read2_b64 v[17:20], v5 offset1:1
	v_sub_f32_e32 v6, v6, v8
	s_waitcnt lgkmcnt(1)
	v_mul_f32_e32 v5, v24, v97
	v_fma_f32 v5, v23, v99, -v5
	v_sub_f32_e32 v3, v6, v3
	v_mul_f32_e32 v6, v23, v97
	v_sub_f32_e32 v4, v4, v5
	s_waitcnt lgkmcnt(0)
	v_mul_f32_e32 v5, v20, v116
	v_fmac_f32_e32 v6, v24, v99
	v_fma_f32 v5, v19, v117, -v5
	s_add_i32 s43, s38, s23
	v_sub_f32_e32 v3, v3, v6
	v_mul_f32_e32 v6, v19, v116
	v_sub_f32_e32 v7, v4, v5
	v_mov_b32_e32 v4, s43
	v_fmac_f32_e32 v6, v20, v117
	ds_read2_b64 v[13:16], v4 offset1:1
	s_add_i32 s43, s38, s28
	v_sub_f32_e32 v8, v3, v6
	v_mov_b32_e32 v3, s43
	ds_read2_b64 v[3:6], v3 offset1:1
	s_waitcnt lgkmcnt(1)
	v_mul_f32_e32 v9, v16, v118
	v_fma_f32 v9, v15, v119, -v9
	v_mul_f32_e32 v10, v15, v118
	v_sub_f32_e32 v7, v7, v9
	s_waitcnt lgkmcnt(0)
	v_mul_f32_e32 v9, v6, v11
	v_fmac_f32_e32 v10, v16, v119
	v_fma_f32 v9, v5, v12, -v9
	v_mul_f32_e32 v5, v5, v11
	s_add_i32 s43, s38, s27
	v_sub_f32_e32 v8, v8, v10
	v_fmac_f32_e32 v5, v6, v12
	v_mov_b32_e32 v6, s43
	s_add_i32 s43, s38, s30
	v_sub_f32_e32 v15, v7, v9
	ds_read2_b64 v[9:12], v6 offset1:1
	v_sub_f32_e32 v16, v8, v5
	v_mov_b32_e32 v5, s43
	ds_read2_b64 v[5:8], v5 offset1:1
	s_add_i32 s43, s38, s29
	s_waitcnt lgkmcnt(1)
	v_mul_f32_e32 v19, v12, v165
	v_fma_f32 v19, v11, v179, -v19
	v_mul_f32_e32 v11, v11, v165
	v_fmac_f32_e32 v11, v12, v179
	v_sub_f32_e32 v15, v15, v19
	v_sub_f32_e32 v19, v16, v11
	buffer_load_dword v65, off, s[0:3], 0 offset:84
	buffer_load_dword v106, off, s[0:3], 0 offset:84
	;; [unrolled: 1-line block ×7, first 2 shown]
	s_waitcnt vmcnt(9) lgkmcnt(0)
	v_mul_f32_e32 v20, v8, v35
	v_fma_f32 v20, v7, v164, -v20
	v_mul_f32_e32 v7, v7, v35
	v_fmac_f32_e32 v7, v8, v164
	v_sub_f32_e32 v23, v19, v7
	buffer_store_dword v23, off, s[0:3], 0 offset:164
	v_mov_b32_e32 v7, s43
	s_add_i32 s43, s38, s33
	v_mov_b32_e32 v8, s43
	ds_read2_b64 v[167:170], v7 offset1:1
	ds_read2_b64 v[171:174], v8 offset1:1
	v_sub_f32_e32 v15, v15, v20
	buffer_load_dword v66, off, s[0:3], 0 offset:92
	buffer_load_dword v164, off, s[0:3], 0 offset:92
	;; [unrolled: 1-line block ×14, first 2 shown]
	s_add_i32 s43, s38, s31
	s_waitcnt vmcnt(23) lgkmcnt(1)
	v_mul_f32_e32 v24, v170, v27
	v_mul_f32_e32 v27, v169, v27
	s_waitcnt vmcnt(22)
	v_fma_f32 v24, v169, v28, -v24
	v_sub_f32_e32 v15, v15, v24
	s_waitcnt lgkmcnt(0)
	v_mul_f32_e32 v24, v174, v75
	v_fma_f32 v24, v173, v73, -v24
	buffer_store_dword v15, off, s[0:3], 0 offset:160
	v_sub_f32_e32 v15, v15, v24
	buffer_load_dword v24, off, s[0:3], 0 offset:152
	v_fmac_f32_e32 v27, v170, v28
	v_sub_f32_e32 v23, v23, v27
	v_mul_f32_e32 v27, v173, v75
	v_mov_b32_e32 v28, s43
	v_fmac_f32_e32 v27, v174, v73
	ds_read2_b64 v[173:176], v28 offset1:1
	s_add_i32 s43, s38, s35
	v_sub_f32_e32 v23, v23, v27
	v_mov_b32_e32 v27, s43
	ds_read2_b64 v[177:180], v27 offset1:1
	s_waitcnt lgkmcnt(1)
	v_mul_f32_e32 v27, v176, v82
	v_fma_f32 v27, v175, v83, -v27
	v_mul_f32_e32 v28, v175, v82
	v_sub_f32_e32 v15, v15, v27
	s_waitcnt lgkmcnt(0)
	v_mul_f32_e32 v27, v180, v96
	v_fmac_f32_e32 v28, v176, v83
	v_fma_f32 v27, v179, v125, -v27
	s_add_i32 s43, s38, s36
	v_sub_f32_e32 v23, v23, v28
	v_mul_f32_e32 v28, v179, v96
	v_sub_f32_e32 v15, v15, v27
	v_mov_b32_e32 v27, s43
	v_fmac_f32_e32 v28, v180, v125
	ds_read2_b64 v[179:182], v27 offset1:1
	s_add_i32 s43, s38, s39
	v_mov_b32_e32 v27, s43
	ds_read2_b64 v[183:186], v27 offset1:1
	v_sub_f32_e32 v23, v23, v28
	s_waitcnt lgkmcnt(1)
	v_mul_f32_e32 v27, v182, v124
	v_fma_f32 v27, v181, v126, -v27
	v_mul_f32_e32 v28, v181, v124
	v_sub_f32_e32 v15, v15, v27
	s_waitcnt lgkmcnt(0)
	v_mul_f32_e32 v27, v186, v160
	v_fmac_f32_e32 v28, v182, v126
	v_fma_f32 v27, v185, v162, -v27
	s_add_i32 s43, s38, s40
	v_sub_f32_e32 v23, v23, v28
	v_mul_f32_e32 v28, v185, v160
	v_sub_f32_e32 v15, v15, v27
	v_mov_b32_e32 v27, s43
	buffer_load_dword v31, off, s[0:3], 0 offset:4
	buffer_load_dword v32, off, s[0:3], 0
	v_fmac_f32_e32 v28, v186, v162
	buffer_load_dword v35, off, s[0:3], 0 offset:168
	buffer_load_dword v61, off, s[0:3], 0 offset:172
	ds_read2_b64 v[185:188], v27 offset1:1
	s_add_i32 s43, s38, s41
	v_mov_b32_e32 v27, s43
	ds_read2_b64 v[189:192], v27 offset1:1
	buffer_load_dword v62, off, s[0:3], 0 offset:12
	buffer_load_dword v64, off, s[0:3], 0 offset:20
	;; [unrolled: 1-line block ×4, first 2 shown]
	s_waitcnt lgkmcnt(1)
	v_mul_f32_e32 v27, v188, v161
	v_fma_f32 v27, v187, v163, -v27
	v_sub_f32_e32 v15, v15, v27
	s_waitcnt lgkmcnt(0)
	v_mul_f32_e32 v27, v192, v156
	v_sub_f32_e32 v23, v23, v28
	v_mul_f32_e32 v28, v187, v161
	v_fma_f32 v27, v191, v157, -v27
	s_add_i32 s43, s38, s42
	v_fmac_f32_e32 v28, v188, v163
	v_sub_f32_e32 v27, v15, v27
	v_mov_b32_e32 v15, s43
	s_add_i32 s43, s15, 0xffffec00
	v_sub_f32_e32 v23, v23, v28
	v_mul_f32_e32 v28, v191, v156
	s_add_i32 s38, s38, s43
	v_fmac_f32_e32 v28, v192, v157
	ds_read2_b64 v[191:194], v15 offset1:1
	v_mov_b32_e32 v15, s38
	v_sub_f32_e32 v28, v23, v28
	ds_read2_b64 v[195:198], v15 offset1:1
	buffer_load_dword v97, off, s[0:3], 0 offset:28
	buffer_load_dword v169, off, s[0:3], 0 offset:152
	;; [unrolled: 1-line block ×9, first 2 shown]
	s_waitcnt lgkmcnt(1)
	v_mul_f32_e32 v73, v194, v60
	v_mul_f32_e32 v60, v193, v60
	s_add_i32 s38, s34, 0xffffea58
	s_waitcnt vmcnt(17)
	v_fmac_f32_e32 v60, v194, v24
	v_fma_f32 v73, v193, v24, -v73
	v_sub_f32_e32 v28, v28, v60
	v_sub_f32_e32 v24, v27, v73
	s_waitcnt lgkmcnt(0)
	v_mul_f32_e32 v27, v198, v28
	v_mul_f32_e32 v28, v197, v28
	v_fma_f32 v27, v197, v24, -v27
	v_fmac_f32_e32 v28, v198, v24
	v_add_u32_e32 v24, s43, v227
	buffer_store_dword v27, off, s[0:3], 0 offset:160
	buffer_store_dword v28, off, s[0:3], 0 offset:164
	ds_write_b64 v24, v[27:28]
	buffer_load_dword v99, off, s[0:3], 0 offset:32
	buffer_load_dword v102, off, s[0:3], 0 offset:36
	;; [unrolled: 1-line block ×8, first 2 shown]
	buffer_load_dword v175, off, s[0:3], 0
	buffer_load_dword v225, off, s[0:3], 0
	buffer_load_dword v114, off, s[0:3], 0
	buffer_load_dword v73, off, s[0:3], 0
	buffer_load_dword v60, off, s[0:3], 0
	buffer_load_dword v24, off, s[0:3], 0
	buffer_load_dword v176, off, s[0:3], 0 offset:176
	buffer_load_dword v181, off, s[0:3], 0 offset:180
	;; [unrolled: 1-line block ×6, first 2 shown]
	s_waitcnt vmcnt(38)
	v_mul_f32_e32 v27, v38, v31
	s_waitcnt vmcnt(37)
	v_fma_f32 v27, v37, v32, -v27
	v_mul_f32_e32 v28, v37, v31
	v_fmac_f32_e32 v28, v38, v32
	s_waitcnt vmcnt(36)
	v_sub_f32_e32 v32, v35, v27
	s_waitcnt vmcnt(35)
	v_sub_f32_e32 v28, v61, v28
	buffer_load_dword v182, off, s[0:3], 0 offset:12
	buffer_load_dword v226, off, s[0:3], 0 offset:12
	;; [unrolled: 1-line block ×10, first 2 shown]
	s_waitcnt vmcnt(44)
	v_mul_f32_e32 v35, v34, v62
	s_waitcnt vmcnt(41)
	v_fma_f32 v35, v33, v63, -v35
	v_mul_f32_e32 v33, v33, v62
	v_fmac_f32_e32 v33, v34, v63
	v_sub_f32_e32 v34, v32, v35
	v_mul_f32_e32 v35, v30, v64
	v_fma_f32 v35, v29, v67, -v35
	v_mul_f32_e32 v29, v29, v64
	v_sub_f32_e32 v33, v28, v33
	v_fmac_f32_e32 v29, v30, v67
	v_sub_f32_e32 v34, v34, v35
	v_sub_f32_e32 v35, v33, v29
	buffer_load_dword v193, off, s[0:3], 0 offset:20
	buffer_load_dword v229, off, s[0:3], 0 offset:20
	;; [unrolled: 1-line block ×16, first 2 shown]
	s_waitcnt vmcnt(56)
	v_mul_f32_e32 v62, v26, v97
	buffer_load_dword v198, off, s[0:3], 0 offset:24
	buffer_load_dword v232, off, s[0:3], 0 offset:24
	;; [unrolled: 1-line block ×6, first 2 shown]
	s_waitcnt vmcnt(54)
	v_fma_f32 v62, v25, v98, -v62
	v_mul_f32_e32 v25, v25, v97
	v_fmac_f32_e32 v25, v26, v98
	v_sub_f32_e32 v26, v34, v62
	v_sub_f32_e32 v34, v35, v25
	buffer_load_dword v199, off, s[0:3], 0 offset:32
	buffer_load_dword v233, off, s[0:3], 0 offset:32
	;; [unrolled: 1-line block ×6, first 2 shown]
	s_waitcnt vmcnt(56)
	v_mul_f32_e32 v35, v2, v102
	v_fma_f32 v35, v1, v99, -v35
	v_mul_f32_e32 v1, v1, v102
	v_fmac_f32_e32 v1, v2, v99
	v_sub_f32_e32 v2, v26, v35
	s_waitcnt vmcnt(54)
	v_mul_f32_e32 v35, v22, v156
	v_mul_f32_e32 v203, v21, v156
	v_sub_f32_e32 v1, v34, v1
	buffer_load_dword v200, off, s[0:3], 0 offset:44
	buffer_load_dword v234, off, s[0:3], 0 offset:44
	;; [unrolled: 1-line block ×6, first 2 shown]
	v_fma_f32 v35, v21, v105, -v35
	v_fmac_f32_e32 v203, v22, v105
	buffer_load_dword v204, off, s[0:3], 0 offset:52
	buffer_load_dword v235, off, s[0:3], 0 offset:52
	buffer_load_dword v156, off, s[0:3], 0 offset:52
	buffer_load_dword v98, off, s[0:3], 0 offset:52
	buffer_load_dword v21, off, s[0:3], 0 offset:48
	buffer_load_dword v205, off, s[0:3], 0 offset:108
	buffer_load_dword v206, off, s[0:3], 0 offset:48
	buffer_load_dword v236, off, s[0:3], 0 offset:48
	buffer_load_dword v159, off, s[0:3], 0 offset:48
	buffer_load_dword v22, off, s[0:3], 0 offset:44
	buffer_load_dword v209, off, s[0:3], 0 offset:104
	s_waitcnt vmcnt(62)
	v_mul_f32_e32 v208, v17, v160
	v_mul_f32_e32 v67, v14, v170
	v_fmac_f32_e32 v208, v18, v157
	v_fma_f32 v212, v13, v161, -v67
	v_mul_f32_e32 v13, v13, v170
	v_sub_f32_e32 v1, v1, v203
	v_fmac_f32_e32 v13, v14, v161
	v_sub_f32_e32 v1, v1, v208
	v_sub_f32_e32 v1, v1, v13
	v_mul_f32_e32 v13, v4, v100
	v_sub_f32_e32 v2, v2, v35
	v_mul_f32_e32 v35, v18, v160
	v_fma_f32 v13, v3, v152, -v13
	v_mul_f32_e32 v3, v3, v100
	v_fma_f32 v207, v17, v157, -v35
	v_fmac_f32_e32 v3, v4, v152
	v_sub_f32_e32 v2, v2, v207
	v_sub_f32_e32 v1, v1, v3
	v_mul_f32_e32 v3, v10, v140
	buffer_load_dword v210, off, s[0:3], 0 offset:60
	buffer_load_dword v237, off, s[0:3], 0 offset:60
	;; [unrolled: 1-line block ×18, first 2 shown]
	v_sub_f32_e32 v2, v2, v212
	v_fma_f32 v3, v9, v143, -v3
	v_mul_f32_e32 v4, v9, v140
	buffer_load_dword v9, off, s[0:3], 0 offset:164
	v_sub_f32_e32 v2, v2, v13
	buffer_load_dword v13, off, s[0:3], 0 offset:160
	v_sub_f32_e32 v2, v2, v3
	v_mul_f32_e32 v3, v6, v65
	v_fmac_f32_e32 v4, v10, v143
	v_fma_f32 v3, v5, v145, -v3
	v_sub_f32_e32 v1, v1, v4
	v_mul_f32_e32 v4, v5, v65
	v_sub_f32_e32 v2, v2, v3
	v_mul_f32_e32 v3, v168, v66
	v_fmac_f32_e32 v4, v6, v145
	v_fma_f32 v3, v167, v103, -v3
	v_sub_f32_e32 v1, v1, v4
	v_mul_f32_e32 v4, v167, v66
	v_sub_f32_e32 v2, v2, v3
	v_mul_f32_e32 v3, v172, v74
	v_fmac_f32_e32 v4, v168, v103
	v_sub_f32_e32 v1, v1, v4
	v_mul_f32_e32 v4, v171, v74
	buffer_load_dword v207, off, s[0:3], 0 offset:96
	buffer_load_dword v240, off, s[0:3], 0 offset:96
	;; [unrolled: 1-line block ×6, first 2 shown]
	s_waitcnt vmcnt(39)
	v_fma_f32 v3, v171, v201, -v3
	v_sub_f32_e32 v3, v2, v3
	s_waitcnt vmcnt(31)
	v_mul_f32_e32 v6, v174, v205
	v_fmac_f32_e32 v4, v172, v201
	v_mul_f32_e32 v10, v173, v205
	v_sub_f32_e32 v4, v1, v4
	buffer_load_dword v214, off, s[0:3], 0 offset:108
	buffer_load_dword v241, off, s[0:3], 0 offset:108
	;; [unrolled: 1-line block ×6, first 2 shown]
	s_waitcnt vmcnt(32)
	v_fma_f32 v6, v173, v209, -v6
	v_sub_f32_e32 v3, v3, v6
	v_mul_f32_e32 v6, v178, v43
	v_fmac_f32_e32 v10, v174, v209
	v_fma_f32 v6, v177, v101, -v6
	v_sub_f32_e32 v4, v4, v10
	v_mul_f32_e32 v10, v177, v43
	v_sub_f32_e32 v3, v3, v6
	v_mul_f32_e32 v6, v180, v104
	v_fmac_f32_e32 v10, v178, v101
	v_fma_f32 v6, v179, v107, -v6
	v_sub_f32_e32 v4, v4, v10
	v_mul_f32_e32 v10, v179, v104
	;; [unrolled: 6-line block ×5, first 2 shown]
	v_sub_f32_e32 v3, v3, v6
	v_mul_f32_e32 v6, v192, v147
	v_fmac_f32_e32 v10, v190, v146
	v_fma_f32 v6, v191, v169, -v6
	s_waitcnt vmcnt(13)
	v_mul_f32_e32 v146, v196, v9
	v_sub_f32_e32 v4, v4, v10
	v_mul_f32_e32 v10, v191, v147
	v_sub_f32_e32 v43, v3, v6
	s_waitcnt vmcnt(12)
	v_fma_f32 v146, v195, v13, -v146
	v_mul_f32_e32 v9, v195, v9
	v_fmac_f32_e32 v10, v192, v169
	v_fmac_f32_e32 v9, v196, v13
	v_sub_f32_e32 v13, v43, v146
	v_mov_b32_e32 v43, s38
	buffer_load_dword v215, off, s[0:3], 0 offset:104
	buffer_load_dword v242, off, s[0:3], 0 offset:104
	;; [unrolled: 1-line block ×6, first 2 shown]
	v_sub_f32_e32 v144, v4, v10
	buffer_load_dword v155, off, s[0:3], 0 offset:164
	buffer_load_dword v158, off, s[0:3], 0 offset:164
	;; [unrolled: 1-line block ×12, first 2 shown]
	ds_read_b64 v[146:147], v43
	s_add_i32 s38, s45, s15
	v_mov_b32_e32 v43, s38
	ds_read2_b64 v[167:170], v43 offset1:1
	v_sub_f32_e32 v9, v144, v9
	s_waitcnt lgkmcnt(1)
	v_mul_f32_e32 v43, v147, v9
	v_mul_f32_e32 v154, v146, v9
	v_fma_f32 v153, v146, v13, -v43
	v_fmac_f32_e32 v154, v147, v13
	v_add_u32_e32 v9, s37, v227
	s_add_i32 s38, s45, s20
	buffer_store_dword v153, off, s[0:3], 0 offset:168
	buffer_store_dword v154, off, s[0:3], 0 offset:172
	ds_write_b64 v9, v[153:154]
	s_waitcnt lgkmcnt(1)
	v_mul_f32_e32 v9, v170, v187
	v_mul_f32_e32 v13, v169, v187
	v_mov_b32_e32 v43, s38
	v_fma_f32 v9, v169, v175, -v9
	v_fmac_f32_e32 v13, v170, v175
	ds_read2_b64 v[169:172], v43 offset1:1
	s_add_i32 s38, s45, s12
	v_mov_b32_e32 v43, s38
	v_sub_f32_e32 v9, v176, v9
	ds_read2_b64 v[173:176], v43 offset1:1
	s_waitcnt lgkmcnt(1)
	v_mul_f32_e32 v43, v172, v182
	v_fma_f32 v43, v171, v188, -v43
	v_mul_f32_e32 v144, v171, v182
	v_sub_f32_e32 v9, v9, v43
	s_waitcnt lgkmcnt(0)
	v_mul_f32_e32 v43, v176, v193
	v_sub_f32_e32 v13, v181, v13
	v_fmac_f32_e32 v144, v172, v188
	v_fma_f32 v43, v175, v194, -v43
	s_add_i32 s38, s45, s13
	v_sub_f32_e32 v13, v13, v144
	v_mul_f32_e32 v144, v175, v193
	v_sub_f32_e32 v9, v9, v43
	v_mov_b32_e32 v43, s38
	v_fmac_f32_e32 v144, v176, v194
	ds_read2_b64 v[175:178], v43 offset1:1
	s_add_i32 s38, s45, s22
	v_mov_b32_e32 v43, s38
	ds_read2_b64 v[179:182], v43 offset1:1
	v_sub_f32_e32 v13, v13, v144
	s_waitcnt lgkmcnt(1)
	v_mul_f32_e32 v43, v178, v197
	v_fma_f32 v43, v177, v198, -v43
	v_sub_f32_e32 v9, v9, v43
	buffer_load_dword v43, off, s[0:3], 0 offset:100
	v_mul_f32_e32 v144, v177, v197
	v_fmac_f32_e32 v144, v178, v198
	v_sub_f32_e32 v13, v13, v144
	s_waitcnt lgkmcnt(0)
	v_mul_f32_e32 v144, v182, v213
	v_fma_f32 v144, v181, v199, -v144
	s_add_i32 s38, s45, s21
	v_mul_f32_e32 v146, v181, v213
	v_sub_f32_e32 v9, v9, v144
	v_mov_b32_e32 v144, s38
	v_fmac_f32_e32 v146, v182, v199
	ds_read2_b64 v[181:184], v144 offset1:1
	s_add_i32 s38, s45, s25
	v_mov_b32_e32 v144, s38
	ds_read2_b64 v[185:188], v144 offset1:1
	v_sub_f32_e32 v13, v13, v146
	s_waitcnt lgkmcnt(1)
	v_mul_f32_e32 v144, v184, v200
	v_fma_f32 v144, v183, v202, -v144
	v_mul_f32_e32 v146, v183, v200
	v_sub_f32_e32 v9, v9, v144
	s_waitcnt lgkmcnt(0)
	v_mul_f32_e32 v144, v188, v204
	v_fmac_f32_e32 v146, v184, v202
	v_fma_f32 v144, v187, v206, -v144
	s_add_i32 s38, s45, s23
	v_sub_f32_e32 v13, v13, v146
	v_mul_f32_e32 v146, v187, v204
	v_sub_f32_e32 v9, v9, v144
	v_mov_b32_e32 v144, s38
	v_fmac_f32_e32 v146, v188, v206
	ds_read2_b64 v[187:190], v144 offset1:1
	s_add_i32 s38, s45, s28
	v_mov_b32_e32 v144, s38
	ds_read2_b64 v[191:194], v144 offset1:1
	v_sub_f32_e32 v13, v13, v146
	s_waitcnt lgkmcnt(1)
	v_mul_f32_e32 v144, v190, v210
	v_fma_f32 v144, v189, v211, -v144
	v_sub_f32_e32 v9, v9, v144
	s_waitcnt lgkmcnt(0)
	v_mul_f32_e32 v144, v194, v51
	v_mul_f32_e32 v146, v189, v210
	v_fma_f32 v144, v193, v148, -v144
	s_add_i32 s38, s45, s27
	v_fmac_f32_e32 v146, v190, v211
	v_mul_f32_e32 v51, v193, v51
	v_sub_f32_e32 v9, v9, v144
	v_mov_b32_e32 v144, s38
	v_sub_f32_e32 v13, v13, v146
	v_fmac_f32_e32 v51, v194, v148
	ds_read2_b64 v[193:196], v144 offset1:1
	s_add_i32 s38, s45, s30
	v_sub_f32_e32 v13, v13, v51
	v_mov_b32_e32 v51, s38
	ds_read2_b64 v[197:200], v51 offset1:1
	s_waitcnt lgkmcnt(1)
	v_mul_f32_e32 v51, v196, v137
	v_fma_f32 v51, v195, v139, -v51
	v_sub_f32_e32 v9, v9, v51
	s_add_i32 s38, s45, s29
	s_waitcnt lgkmcnt(0)
	v_mul_f32_e32 v51, v200, v106
	v_fma_f32 v51, v199, v141, -v51
	v_mul_f32_e32 v106, v199, v106
	v_sub_f32_e32 v9, v9, v51
	v_mov_b32_e32 v51, s38
	s_add_i32 s38, s45, s33
	v_fmac_f32_e32 v106, v200, v141
	ds_read2_b64 v[199:202], v51 offset1:1
	v_mov_b32_e32 v51, s38
	ds_read2_b64 v[203:206], v51 offset1:1
	v_mul_f32_e32 v137, v195, v137
	v_fmac_f32_e32 v137, v196, v139
	v_sub_f32_e32 v13, v13, v137
	v_sub_f32_e32 v13, v13, v106
	s_waitcnt lgkmcnt(1)
	v_mul_f32_e32 v106, v201, v164
	v_fmac_f32_e32 v106, v202, v165
	v_mul_f32_e32 v51, v202, v164
	v_sub_f32_e32 v13, v13, v106
	s_add_i32 s38, s45, s31
	v_fma_f32 v51, v201, v165, -v51
	v_sub_f32_e32 v137, v9, v51
	buffer_load_dword v139, off, s[0:3], 0 offset:8
	buffer_load_dword v153, off, s[0:3], 0 offset:100
	;; [unrolled: 1-line block ×6, first 2 shown]
	v_mul_f32_e32 v154, v167, v228
	v_mul_f32_e32 v177, v169, v226
	s_waitcnt vmcnt(6) lgkmcnt(0)
	v_mul_f32_e32 v141, v206, v43
	v_mul_f32_e32 v43, v205, v43
	v_fmac_f32_e32 v43, v206, v207
	v_sub_f32_e32 v13, v13, v43
	v_mov_b32_e32 v43, s38
	v_fma_f32 v141, v205, v207, -v141
	ds_read2_b64 v[205:208], v43 offset1:1
	s_add_i32 s38, s45, s35
	v_mov_b32_e32 v43, s38
	ds_read2_b64 v[209:212], v43 offset1:1
	v_sub_f32_e32 v137, v137, v141
	s_waitcnt lgkmcnt(1)
	v_mul_f32_e32 v43, v208, v214
	v_fma_f32 v43, v207, v215, -v43
	v_mul_f32_e32 v141, v207, v214
	v_sub_f32_e32 v43, v137, v43
	s_waitcnt lgkmcnt(0)
	v_mul_f32_e32 v137, v212, v44
	v_mul_f32_e32 v44, v211, v44
	s_add_i32 s38, s45, s36
	v_fmac_f32_e32 v141, v208, v215
	v_fma_f32 v137, v211, v92, -v137
	v_fmac_f32_e32 v44, v212, v92
	v_mov_b32_e32 v92, s38
	buffer_store_dword v13, off, s[0:3], 0 offset:180
	v_sub_f32_e32 v13, v13, v141
	ds_read2_b64 v[211:214], v92 offset1:1
	s_add_i32 s38, s45, s39
	v_sub_f32_e32 v13, v13, v44
	v_mov_b32_e32 v44, s38
	ds_read2_b64 v[215:218], v44 offset1:1
	s_waitcnt lgkmcnt(1)
	v_mul_f32_e32 v44, v214, v93
	v_mul_f32_e32 v92, v213, v93
	buffer_store_dword v43, off, s[0:3], 0 offset:176
	v_sub_f32_e32 v43, v43, v137
	v_fma_f32 v44, v213, v95, -v44
	v_fmac_f32_e32 v92, v214, v95
	v_sub_f32_e32 v43, v43, v44
	v_sub_f32_e32 v13, v13, v92
	s_waitcnt lgkmcnt(0)
	v_mul_f32_e32 v44, v218, v135
	v_mul_f32_e32 v92, v217, v135
	buffer_load_dword v135, off, s[0:3], 0 offset:172
	buffer_load_dword v137, off, s[0:3], 0 offset:40
	;; [unrolled: 1-line block ×3, first 2 shown]
	v_fma_f32 v44, v217, v149, -v44
	s_add_i32 s38, s45, s40
	v_sub_f32_e32 v43, v43, v44
	v_mov_b32_e32 v44, s38
	v_fmac_f32_e32 v92, v218, v149
	ds_read2_b64 v[217:220], v44 offset1:1
	s_add_i32 s38, s45, s41
	v_mov_b32_e32 v44, s38
	ds_read2_b64 v[221:224], v44 offset1:1
	v_sub_f32_e32 v13, v13, v92
	s_waitcnt lgkmcnt(1)
	v_mul_f32_e32 v44, v220, v150
	v_fma_f32 v44, v219, v151, -v44
	v_mul_f32_e32 v92, v219, v150
	v_fmac_f32_e32 v92, v220, v151
	v_sub_f32_e32 v43, v43, v44
	s_waitcnt lgkmcnt(0)
	v_mul_f32_e32 v44, v224, v138
	v_sub_f32_e32 v13, v13, v92
	v_fma_f32 v44, v223, v142, -v44
	v_mul_f32_e32 v92, v223, v138
	s_add_i32 s38, s45, s42
	v_fmac_f32_e32 v92, v224, v142
	v_sub_f32_e32 v43, v43, v44
	v_mov_b32_e32 v44, s38
	buffer_load_dword v151, off, s[0:3], 0 offset:8
	buffer_load_dword v189, off, s[0:3], 0 offset:8
	;; [unrolled: 1-line block ×3, first 2 shown]
	v_sub_f32_e32 v13, v13, v92
	v_mul_f32_e32 v92, v168, v228
	ds_read2_b64 v[147:150], v44 offset1:1
	s_add_i32 s38, s45, s43
	v_fma_f32 v142, v167, v225, -v92
	v_mov_b32_e32 v44, s38
	v_mul_f32_e32 v92, v170, v226
	v_fmac_f32_e32 v154, v168, v225
	s_waitcnt vmcnt(13)
	v_fma_f32 v164, v169, v139, -v92
	v_fmac_f32_e32 v177, v170, v139
	ds_read2_b64 v[167:170], v44 offset1:1
	s_waitcnt lgkmcnt(1)
	v_mul_f32_e32 v44, v150, v69
	v_mul_f32_e32 v69, v149, v69
	v_fmac_f32_e32 v69, v150, v162
	v_sub_f32_e32 v13, v13, v69
	s_waitcnt lgkmcnt(0)
	v_mul_f32_e32 v69, v169, v155
	v_fma_f32 v44, v149, v162, -v44
	v_fmac_f32_e32 v69, v170, v243
	s_add_i32 s38, s45, s37
	v_sub_f32_e32 v43, v43, v44
	v_mul_f32_e32 v44, v170, v155
	v_sub_f32_e32 v138, v13, v69
	v_mov_b32_e32 v13, s38
	s_add_i32 s38, s15, 0xffffea00
	v_mul_f32_e32 v69, v174, v229
	v_fma_f32 v44, v169, v243, -v44
	s_add_i32 s45, s45, s38
	v_fma_f32 v149, v173, v230, -v69
	v_mul_f32_e32 v150, v173, v229
	v_mul_f32_e32 v69, v176, v231
	;; [unrolled: 1-line block ×3, first 2 shown]
	buffer_load_dword v162, off, s[0:3], 0 offset:40
	buffer_load_dword v190, off, s[0:3], 0 offset:40
	;; [unrolled: 1-line block ×3, first 2 shown]
	v_sub_f32_e32 v44, v43, v44
	v_mov_b32_e32 v43, s45
	v_fmac_f32_e32 v150, v174, v230
	v_fma_f32 v155, v175, v232, -v69
	v_fmac_f32_e32 v178, v176, v232
	ds_read2_b64 v[169:172], v13 offset1:1
	ds_read2_b64 v[173:176], v43 offset1:1
	v_mul_f32_e32 v43, v182, v234
	v_mul_f32_e32 v13, v180, v239
	v_fma_f32 v183, v179, v233, -v13
	v_mul_f32_e32 v179, v179, v239
	v_fmac_f32_e32 v179, v180, v233
	buffer_load_dword v180, off, s[0:3], 0 offset:172
	buffer_load_dword v184, off, s[0:3], 0 offset:172
	;; [unrolled: 1-line block ×5, first 2 shown]
	s_add_i32 s45, s34, 0xffffe848
	s_waitcnt vmcnt(13) lgkmcnt(1)
	v_mul_f32_e32 v139, v172, v135
	v_mul_f32_e32 v135, v171, v135
	s_waitcnt vmcnt(12)
	v_fma_f32 v195, v181, v137, -v43
	v_mul_f32_e32 v181, v181, v234
	s_waitcnt vmcnt(11)
	v_fmac_f32_e32 v135, v172, v141
	v_fmac_f32_e32 v181, v182, v137
	v_fma_f32 v137, v171, v141, -v139
	v_sub_f32_e32 v135, v138, v135
	v_sub_f32_e32 v44, v44, v137
	s_waitcnt lgkmcnt(0)
	v_mul_f32_e32 v137, v176, v135
	v_mul_f32_e32 v138, v175, v135
	v_fma_f32 v137, v175, v44, -v137
	v_fmac_f32_e32 v138, v176, v44
	v_add_u32_e32 v44, s38, v227
	buffer_load_dword v182, off, s[0:3], 0 offset:168
	buffer_load_dword v196, off, s[0:3], 0 offset:168
	buffer_load_dword v146, off, s[0:3], 0 offset:168
	buffer_load_dword v92, off, s[0:3], 0 offset:168
	buffer_load_dword v43, off, s[0:3], 0 offset:168
	ds_write_b64 v44, v[137:138]
	v_sub_f32_e32 v44, v166, v142
	v_sub_f32_e32 v135, v163, v154
	;; [unrolled: 1-line block ×9, first 2 shown]
	v_mul_f32_e32 v150, v186, v235
	v_sub_f32_e32 v149, v149, v179
	v_sub_f32_e32 v44, v44, v195
	v_fma_f32 v150, v185, v236, -v150
	v_mul_f32_e32 v155, v185, v235
	v_sub_f32_e32 v149, v149, v181
	v_fmac_f32_e32 v155, v186, v236
	v_sub_f32_e32 v44, v44, v150
	v_mul_f32_e32 v150, v188, v237
	v_sub_f32_e32 v149, v149, v155
	v_fma_f32 v150, v187, v238, -v150
	v_mul_f32_e32 v155, v187, v237
	v_fmac_f32_e32 v155, v188, v238
	v_sub_f32_e32 v44, v44, v150
	v_mul_f32_e32 v150, v192, v45
	v_mul_f32_e32 v45, v191, v45
	buffer_load_dword v171, off, s[0:3], 0 offset:12
	buffer_load_dword v201, off, s[0:3], 0 offset:12
	buffer_load_dword v141, off, s[0:3], 0 offset:12
	s_nop 0
	buffer_store_dword v137, off, s[0:3], 0 offset:176
	buffer_store_dword v138, off, s[0:3], 0 offset:180
	v_sub_f32_e32 v149, v149, v155
	v_fma_f32 v150, v191, v120, -v150
	v_fmac_f32_e32 v45, v192, v120
	v_mul_f32_e32 v120, v194, v127
	v_mul_f32_e32 v127, v193, v127
	buffer_load_dword v202, off, s[0:3], 0 offset:16
	buffer_load_dword v139, off, s[0:3], 0 offset:16
	;; [unrolled: 1-line block ×8, first 2 shown]
	v_sub_f32_e32 v45, v149, v45
	v_fma_f32 v120, v193, v134, -v120
	v_fmac_f32_e32 v127, v194, v134
	buffer_load_dword v134, off, s[0:3], 0 offset:180
	buffer_load_dword v138, off, s[0:3], 0 offset:52
	v_sub_f32_e32 v45, v45, v127
	buffer_load_dword v127, off, s[0:3], 0 offset:176
	v_sub_f32_e32 v44, v44, v150
	v_sub_f32_e32 v44, v44, v120
	v_mul_f32_e32 v120, v198, v68
	v_mul_f32_e32 v68, v197, v68
	v_fmac_f32_e32 v68, v198, v136
	v_fma_f32 v120, v197, v136, -v120
	v_sub_f32_e32 v45, v45, v68
	v_mul_f32_e32 v68, v200, v109
	v_sub_f32_e32 v44, v44, v120
	v_fma_f32 v68, v199, v110, -v68
	v_mul_f32_e32 v109, v199, v109
	v_sub_f32_e32 v44, v44, v68
	v_mul_f32_e32 v68, v204, v153
	v_fmac_f32_e32 v109, v200, v110
	v_fma_f32 v68, v203, v240, -v68
	v_sub_f32_e32 v45, v45, v109
	v_mul_f32_e32 v109, v203, v153
	v_sub_f32_e32 v44, v44, v68
	v_mul_f32_e32 v68, v206, v241
	v_fmac_f32_e32 v109, v204, v240
	v_fma_f32 v68, v205, v242, -v68
	v_sub_f32_e32 v45, v45, v109
	v_mul_f32_e32 v109, v205, v241
	v_sub_f32_e32 v44, v44, v68
	v_mul_f32_e32 v68, v210, v86
	v_fmac_f32_e32 v109, v206, v242
	v_fma_f32 v68, v209, v87, -v68
	v_mul_f32_e32 v86, v209, v86
	v_sub_f32_e32 v45, v45, v109
	v_fmac_f32_e32 v86, v210, v87
	v_sub_f32_e32 v44, v44, v68
	v_mul_f32_e32 v68, v212, v53
	v_mul_f32_e32 v53, v211, v53
	v_sub_f32_e32 v45, v45, v86
	v_fmac_f32_e32 v53, v212, v54
	v_fma_f32 v68, v211, v54, -v68
	v_sub_f32_e32 v45, v45, v53
	v_mul_f32_e32 v53, v216, v113
	v_sub_f32_e32 v44, v44, v68
	v_fma_f32 v53, v215, v131, -v53
	v_mul_f32_e32 v54, v215, v113
	v_fmac_f32_e32 v54, v216, v131
	v_sub_f32_e32 v44, v44, v53
	v_mul_f32_e32 v53, v218, v132
	v_sub_f32_e32 v45, v45, v54
	v_fma_f32 v53, v217, v133, -v53
	v_mul_f32_e32 v54, v217, v132
	v_fmac_f32_e32 v54, v218, v133
	;; [unrolled: 6-line block ×5, first 2 shown]
	v_sub_f32_e32 v44, v44, v53
	s_waitcnt vmcnt(25)
	v_mul_f32_e32 v53, v170, v180
	v_sub_f32_e32 v45, v45, v54
	s_waitcnt vmcnt(20)
	v_fma_f32 v53, v169, v182, -v53
	v_mul_f32_e32 v54, v169, v180
	v_fmac_f32_e32 v54, v170, v182
	v_sub_f32_e32 v53, v44, v53
	v_sub_f32_e32 v54, v45, v54
	buffer_load_dword v136, off, s[0:3], 0 offset:180
	buffer_load_dword v191, off, s[0:3], 0 offset:180
	;; [unrolled: 1-line block ×8, first 2 shown]
	s_waitcnt vmcnt(10)
	v_mul_f32_e32 v86, v174, v134
	v_mul_f32_e32 v87, v173, v134
	s_waitcnt vmcnt(8)
	v_fma_f32 v86, v173, v127, -v86
	v_fmac_f32_e32 v87, v174, v127
	v_sub_f32_e32 v113, v53, v86
	v_mov_b32_e32 v53, s45
	s_lshl_b32 s45, s46, 3
	v_sub_f32_e32 v87, v54, v87
	ds_read_b64 v[53:54], v53
	s_add_i32 s47, s45, s15
	v_mov_b32_e32 v86, s47
	ds_read2_b64 v[109:112], v86 offset1:1
	s_add_i32 s47, s45, s20
	s_waitcnt lgkmcnt(1)
	v_mul_f32_e32 v86, v54, v87
	v_mul_f32_e32 v87, v53, v87
	v_fma_f32 v86, v53, v113, -v86
	v_fmac_f32_e32 v87, v54, v113
	v_add_u32_e32 v53, s44, v227
	buffer_store_dword v86, off, s[0:3], 0 offset:184
	buffer_store_dword v87, off, s[0:3], 0 offset:188
	ds_write_b64 v53, v[86:87]
	s_waitcnt lgkmcnt(1)
	v_mul_f32_e32 v53, v112, v124
	v_mul_f32_e32 v54, v111, v124
	v_mov_b32_e32 v86, s47
	v_fma_f32 v53, v111, v114, -v53
	v_fmac_f32_e32 v54, v112, v114
	ds_read2_b64 v[111:114], v86 offset1:1
	s_add_i32 s47, s45, s12
	v_mov_b32_e32 v86, s47
	ds_read2_b64 v[131:134], v86 offset1:1
	v_sub_f32_e32 v53, v116, v53
	s_waitcnt lgkmcnt(1)
	v_mul_f32_e32 v86, v114, v171
	v_fma_f32 v86, v113, v151, -v86
	v_sub_f32_e32 v53, v53, v86
	s_waitcnt lgkmcnt(0)
	v_mul_f32_e32 v86, v134, v117
	v_fma_f32 v86, v133, v119, -v86
	s_add_i32 s47, s45, s13
	v_mul_f32_e32 v87, v113, v171
	v_sub_f32_e32 v53, v53, v86
	v_mov_b32_e32 v86, s47
	v_sub_f32_e32 v54, v115, v54
	v_fmac_f32_e32 v87, v114, v151
	ds_read2_b64 v[113:116], v86 offset1:1
	s_add_i32 s47, s45, s22
	v_mov_b32_e32 v86, s47
	ds_read2_b64 v[147:150], v86 offset1:1
	v_sub_f32_e32 v54, v54, v87
	s_waitcnt lgkmcnt(1)
	v_mul_f32_e32 v86, v116, v118
	v_fma_f32 v86, v115, v125, -v86
	v_mul_f32_e32 v87, v133, v117
	v_sub_f32_e32 v53, v53, v86
	s_waitcnt lgkmcnt(0)
	v_mul_f32_e32 v86, v150, v161
	v_fmac_f32_e32 v87, v134, v119
	v_fma_f32 v86, v149, v126, -v86
	s_add_i32 s47, s45, s21
	v_sub_f32_e32 v54, v54, v87
	v_mul_f32_e32 v87, v115, v118
	v_sub_f32_e32 v53, v53, v86
	v_mov_b32_e32 v86, s47
	v_fmac_f32_e32 v87, v116, v125
	ds_read2_b64 v[115:118], v86 offset1:1
	s_add_i32 s47, s45, s25
	v_sub_f32_e32 v54, v54, v87
	v_mul_f32_e32 v87, v149, v161
	v_mov_b32_e32 v86, s47
	v_fmac_f32_e32 v87, v150, v126
	ds_read2_b64 v[124:127], v86 offset1:1
	v_sub_f32_e32 v54, v54, v87
	s_waitcnt lgkmcnt(1)
	v_mul_f32_e32 v87, v117, v154
	v_mul_f32_e32 v86, v118, v154
	v_fmac_f32_e32 v87, v118, v162
	v_fma_f32 v86, v117, v162, -v86
	v_sub_f32_e32 v54, v54, v87
	s_waitcnt lgkmcnt(0)
	v_mul_f32_e32 v87, v127, v156
	v_sub_f32_e32 v53, v53, v86
	v_fma_f32 v87, v126, v159, -v87
	s_add_i32 s47, s45, s23
	v_sub_f32_e32 v53, v53, v87
	v_mov_b32_e32 v87, s47
	ds_read2_b64 v[117:120], v87 offset1:1
	s_add_i32 s47, s45, s28
	v_mov_b32_e32 v87, s47
	v_mul_f32_e32 v126, v126, v156
	ds_read2_b64 v[153:156], v87 offset1:1
	s_waitcnt lgkmcnt(1)
	v_mul_f32_e32 v87, v120, v157
	v_fmac_f32_e32 v126, v127, v159
	v_fma_f32 v87, v119, v160, -v87
	v_mul_f32_e32 v119, v119, v157
	buffer_load_dword v86, off, s[0:3], 0 offset:116
	v_sub_f32_e32 v54, v54, v126
	v_fmac_f32_e32 v119, v120, v160
	buffer_load_dword v120, off, s[0:3], 0 offset:124
	v_sub_f32_e32 v54, v54, v119
	buffer_load_dword v119, off, s[0:3], 0 offset:120
	buffer_load_dword v133, off, s[0:3], 0 offset:112
	v_sub_f32_e32 v53, v53, v87
	s_waitcnt lgkmcnt(0)
	v_mul_f32_e32 v87, v156, v46
	v_fma_f32 v87, v155, v88, -v87
	s_add_i32 s47, s45, s27
	v_mul_f32_e32 v46, v155, v46
	v_sub_f32_e32 v53, v53, v87
	v_mov_b32_e32 v87, s47
	v_fmac_f32_e32 v46, v156, v88
	ds_read2_b64 v[155:158], v87 offset1:1
	s_add_i32 s47, s45, s30
	v_sub_f32_e32 v46, v54, v46
	v_mov_b32_e32 v54, s47
	ds_read2_b64 v[159:162], v54 offset1:1
	s_waitcnt lgkmcnt(1)
	v_mul_f32_e32 v54, v158, v123
	v_fma_f32 v54, v157, v129, -v54
	v_sub_f32_e32 v53, v53, v54
	v_mul_f32_e32 v87, v157, v123
	s_waitcnt lgkmcnt(0)
	v_mul_f32_e32 v54, v162, v39
	v_fma_f32 v54, v161, v130, -v54
	s_add_i32 s47, s45, s29
	v_fmac_f32_e32 v87, v158, v129
	v_mul_f32_e32 v39, v161, v39
	v_sub_f32_e32 v53, v53, v54
	v_mov_b32_e32 v54, s47
	v_sub_f32_e32 v46, v46, v87
	v_fmac_f32_e32 v39, v162, v130
	ds_read2_b64 v[126:129], v54 offset1:1
	s_add_i32 s47, s45, s33
	v_sub_f32_e32 v39, v46, v39
	v_mov_b32_e32 v46, s47
	ds_read2_b64 v[161:164], v46 offset1:1
	s_waitcnt lgkmcnt(1)
	v_mul_f32_e32 v46, v129, v70
	v_fma_f32 v46, v128, v71, -v46
	v_mul_f32_e32 v54, v128, v70
	v_sub_f32_e32 v46, v53, v46
	s_waitcnt lgkmcnt(0)
	v_mul_f32_e32 v53, v164, v165
	v_fmac_f32_e32 v54, v129, v71
	v_fma_f32 v53, v163, v143, -v53
	s_add_i32 s47, s45, s31
	v_sub_f32_e32 v39, v39, v54
	v_mul_f32_e32 v54, v163, v165
	v_sub_f32_e32 v46, v46, v53
	v_mov_b32_e32 v53, s47
	s_add_i32 s47, s45, s35
	v_fmac_f32_e32 v54, v164, v143
	ds_read2_b64 v[163:166], v53 offset1:1
	v_mov_b32_e32 v53, s47
	ds_read2_b64 v[167:170], v53 offset1:1
	v_sub_f32_e32 v39, v39, v54
	s_add_i32 s47, s45, s36
	s_waitcnt lgkmcnt(1)
	v_mul_f32_e32 v54, v165, v145
	v_mul_f32_e32 v53, v166, v145
	v_fmac_f32_e32 v54, v166, v152
	v_fma_f32 v53, v165, v152, -v53
	v_sub_f32_e32 v54, v39, v54
	v_sub_f32_e32 v53, v46, v53
	buffer_load_dword v123, off, s[0:3], 0 offset:116
	buffer_load_dword v128, off, s[0:3], 0 offset:116
	;; [unrolled: 1-line block ×6, first 2 shown]
	s_lshl_b32 s46, s46, 8
	s_waitcnt vmcnt(9) lgkmcnt(0)
	v_mul_f32_e32 v71, v169, v86
	v_mul_f32_e32 v70, v170, v86
	s_waitcnt vmcnt(6)
	v_fmac_f32_e32 v71, v170, v133
	v_fma_f32 v70, v169, v133, -v70
	v_sub_f32_e32 v71, v54, v71
	v_sub_f32_e32 v70, v53, v70
	buffer_store_dword v71, off, s[0:3], 0 offset:196
	v_mov_b32_e32 v53, s47
	s_add_i32 s47, s45, s39
	v_mov_b32_e32 v54, s47
	ds_read2_b64 v[149:152], v53 offset1:1
	ds_read2_b64 v[169:172], v54 offset1:1
	s_add_i32 s47, s45, s40
	buffer_load_dword v133, off, s[0:3], 0 offset:124
	buffer_load_dword v134, off, s[0:3], 0 offset:124
	;; [unrolled: 1-line block ×7, first 2 shown]
	s_waitcnt lgkmcnt(1)
	v_mul_f32_e32 v86, v152, v120
	v_fma_f32 v86, v151, v119, -v86
	v_sub_f32_e32 v70, v70, v86
	s_waitcnt lgkmcnt(0)
	v_mul_f32_e32 v86, v172, v52
	v_mul_f32_e32 v87, v151, v120
	v_fma_f32 v86, v171, v89, -v86
	v_fmac_f32_e32 v87, v152, v119
	buffer_store_dword v70, off, s[0:3], 0 offset:192
	v_mul_f32_e32 v52, v171, v52
	v_sub_f32_e32 v70, v70, v86
	v_mov_b32_e32 v86, s47
	buffer_load_dword v119, off, s[0:3], 0 offset:184
	v_sub_f32_e32 v71, v71, v87
	v_fmac_f32_e32 v52, v172, v89
	ds_read2_b64 v[86:89], v86 offset1:1
	s_add_i32 s47, s45, s41
	v_sub_f32_e32 v52, v71, v52
	v_mov_b32_e32 v71, s47
	ds_read2_b64 v[171:174], v71 offset1:1
	s_waitcnt lgkmcnt(1)
	v_mul_f32_e32 v71, v89, v91
	v_fma_f32 v71, v88, v94, -v71
	v_mul_f32_e32 v88, v88, v91
	v_fmac_f32_e32 v88, v89, v94
	buffer_load_dword v94, off, s[0:3], 0 offset:200
	buffer_load_dword v120, off, s[0:3], 0 offset:204
	v_sub_f32_e32 v70, v70, v71
	s_waitcnt lgkmcnt(0)
	v_mul_f32_e32 v71, v174, v90
	v_fma_f32 v71, v173, v108, -v71
	s_add_i32 s47, s45, s42
	v_sub_f32_e32 v70, v70, v71
	v_mov_b32_e32 v71, s47
	v_sub_f32_e32 v52, v52, v88
	v_mul_f32_e32 v151, v173, v90
	ds_read2_b64 v[88:91], v71 offset1:1
	s_add_i32 s47, s45, s43
	v_mov_b32_e32 v71, s47
	v_fmac_f32_e32 v151, v174, v108
	ds_read2_b64 v[173:176], v71 offset1:1
	s_waitcnt lgkmcnt(1)
	v_mul_f32_e32 v71, v91, v57
	v_mul_f32_e32 v57, v90, v57
	v_sub_f32_e32 v52, v52, v151
	v_fmac_f32_e32 v57, v91, v72
	v_fma_f32 v71, v90, v72, -v71
	v_sub_f32_e32 v52, v52, v57
	s_waitcnt lgkmcnt(0)
	v_mul_f32_e32 v57, v176, v107
	v_sub_f32_e32 v70, v70, v71
	v_fma_f32 v57, v175, v140, -v57
	s_add_i32 s47, s45, s37
	v_mul_f32_e32 v71, v175, v107
	v_sub_f32_e32 v57, v70, v57
	v_mov_b32_e32 v70, s47
	v_fmac_f32_e32 v71, v176, v140
	ds_read2_b64 v[175:178], v70 offset1:1
	s_add_i32 s47, s45, s38
	v_mov_b32_e32 v70, s47
	ds_read2_b64 v[179:182], v70 offset1:1
	v_sub_f32_e32 v52, v52, v71
	s_waitcnt lgkmcnt(1)
	v_mul_f32_e32 v71, v177, v184
	v_fmac_f32_e32 v71, v178, v196
	v_mul_f32_e32 v70, v178, v184
	v_sub_f32_e32 v52, v52, v71
	s_waitcnt lgkmcnt(0)
	v_mul_f32_e32 v71, v181, v136
	v_fma_f32 v70, v177, v196, -v70
	v_fmac_f32_e32 v71, v182, v183
	s_add_i32 s47, s45, s44
	v_sub_f32_e32 v57, v57, v70
	v_mul_f32_e32 v70, v182, v136
	v_sub_f32_e32 v71, v52, v71
	v_mov_b32_e32 v52, s47
	s_add_i32 s47, s15, 0xffffe800
	v_fma_f32 v70, v181, v183, -v70
	s_add_i32 s45, s45, s47
	v_sub_f32_e32 v70, v57, v70
	v_mov_b32_e32 v57, s45
	ds_read2_b64 v[181:184], v52 offset1:1
	ds_read2_b64 v[185:188], v57 offset1:1
	buffer_load_dword v72, off, s[0:3], 0 offset:188
	buffer_load_dword v136, off, s[0:3], 0 offset:188
	;; [unrolled: 1-line block ×6, first 2 shown]
	s_add_i32 s45, s34, 0xffffe638
	s_waitcnt vmcnt(13) lgkmcnt(1)
	v_mul_f32_e32 v107, v183, v143
	v_mul_f32_e32 v90, v184, v143
	s_waitcnt vmcnt(8)
	v_fmac_f32_e32 v107, v184, v119
	v_fma_f32 v90, v183, v119, -v90
	v_sub_f32_e32 v71, v71, v107
	v_sub_f32_e32 v90, v70, v90
	s_waitcnt lgkmcnt(0)
	v_mul_f32_e32 v70, v188, v71
	v_mul_f32_e32 v71, v187, v71
	v_fma_f32 v70, v187, v90, -v70
	v_fmac_f32_e32 v71, v188, v90
	v_add_u32_e32 v90, s47, v227
	buffer_store_dword v70, off, s[0:3], 0 offset:192
	buffer_store_dword v71, off, s[0:3], 0 offset:196
	ds_write_b64 v90, v[70:71]
	v_mul_f32_e32 v70, v110, v82
	v_mul_f32_e32 v71, v109, v82
	v_fma_f32 v70, v109, v73, -v70
	v_fmac_f32_e32 v71, v110, v73
	v_mul_f32_e32 v73, v112, v201
	s_waitcnt vmcnt(9)
	v_sub_f32_e32 v70, v94, v70
	v_fma_f32 v73, v111, v189, -v73
	v_sub_f32_e32 v70, v70, v73
	v_mul_f32_e32 v73, v132, v75
	v_mul_f32_e32 v94, v111, v201
	v_fma_f32 v73, v131, v202, -v73
	s_waitcnt vmcnt(8)
	v_sub_f32_e32 v71, v120, v71
	v_fmac_f32_e32 v94, v112, v189
	v_mul_f32_e32 v75, v131, v75
	v_sub_f32_e32 v70, v70, v73
	v_mul_f32_e32 v73, v114, v83
	v_sub_f32_e32 v71, v71, v94
	v_fmac_f32_e32 v75, v132, v202
	v_fma_f32 v73, v113, v96, -v73
	v_sub_f32_e32 v71, v71, v75
	v_mul_f32_e32 v75, v113, v83
	v_sub_f32_e32 v70, v70, v73
	v_mul_f32_e32 v73, v148, v105
	v_fmac_f32_e32 v75, v114, v96
	v_fma_f32 v73, v147, v97, -v73
	v_sub_f32_e32 v71, v71, v75
	v_mul_f32_e32 v75, v147, v105
	v_sub_f32_e32 v70, v70, v73
	v_mul_f32_e32 v73, v116, v207
	;; [unrolled: 6-line block ×5, first 2 shown]
	v_fmac_f32_e32 v75, v118, v102
	v_fma_f32 v73, v153, v48, -v73
	v_mul_f32_e32 v47, v153, v47
	v_sub_f32_e32 v71, v71, v75
	v_fmac_f32_e32 v47, v154, v48
	v_sub_f32_e32 v48, v70, v73
	v_mul_f32_e32 v70, v156, v81
	v_sub_f32_e32 v47, v71, v47
	v_fma_f32 v70, v155, v121, -v70
	v_mul_f32_e32 v71, v155, v81
	v_fmac_f32_e32 v71, v156, v121
	v_sub_f32_e32 v48, v48, v70
	v_mul_f32_e32 v70, v160, v16
	v_mul_f32_e32 v16, v159, v16
	v_sub_f32_e32 v47, v47, v71
	v_fma_f32 v70, v159, v122, -v70
	v_fmac_f32_e32 v16, v160, v122
	buffer_load_dword v82, off, s[0:3], 0 offset:208
	buffer_load_dword v90, off, s[0:3], 0 offset:212
	;; [unrolled: 1-line block ×4, first 2 shown]
	v_sub_f32_e32 v48, v48, v70
	v_sub_f32_e32 v16, v47, v16
	v_mul_f32_e32 v47, v127, v36
	buffer_load_dword v70, off, s[0:3], 0 offset:196
	v_mul_f32_e32 v36, v126, v36
	v_fma_f32 v47, v126, v40, -v47
	v_fmac_f32_e32 v36, v127, v40
	buffer_load_dword v40, off, s[0:3], 0 offset:192
	v_sub_f32_e32 v47, v48, v47
	v_sub_f32_e32 v16, v16, v36
	v_mul_f32_e32 v36, v162, v106
	v_mul_f32_e32 v48, v161, v106
	v_fma_f32 v36, v161, v100, -v36
	v_fmac_f32_e32 v48, v162, v100
	v_sub_f32_e32 v36, v47, v36
	v_sub_f32_e32 v16, v16, v48
	v_mul_f32_e32 v47, v164, v74
	v_mul_f32_e32 v48, v163, v74
	v_fma_f32 v47, v163, v103, -v47
	v_fmac_f32_e32 v48, v164, v103
	;; [unrolled: 6-line block ×11, first 2 shown]
	v_sub_f32_e32 v36, v36, v47
	v_sub_f32_e32 v16, v16, v48
	s_waitcnt vmcnt(13)
	v_mul_f32_e32 v47, v182, v72
	v_mul_f32_e32 v48, v181, v72
	s_waitcnt vmcnt(10)
	v_fma_f32 v47, v181, v91, -v47
	v_fmac_f32_e32 v48, v182, v91
	v_sub_f32_e32 v36, v36, v47
	v_sub_f32_e32 v16, v16, v48
	buffer_load_dword v56, off, s[0:3], 0 offset:196
	buffer_load_dword v144, off, s[0:3], 0 offset:196
	s_waitcnt vmcnt(3)
	v_mul_f32_e32 v47, v186, v70
	v_mul_f32_e32 v48, v185, v70
	buffer_load_dword v129, off, s[0:3], 0 offset:192
	buffer_load_dword v145, off, s[0:3], 0 offset:192
	s_waitcnt vmcnt(4)
	v_fma_f32 v47, v185, v40, -v47
	v_fmac_f32_e32 v48, v186, v40
	v_mov_b32_e32 v40, s45
	ds_read_b64 v[70:71], v40
	s_sub_i32 s45, s14, 27
	s_lshl_b32 s48, s45, 3
	s_add_i32 s49, s48, s15
	v_sub_f32_e32 v16, v16, v48
	v_mov_b32_e32 v40, s49
	v_sub_f32_e32 v36, v36, v47
	ds_read2_b64 v[47:50], v40 offset1:1
	s_waitcnt lgkmcnt(1)
	v_mul_f32_e32 v40, v71, v16
	v_mul_f32_e32 v73, v70, v16
	buffer_load_dword v16, off, s[0:3], 0 offset:68
	v_fma_f32 v72, v70, v36, -v40
	v_fmac_f32_e32 v73, v71, v36
	buffer_load_dword v36, off, s[0:3], 0 offset:64
	v_add_u32_e32 v40, s46, v227
	ds_write_b64 v40, v[72:73]
	s_waitcnt lgkmcnt(1)
	v_mul_f32_e32 v40, v50, v38
	s_add_i32 s20, s48, s20
	v_fma_f32 v40, v49, v60, -v40
	v_mul_f32_e32 v38, v49, v38
	v_mov_b32_e32 v49, s20
	buffer_store_dword v72, off, s[0:3], 0 offset:200
	buffer_store_dword v73, off, s[0:3], 0 offset:204
	ds_read2_b64 v[70:73], v49 offset1:1
	s_add_i32 s12, s48, s12
	v_mov_b32_e32 v49, s12
	v_sub_f32_e32 v40, v82, v40
	ds_read2_b64 v[81:84], v49 offset1:1
	s_waitcnt lgkmcnt(1)
	v_mul_f32_e32 v49, v73, v141
	v_fma_f32 v49, v72, v95, -v49
	v_sub_f32_e32 v40, v40, v49
	s_add_i32 s12, s48, s13
	s_waitcnt lgkmcnt(0)
	v_mul_f32_e32 v49, v84, v142
	v_fma_f32 v49, v83, v139, -v49
	v_fmac_f32_e32 v38, v50, v60
	v_mul_f32_e32 v50, v72, v141
	v_sub_f32_e32 v40, v40, v49
	v_mov_b32_e32 v49, s12
	v_fmac_f32_e32 v50, v73, v95
	ds_read2_b64 v[72:75], v49 offset1:1
	s_add_i32 s12, s48, s22
	v_mov_b32_e32 v49, s12
	ds_read2_b64 v[86:89], v49 offset1:1
	v_sub_f32_e32 v38, v90, v38
	v_sub_f32_e32 v38, v38, v50
	v_mul_f32_e32 v50, v83, v142
	v_fmac_f32_e32 v50, v84, v139
	s_waitcnt lgkmcnt(1)
	v_mul_f32_e32 v49, v75, v37
	v_mul_f32_e32 v37, v74, v37
	v_sub_f32_e32 v38, v38, v50
	v_fmac_f32_e32 v37, v75, v61
	v_fma_f32 v49, v74, v61, -v49
	v_sub_f32_e32 v37, v38, v37
	s_waitcnt lgkmcnt(0)
	v_mul_f32_e32 v38, v89, v67
	v_sub_f32_e32 v40, v40, v49
	v_fma_f32 v38, v88, v62, -v38
	s_add_i32 s12, s48, s21
	v_mul_f32_e32 v49, v88, v67
	v_sub_f32_e32 v38, v40, v38
	v_mov_b32_e32 v40, s12
	v_fmac_f32_e32 v49, v89, v62
	ds_read2_b64 v[59:62], v40 offset1:1
	s_add_i32 s12, s48, s25
	v_mov_b32_e32 v40, s12
	ds_read2_b64 v[88:91], v40 offset1:1
	s_add_i32 s12, s48, s23
	s_waitcnt lgkmcnt(1)
	v_mul_f32_e32 v40, v62, v137
	v_fma_f32 v40, v61, v93, -v40
	v_sub_f32_e32 v38, v38, v40
	s_waitcnt lgkmcnt(0)
	v_mul_f32_e32 v40, v91, v138
	v_fma_f32 v40, v90, v135, -v40
	v_sub_f32_e32 v37, v37, v49
	v_mul_f32_e32 v49, v61, v137
	v_sub_f32_e32 v38, v38, v40
	v_mov_b32_e32 v40, s12
	v_fmac_f32_e32 v49, v62, v93
	ds_read2_b64 v[93:96], v40 offset1:1
	s_add_i32 s12, s48, s28
	v_mov_b32_e32 v40, s12
	ds_read2_b64 v[97:100], v40 offset1:1
	v_sub_f32_e32 v37, v37, v49
	v_mul_f32_e32 v49, v90, v138
	v_fmac_f32_e32 v49, v91, v135
	v_sub_f32_e32 v37, v37, v49
	s_waitcnt lgkmcnt(1)
	v_mul_f32_e32 v40, v96, v63
	v_mul_f32_e32 v49, v95, v63
	v_fma_f32 v40, v95, v64, -v40
	v_fmac_f32_e32 v49, v96, v64
	v_sub_f32_e32 v38, v38, v40
	v_sub_f32_e32 v37, v37, v49
	buffer_load_dword v40, off, s[0:3], 0 offset:68
	buffer_load_dword v50, off, s[0:3], 0 offset:64
	s_waitcnt vmcnt(5) lgkmcnt(0)
	v_mul_f32_e32 v49, v100, v16
	v_mul_f32_e32 v16, v99, v16
	s_waitcnt vmcnt(4)
	v_fmac_f32_e32 v16, v100, v36
	s_add_i32 s12, s48, s27
	v_fma_f32 v49, v99, v36, -v49
	v_sub_f32_e32 v16, v37, v16
	v_mov_b32_e32 v37, s12
	s_add_i32 s12, s48, s30
	v_sub_f32_e32 v36, v38, v49
	v_mov_b32_e32 v38, s12
	ds_read2_b64 v[61:64], v37 offset1:1
	ds_read2_b64 v[99:102], v38 offset1:1
	buffer_load_dword v37, off, s[0:3], 0 offset:140
	buffer_load_dword v49, off, s[0:3], 0 offset:136
	s_add_i32 s12, s48, s29
	s_waitcnt lgkmcnt(1)
	v_mul_f32_e32 v38, v64, v79
	v_fma_f32 v38, v63, v80, -v38
	v_sub_f32_e32 v36, v36, v38
	s_waitcnt lgkmcnt(0)
	v_mul_f32_e32 v38, v102, v12
	v_mul_f32_e32 v63, v63, v79
	v_fma_f32 v38, v101, v85, -v38
	v_fmac_f32_e32 v63, v64, v80
	v_mul_f32_e32 v12, v101, v12
	v_sub_f32_e32 v36, v36, v38
	v_mov_b32_e32 v38, s12
	v_sub_f32_e32 v16, v16, v63
	v_fmac_f32_e32 v12, v102, v85
	ds_read2_b64 v[101:104], v38 offset1:1
	s_add_i32 s12, s48, s33
	v_sub_f32_e32 v12, v16, v12
	v_mov_b32_e32 v16, s12
	ds_read2_b64 v[105:108], v16 offset1:1
	s_waitcnt lgkmcnt(1)
	v_mul_f32_e32 v16, v104, v19
	v_mul_f32_e32 v19, v103, v19
	v_fmac_f32_e32 v19, v104, v20
	v_fma_f32 v16, v103, v20, -v16
	v_sub_f32_e32 v12, v12, v19
	s_waitcnt lgkmcnt(0)
	v_mul_f32_e32 v19, v108, v51
	v_sub_f32_e32 v16, v36, v16
	v_fma_f32 v19, v107, v14, -v19
	v_mul_f32_e32 v20, v107, v51
	s_add_i32 s12, s48, s31
	v_fmac_f32_e32 v20, v108, v14
	v_sub_f32_e32 v14, v16, v19
	v_mov_b32_e32 v16, s12
	ds_read2_b64 v[107:110], v16 offset1:1
	s_add_i32 s12, s48, s35
	v_mov_b32_e32 v16, s12
	ds_read2_b64 v[111:114], v16 offset1:1
	s_add_i32 s12, s48, s36
	s_waitcnt lgkmcnt(1)
	v_mul_f32_e32 v16, v110, v65
	v_fma_f32 v16, v109, v66, -v16
	v_sub_f32_e32 v14, v14, v16
	s_waitcnt lgkmcnt(0)
	v_mul_f32_e32 v16, v114, v128
	v_fma_f32 v16, v113, v130, -v16
	v_mul_f32_e32 v19, v109, v65
	v_sub_f32_e32 v14, v14, v16
	v_mov_b32_e32 v16, s12
	v_sub_f32_e32 v12, v12, v20
	v_fmac_f32_e32 v19, v110, v66
	ds_read2_b64 v[63:66], v16 offset1:1
	s_add_i32 s12, s48, s39
	v_sub_f32_e32 v12, v12, v19
	v_mul_f32_e32 v19, v113, v128
	v_mov_b32_e32 v16, s12
	v_fmac_f32_e32 v19, v114, v130
	ds_read2_b64 v[113:116], v16 offset1:1
	s_waitcnt lgkmcnt(1)
	v_mul_f32_e32 v16, v66, v134
	v_fma_f32 v16, v65, v157, -v16
	v_sub_f32_e32 v12, v12, v19
	v_mul_f32_e32 v19, v65, v134
	v_sub_f32_e32 v14, v14, v16
	s_waitcnt lgkmcnt(0)
	v_mul_f32_e32 v16, v116, v41
	v_fmac_f32_e32 v19, v66, v157
	v_fma_f32 v16, v115, v42, -v16
	s_add_i32 s12, s48, s40
	v_sub_f32_e32 v12, v12, v19
	v_mul_f32_e32 v19, v115, v41
	v_sub_f32_e32 v14, v14, v16
	v_mov_b32_e32 v16, s12
	v_fmac_f32_e32 v19, v116, v42
	ds_read2_b64 v[115:118], v16 offset1:1
	s_add_i32 s12, s48, s41
	v_mov_b32_e32 v16, s12
	ds_read2_b64 v[119:122], v16 offset1:1
	v_sub_f32_e32 v12, v12, v19
	buffer_store_dword v12, off, s[0:3], 0 offset:212
	s_add_i32 s12, s48, s42
	buffer_load_dword v16, off, s[0:3], 0 offset:204
	buffer_load_dword v36, off, s[0:3], 0 offset:140
	;; [unrolled: 1-line block ×4, first 2 shown]
	s_addk_i32 s15, 0xe600
	s_sub_i32 s14, s14, 28
	s_waitcnt vmcnt(6) lgkmcnt(1)
	v_mul_f32_e32 v19, v118, v37
	s_waitcnt vmcnt(5)
	v_fma_f32 v19, v117, v49, -v19
	v_mul_f32_e32 v37, v117, v37
	v_sub_f32_e32 v14, v14, v19
	s_waitcnt lgkmcnt(0)
	v_mul_f32_e32 v19, v122, v76
	v_fmac_f32_e32 v37, v118, v49
	v_fma_f32 v19, v121, v77, -v19
	v_sub_f32_e32 v12, v12, v37
	buffer_store_dword v14, off, s[0:3], 0 offset:208
	v_mul_f32_e32 v37, v121, v76
	v_sub_f32_e32 v14, v14, v19
	v_mov_b32_e32 v19, s12
	v_fmac_f32_e32 v37, v122, v77
	ds_read2_b64 v[74:77], v19 offset1:1
	s_add_i32 s12, s48, s43
	v_mov_b32_e32 v19, s12
	ds_read2_b64 v[121:124], v19 offset1:1
	v_sub_f32_e32 v12, v12, v37
	s_waitcnt lgkmcnt(1)
	v_mul_f32_e32 v19, v77, v55
	v_fma_f32 v19, v76, v23, -v19
	v_sub_f32_e32 v14, v14, v19
	s_waitcnt lgkmcnt(0)
	v_mul_f32_e32 v19, v124, v6
	v_mul_f32_e32 v37, v76, v55
	v_fma_f32 v19, v123, v10, -v19
	v_mul_f32_e32 v6, v123, v6
	s_add_i32 s12, s48, s37
	v_fmac_f32_e32 v37, v77, v23
	v_fmac_f32_e32 v6, v124, v10
	v_sub_f32_e32 v10, v14, v19
	v_mov_b32_e32 v14, s12
	v_sub_f32_e32 v12, v12, v37
	ds_read2_b64 v[76:79], v14 offset1:1
	s_add_i32 s12, s48, s38
	v_sub_f32_e32 v6, v12, v6
	v_mov_b32_e32 v12, s12
	ds_read2_b64 v[123:126], v12 offset1:1
	s_waitcnt lgkmcnt(1)
	v_mul_f32_e32 v12, v79, v69
	v_fma_f32 v12, v78, v92, -v12
	v_mul_f32_e32 v14, v78, v69
	v_sub_f32_e32 v10, v10, v12
	s_waitcnt lgkmcnt(0)
	v_mul_f32_e32 v12, v126, v58
	v_fmac_f32_e32 v14, v79, v92
	v_fma_f32 v12, v125, v68, -v12
	s_add_i32 s12, s48, s44
	v_sub_f32_e32 v6, v6, v14
	v_mul_f32_e32 v14, v125, v58
	v_sub_f32_e32 v10, v10, v12
	v_mov_b32_e32 v12, s12
	v_fmac_f32_e32 v14, v126, v68
	ds_read2_b64 v[65:68], v12 offset1:1
	s_add_i32 s12, s48, s47
	v_mov_b32_e32 v12, s12
	ds_read2_b64 v[125:128], v12 offset1:1
	v_sub_f32_e32 v6, v6, v14
	s_waitcnt lgkmcnt(1)
	v_mul_f32_e32 v12, v68, v136
	v_fma_f32 v12, v67, v140, -v12
	v_mul_f32_e32 v14, v67, v136
	v_fmac_f32_e32 v14, v68, v140
	v_sub_f32_e32 v10, v10, v12
	s_waitcnt lgkmcnt(0)
	v_mul_f32_e32 v12, v128, v56
	v_sub_f32_e32 v6, v6, v14
	v_fma_f32 v12, v127, v129, -v12
	v_mul_f32_e32 v14, v127, v56
	s_add_i32 s12, s48, s46
	v_fmac_f32_e32 v14, v128, v129
	v_sub_f32_e32 v10, v10, v12
	v_mov_b32_e32 v12, s12
	v_sub_f32_e32 v6, v6, v14
	ds_read2_b64 v[127:130], v12 offset1:1
	buffer_load_dword v12, off, s[0:3], 0 offset:76
	buffer_load_dword v14, off, s[0:3], 0 offset:72
	s_add_i32 s12, s48, s15
	v_mov_b32_e32 v19, s12
	ds_read2_b64 v[131:134], v19 offset1:1
	buffer_load_dword v23, off, s[0:3], 0 offset:204
	buffer_load_dword v37, off, s[0:3], 0 offset:80
	;; [unrolled: 1-line block ×3, first 2 shown]
	s_waitcnt vmcnt(9) lgkmcnt(1)
	v_mul_f32_e32 v19, v130, v16
	v_mul_f32_e32 v16, v129, v16
	s_waitcnt vmcnt(7)
	v_fmac_f32_e32 v16, v130, v20
	v_fma_f32 v19, v129, v20, -v19
	v_sub_f32_e32 v6, v6, v16
	v_sub_f32_e32 v10, v10, v19
	s_waitcnt lgkmcnt(0)
	v_mul_f32_e32 v16, v134, v6
	v_mul_f32_e32 v20, v133, v6
	v_fma_f32 v19, v133, v10, -v16
	v_fmac_f32_e32 v20, v134, v10
	v_add_u32_e32 v6, s15, v227
	buffer_store_dword v19, off, s[0:3], 0 offset:208
	buffer_store_dword v20, off, s[0:3], 0 offset:212
	ds_write_b64 v6, v[19:20]
	v_mul_f32_e32 v6, v48, v31
	v_fma_f32 v6, v47, v24, -v6
	v_mul_f32_e32 v10, v47, v31
	v_mul_f32_e32 v16, v71, v32
	v_fmac_f32_e32 v10, v48, v24
	v_sub_f32_e32 v6, v143, v6
	v_fma_f32 v16, v70, v27, -v16
	v_mul_f32_e32 v19, v70, v32
	v_sub_f32_e32 v10, v151, v10
	v_fmac_f32_e32 v19, v71, v27
	v_sub_f32_e32 v6, v6, v16
	v_mul_f32_e32 v16, v82, v33
	v_sub_f32_e32 v10, v10, v19
	v_fma_f32 v16, v81, v28, -v16
	v_mul_f32_e32 v19, v81, v33
	v_fmac_f32_e32 v19, v82, v28
	v_sub_f32_e32 v6, v6, v16
	v_mul_f32_e32 v16, v73, v30
	v_sub_f32_e32 v10, v10, v19
	v_fma_f32 v16, v72, v29, -v16
	v_mul_f32_e32 v19, v72, v30
	v_fmac_f32_e32 v19, v73, v29
	v_sub_f32_e32 v6, v6, v16
	buffer_load_dword v16, off, s[0:3], 0 offset:132
	buffer_load_dword v20, off, s[0:3], 0 offset:128
	v_sub_f32_e32 v10, v10, v19
	v_mul_f32_e32 v19, v87, v34
	v_fma_f32 v19, v86, v25, -v19
	v_mul_f32_e32 v24, v86, v34
	v_fmac_f32_e32 v24, v87, v25
	v_sub_f32_e32 v6, v6, v19
	v_mul_f32_e32 v19, v60, v22
	v_mul_f32_e32 v22, v59, v22
	v_sub_f32_e32 v10, v10, v24
	buffer_load_dword v24, off, s[0:3], 0 offset:148
	buffer_load_dword v25, off, s[0:3], 0 offset:144
	v_fmac_f32_e32 v22, v60, v26
	v_sub_f32_e32 v10, v10, v22
	buffer_load_dword v22, off, s[0:3], 0 offset:156
	v_fma_f32 v19, v59, v26, -v19
	v_sub_f32_e32 v6, v6, v19
	v_mul_f32_e32 v19, v89, v35
	v_fma_f32 v19, v88, v21, -v19
	v_mul_f32_e32 v26, v88, v35
	v_fmac_f32_e32 v26, v89, v21
	v_sub_f32_e32 v6, v6, v19
	v_mul_f32_e32 v19, v94, v18
	v_mul_f32_e32 v18, v93, v18
	v_sub_f32_e32 v10, v10, v26
	v_fma_f32 v19, v93, v17, -v19
	v_fmac_f32_e32 v18, v94, v17
	v_mul_f32_e32 v17, v98, v40
	v_sub_f32_e32 v6, v6, v19
	v_sub_f32_e32 v10, v10, v18
	v_fma_f32 v17, v97, v50, -v17
	v_mul_f32_e32 v18, v97, v40
	v_fmac_f32_e32 v18, v98, v50
	v_sub_f32_e32 v6, v6, v17
	v_sub_f32_e32 v10, v10, v18
	s_add_i32 s12, s34, 0xffffe428
	s_waitcnt vmcnt(11)
	v_mul_f32_e32 v17, v62, v12
	v_mul_f32_e32 v12, v61, v12
	s_waitcnt vmcnt(10)
	v_fmac_f32_e32 v12, v62, v14
	v_sub_f32_e32 v10, v10, v12
	v_mul_f32_e32 v12, v100, v11
	v_mul_f32_e32 v11, v99, v11
	v_fma_f32 v17, v61, v14, -v17
	s_waitcnt vmcnt(8)
	v_fmac_f32_e32 v11, v100, v37
	v_sub_f32_e32 v6, v6, v17
	v_fma_f32 v12, v99, v37, -v12
	v_sub_f32_e32 v10, v10, v11
	v_mul_f32_e32 v11, v102, v7
	v_mul_f32_e32 v7, v101, v7
	v_sub_f32_e32 v6, v6, v12
	v_fma_f32 v11, v101, v8, -v11
	v_fmac_f32_e32 v7, v102, v8
	v_mul_f32_e32 v8, v106, v9
	v_mul_f32_e32 v9, v105, v9
	v_sub_f32_e32 v6, v6, v11
	v_sub_f32_e32 v7, v10, v7
	v_fma_f32 v8, v105, v5, -v8
	v_fmac_f32_e32 v9, v106, v5
	v_sub_f32_e32 v5, v6, v8
	v_sub_f32_e32 v6, v7, v9
	buffer_load_dword v7, off, s[0:3], 0 offset:212
	buffer_load_dword v8, off, s[0:3], 0 offset:208
	v_mul_f32_e32 v9, v108, v1
	v_fma_f32 v9, v107, v2, -v9
	v_mul_f32_e32 v1, v107, v1
	v_fmac_f32_e32 v1, v108, v2
	v_sub_f32_e32 v2, v5, v9
	v_mul_f32_e32 v5, v112, v39
	v_sub_f32_e32 v1, v6, v1
	v_fma_f32 v5, v111, v46, -v5
	v_mul_f32_e32 v6, v111, v39
	v_fmac_f32_e32 v6, v112, v46
	v_sub_f32_e32 v2, v2, v5
	v_mul_f32_e32 v5, v64, v53
	v_sub_f32_e32 v1, v1, v6
	v_fma_f32 v5, v63, v54, -v5
	v_mul_f32_e32 v6, v63, v53
	v_fmac_f32_e32 v6, v64, v54
	v_sub_f32_e32 v2, v2, v5
	s_waitcnt vmcnt(6)
	v_mul_f32_e32 v5, v114, v16
	v_sub_f32_e32 v1, v1, v6
	s_waitcnt vmcnt(5)
	v_fma_f32 v5, v113, v20, -v5
	v_mul_f32_e32 v6, v113, v16
	v_fmac_f32_e32 v6, v114, v20
	v_sub_f32_e32 v2, v2, v5
	v_mul_f32_e32 v5, v116, v36
	v_sub_f32_e32 v1, v1, v6
	v_fma_f32 v5, v115, v38, -v5
	v_mul_f32_e32 v6, v115, v36
	v_fmac_f32_e32 v6, v116, v38
	v_sub_f32_e32 v2, v2, v5
	s_waitcnt vmcnt(4)
	v_mul_f32_e32 v5, v120, v24
	v_sub_f32_e32 v1, v1, v6
	s_waitcnt vmcnt(3)
	v_fma_f32 v5, v119, v25, -v5
	v_mul_f32_e32 v6, v119, v24
	v_fmac_f32_e32 v6, v120, v25
	v_sub_f32_e32 v2, v2, v5
	s_waitcnt vmcnt(2)
	v_mul_f32_e32 v5, v75, v22
	v_sub_f32_e32 v1, v1, v6
	v_fma_f32 v5, v74, v15, -v5
	v_mul_f32_e32 v6, v74, v22
	v_fmac_f32_e32 v6, v75, v15
	v_sub_f32_e32 v2, v2, v5
	v_mul_f32_e32 v5, v122, v3
	v_mul_f32_e32 v3, v121, v3
	v_sub_f32_e32 v1, v1, v6
	v_fma_f32 v5, v121, v4, -v5
	v_fmac_f32_e32 v3, v122, v4
	v_mul_f32_e32 v4, v76, v13
	v_sub_f32_e32 v1, v1, v3
	v_fmac_f32_e32 v4, v77, v43
	v_mul_f32_e32 v3, v77, v13
	v_sub_f32_e32 v1, v1, v4
	v_mul_f32_e32 v4, v123, v44
	v_sub_f32_e32 v2, v2, v5
	v_fma_f32 v3, v76, v43, -v3
	v_fmac_f32_e32 v4, v124, v45
	v_sub_f32_e32 v2, v2, v3
	v_mul_f32_e32 v3, v124, v44
	v_sub_f32_e32 v1, v1, v4
	v_mul_f32_e32 v4, v65, v52
	v_fma_f32 v3, v123, v45, -v3
	v_fmac_f32_e32 v4, v66, v57
	v_sub_f32_e32 v2, v2, v3
	v_mul_f32_e32 v3, v66, v52
	v_sub_f32_e32 v1, v1, v4
	v_mul_f32_e32 v4, v125, v144
	;; [unrolled: 6-line block ×3, first 2 shown]
	v_fma_f32 v3, v125, v145, -v3
	v_fmac_f32_e32 v4, v128, v41
	v_sub_f32_e32 v2, v2, v3
	v_mul_f32_e32 v3, v128, v23
	v_sub_f32_e32 v4, v1, v4
	v_fma_f32 v3, v127, v41, -v3
	v_sub_f32_e32 v3, v2, v3
	s_waitcnt vmcnt(1)
	v_mul_f32_e32 v1, v132, v7
	s_waitcnt vmcnt(0)
	v_fma_f32 v5, v131, v8, -v1
	v_mov_b32_e32 v1, s12
	ds_read_b64 v[1:2], v1
	v_mul_f32_e32 v6, v131, v7
	v_fmac_f32_e32 v6, v132, v8
	v_sub_f32_e32 v4, v4, v6
	v_sub_f32_e32 v5, v3, v5
	s_waitcnt lgkmcnt(0)
	v_mul_f32_e32 v3, v2, v4
	v_mul_f32_e32 v4, v1, v4
	v_fma_f32 v3, v1, v5, -v3
	v_fmac_f32_e32 v4, v2, v5
	v_lshl_add_u32 v1, s45, 8, v227
	buffer_store_dword v3, off, s[0:3], 0 offset:216
	buffer_store_dword v4, off, s[0:3], 0 offset:220
	ds_write_b64 v1, v[3:4]
.LBB168_52:
	s_cmp_lt_i32 s14, 0
	s_cbranch_scc1 .LBB168_68
; %bb.53:
	s_bitcmp1_b32 s14, 0
	s_cselect_b64 s[12:13], -1, 0
	s_and_b64 vcc, exec, s[12:13]
	s_mov_b32 s12, s14
	s_cbranch_vccnz .LBB168_59
; %bb.54:
	s_lshl_b32 s12, s14, 8
	v_add_u32_e32 v3, s12, v227
	ds_read_b64 v[1:2], v3
	s_cmp_le_i32 s9, s14
	s_waitcnt lgkmcnt(0)
	buffer_store_dword v2, off, s[0:3], 0 offset:4
	buffer_store_dword v1, off, s[0:3], 0
	s_cbranch_scc1 .LBB168_58
; %bb.55:
	s_lshl_b32 s13, s26, 8
	s_lshl_b32 s12, s14, 3
	s_add_i32 s12, s13, s12
	v_lshl_or_b32 v4, v0, 3, s13
	s_addk_i32 s12, 0xff00
	v_add_u32_e32 v4, 0x1f00, v4
	s_mov_b32 s13, s9
.LBB168_56:                             ; =>This Inner Loop Header: Depth=1
	v_mov_b32_e32 v7, s12
	ds_read_b64 v[5:6], v4
	ds_read_b64 v[7:8], v7
	s_add_i32 s13, s13, -1
	s_addk_i32 s12, 0xff00
	v_add_u32_e32 v4, 0xffffff00, v4
	s_cmp_gt_i32 s13, s14
	s_waitcnt lgkmcnt(0)
	v_mul_f32_e32 v9, v8, v6
	v_mul_f32_e32 v8, v8, v5
	v_fma_f32 v5, v7, v5, -v9
	v_fmac_f32_e32 v8, v7, v6
	v_sub_f32_e32 v1, v1, v5
	v_sub_f32_e32 v2, v2, v8
	s_cbranch_scc1 .LBB168_56
; %bb.57:
	buffer_store_dword v1, off, s[0:3], 0
	buffer_store_dword v2, off, s[0:3], 0 offset:4
.LBB168_58:
	s_mul_i32 s12, s14, 0x108
	v_mov_b32_e32 v4, s12
	ds_read_b64 v[4:5], v4
	s_add_i32 s12, s14, -1
	s_waitcnt lgkmcnt(0)
	v_mul_f32_e32 v6, v5, v2
	v_mul_f32_e32 v7, v4, v2
	v_fma_f32 v6, v4, v1, -v6
	v_fmac_f32_e32 v7, v5, v1
	buffer_store_dword v6, off, s[0:3], 0
	buffer_store_dword v7, off, s[0:3], 0 offset:4
	ds_write_b64 v3, v[6:7]
.LBB168_59:
	s_cmp_eq_u32 s14, 0
	s_cbranch_scc1 .LBB168_68
; %bb.60:
	s_lshl_b32 s14, s26, 8
	s_lshl_b32 s13, s12, 3
	s_add_i32 s15, s14, s13
	v_lshl_or_b32 v1, v0, 3, s14
	s_add_i32 s13, s15, 0xffffff00
	v_add_u32_e32 v5, 0x1f00, v1
	s_add_i32 s14, s15, 0xfffffef8
	s_branch .LBB168_62
.LBB168_61:                             ;   in Loop: Header=BB168_62 Depth=1
	s_addk_i32 s15, 0xfef8
	v_mov_b32_e32 v1, s15
	ds_read_b64 v[1:2], v1
	s_add_i32 s15, s12, -2
	s_add_i32 s13, s13, -16
	;; [unrolled: 1-line block ×3, first 2 shown]
	s_cmp_lt_i32 s12, 2
	s_waitcnt lgkmcnt(0)
	v_mul_f32_e32 v6, v2, v4
	v_mul_f32_e32 v9, v1, v4
	v_fma_f32 v8, v1, v3, -v6
	v_fmac_f32_e32 v9, v2, v3
	s_mov_b32 s12, s15
	buffer_store_dword v8, off, s[0:3], 0
	buffer_store_dword v9, off, s[0:3], 0 offset:4
	ds_write_b64 v7, v[8:9]
	s_cbranch_scc1 .LBB168_68
.LBB168_62:                             ; =>This Loop Header: Depth=1
                                        ;     Child Loop BB168_63 Depth 2
                                        ;     Child Loop BB168_66 Depth 2
	s_lshl_b32 s20, s12, 8
	v_add_u32_e32 v6, s20, v227
	ds_read_b64 v[1:2], v6
	v_mov_b32_e32 v3, v5
	s_mov_b32 s15, s13
	s_cmp_le_i32 s9, s12
	s_mov_b32 s21, s9
	s_waitcnt lgkmcnt(0)
	buffer_store_dword v2, off, s[0:3], 0 offset:4
	buffer_store_dword v1, off, s[0:3], 0
	s_cbranch_scc1 .LBB168_65
.LBB168_63:                             ;   Parent Loop BB168_62 Depth=1
                                        ; =>  This Inner Loop Header: Depth=2
	v_mov_b32_e32 v4, s15
	ds_read_b64 v[7:8], v3
	ds_read_b64 v[9:10], v4
	s_add_i32 s21, s21, -1
	s_addk_i32 s15, 0xff00
	v_add_u32_e32 v3, 0xffffff00, v3
	s_cmp_gt_i32 s21, s12
	s_waitcnt lgkmcnt(0)
	v_mul_f32_e32 v4, v10, v8
	v_mul_f32_e32 v10, v10, v7
	v_fma_f32 v4, v9, v7, -v4
	v_fmac_f32_e32 v10, v9, v8
	v_sub_f32_e32 v1, v1, v4
	v_sub_f32_e32 v2, v2, v10
	s_cbranch_scc1 .LBB168_63
; %bb.64:                               ;   in Loop: Header=BB168_62 Depth=1
	buffer_store_dword v1, off, s[0:3], 0
	buffer_store_dword v2, off, s[0:3], 0 offset:4
.LBB168_65:                             ;   in Loop: Header=BB168_62 Depth=1
	s_mul_i32 s15, s12, 0x108
	v_mov_b32_e32 v3, s15
	ds_read_b64 v[8:9], v3
	s_addk_i32 s20, 0xff00
	v_add_u32_e32 v7, s20, v227
	ds_read_b64 v[3:4], v7
	s_cmp_le_i32 s26, s12
	s_waitcnt lgkmcnt(1)
	v_mul_f32_e32 v10, v9, v2
	v_mul_f32_e32 v11, v8, v2
	v_fma_f32 v10, v8, v1, -v10
	v_fmac_f32_e32 v11, v9, v1
	s_mov_b32 s20, s14
	v_mov_b32_e32 v1, v5
	s_mov_b32 s21, s26
	ds_write_b64 v6, v[10:11]
	s_waitcnt lgkmcnt(1)
	buffer_store_dword v3, off, s[0:3], 0
	buffer_store_dword v4, off, s[0:3], 0 offset:4
	s_cbranch_scc1 .LBB168_61
.LBB168_66:                             ;   Parent Loop BB168_62 Depth=1
                                        ; =>  This Inner Loop Header: Depth=2
	v_mov_b32_e32 v2, s20
	ds_read_b64 v[8:9], v1
	ds_read_b64 v[10:11], v2
	s_add_i32 s21, s21, -1
	s_addk_i32 s20, 0xff00
	v_add_u32_e32 v1, 0xffffff00, v1
	s_cmp_gt_i32 s21, s12
	s_waitcnt lgkmcnt(0)
	v_mul_f32_e32 v2, v11, v9
	v_mul_f32_e32 v6, v11, v8
	v_fma_f32 v2, v10, v8, -v2
	v_fmac_f32_e32 v6, v10, v9
	v_sub_f32_e32 v3, v3, v2
	v_sub_f32_e32 v4, v4, v6
	s_cbranch_scc1 .LBB168_66
; %bb.67:                               ;   in Loop: Header=BB168_62 Depth=1
	buffer_store_dword v3, off, s[0:3], 0
	buffer_store_dword v4, off, s[0:3], 0 offset:4
	s_branch .LBB168_61
.LBB168_68:
	s_waitcnt lgkmcnt(0)
	; wave barrier
	s_and_saveexec_b64 s[12:13], s[4:5]
	s_cbranch_execz .LBB168_72
; %bb.69:
	s_andn2_b64 vcc, exec, s[6:7]
	s_cbranch_vccnz .LBB168_72
; %bb.70:
	s_lshl_b64 s[4:5], s[18:19], 3
	s_add_u32 s6, s10, s4
	s_addc_u32 s7, s11, s5
	s_lshl_b64 s[4:5], s[16:17], 3
	s_add_u32 s9, s6, s4
	s_addc_u32 s10, s7, s5
	v_mad_i64_i32 v[1:2], s[6:7], s24, v0, 0
	s_mul_hi_i32 s5, s24, s8
	s_mul_i32 s4, s24, s8
	s_lshl_b64 s[4:5], s[4:5], 3
	s_add_u32 s4, s9, s4
	v_lshlrev_b64 v[1:2], 3, v[1:2]
	s_addc_u32 s5, s10, s5
	v_mov_b32_e32 v3, s5
	v_add_co_u32_e32 v1, vcc, s4, v1
	v_addc_co_u32_e32 v2, vcc, v3, v2, vcc
	v_mov_b32_e32 v3, 0x2000
	v_lshl_or_b32 v0, v0, 3, v3
.LBB168_71:                             ; =>This Inner Loop Header: Depth=1
	ds_read_b64 v[3:4], v0
	s_add_i32 s26, s26, -1
	v_add_u32_e32 v0, 0x100, v0
	s_cmp_lg_u32 s26, 0
	s_waitcnt lgkmcnt(0)
	global_store_dwordx2 v[1:2], v[3:4], off
	v_add_co_u32_e32 v1, vcc, 8, v1
	v_addc_co_u32_e32 v2, vcc, 0, v2, vcc
	s_cbranch_scc1 .LBB168_71
.LBB168_72:
	s_endpgm
	.section	.rodata,"a",@progbits
	.p2align	6, 0x0
	.amdhsa_kernel _ZL38rocblas_trsm_small_left_device_sharedBILi32ELi32ELb0E19rocblas_complex_numIfES1_PKS1_PS1_Ev13rocblas_fill_18rocblas_operation_17rocblas_diagonal_iiT3_T4_lilT5_lili
		.amdhsa_group_segment_fixed_size 16384
		.amdhsa_private_segment_fixed_size 272
		.amdhsa_kernarg_size 360
		.amdhsa_user_sgpr_count 6
		.amdhsa_user_sgpr_private_segment_buffer 1
		.amdhsa_user_sgpr_dispatch_ptr 0
		.amdhsa_user_sgpr_queue_ptr 0
		.amdhsa_user_sgpr_kernarg_segment_ptr 1
		.amdhsa_user_sgpr_dispatch_id 0
		.amdhsa_user_sgpr_flat_scratch_init 0
		.amdhsa_user_sgpr_private_segment_size 0
		.amdhsa_uses_dynamic_stack 0
		.amdhsa_system_sgpr_private_segment_wavefront_offset 1
		.amdhsa_system_sgpr_workgroup_id_x 1
		.amdhsa_system_sgpr_workgroup_id_y 0
		.amdhsa_system_sgpr_workgroup_id_z 1
		.amdhsa_system_sgpr_workgroup_info 0
		.amdhsa_system_vgpr_workitem_id 0
		.amdhsa_next_free_vgpr 245
		.amdhsa_next_free_sgpr 98
		.amdhsa_reserve_vcc 1
		.amdhsa_reserve_flat_scratch 0
		.amdhsa_float_round_mode_32 0
		.amdhsa_float_round_mode_16_64 0
		.amdhsa_float_denorm_mode_32 3
		.amdhsa_float_denorm_mode_16_64 3
		.amdhsa_dx10_clamp 1
		.amdhsa_ieee_mode 1
		.amdhsa_fp16_overflow 0
		.amdhsa_exception_fp_ieee_invalid_op 0
		.amdhsa_exception_fp_denorm_src 0
		.amdhsa_exception_fp_ieee_div_zero 0
		.amdhsa_exception_fp_ieee_overflow 0
		.amdhsa_exception_fp_ieee_underflow 0
		.amdhsa_exception_fp_ieee_inexact 0
		.amdhsa_exception_int_div_zero 0
	.end_amdhsa_kernel
	.section	.text._ZL38rocblas_trsm_small_left_device_sharedBILi32ELi32ELb0E19rocblas_complex_numIfES1_PKS1_PS1_Ev13rocblas_fill_18rocblas_operation_17rocblas_diagonal_iiT3_T4_lilT5_lili,"axG",@progbits,_ZL38rocblas_trsm_small_left_device_sharedBILi32ELi32ELb0E19rocblas_complex_numIfES1_PKS1_PS1_Ev13rocblas_fill_18rocblas_operation_17rocblas_diagonal_iiT3_T4_lilT5_lili,comdat
.Lfunc_end168:
	.size	_ZL38rocblas_trsm_small_left_device_sharedBILi32ELi32ELb0E19rocblas_complex_numIfES1_PKS1_PS1_Ev13rocblas_fill_18rocblas_operation_17rocblas_diagonal_iiT3_T4_lilT5_lili, .Lfunc_end168-_ZL38rocblas_trsm_small_left_device_sharedBILi32ELi32ELb0E19rocblas_complex_numIfES1_PKS1_PS1_Ev13rocblas_fill_18rocblas_operation_17rocblas_diagonal_iiT3_T4_lilT5_lili
                                        ; -- End function
	.set _ZL38rocblas_trsm_small_left_device_sharedBILi32ELi32ELb0E19rocblas_complex_numIfES1_PKS1_PS1_Ev13rocblas_fill_18rocblas_operation_17rocblas_diagonal_iiT3_T4_lilT5_lili.num_vgpr, 245
	.set _ZL38rocblas_trsm_small_left_device_sharedBILi32ELi32ELb0E19rocblas_complex_numIfES1_PKS1_PS1_Ev13rocblas_fill_18rocblas_operation_17rocblas_diagonal_iiT3_T4_lilT5_lili.num_agpr, 0
	.set _ZL38rocblas_trsm_small_left_device_sharedBILi32ELi32ELb0E19rocblas_complex_numIfES1_PKS1_PS1_Ev13rocblas_fill_18rocblas_operation_17rocblas_diagonal_iiT3_T4_lilT5_lili.numbered_sgpr, 50
	.set _ZL38rocblas_trsm_small_left_device_sharedBILi32ELi32ELb0E19rocblas_complex_numIfES1_PKS1_PS1_Ev13rocblas_fill_18rocblas_operation_17rocblas_diagonal_iiT3_T4_lilT5_lili.num_named_barrier, 0
	.set _ZL38rocblas_trsm_small_left_device_sharedBILi32ELi32ELb0E19rocblas_complex_numIfES1_PKS1_PS1_Ev13rocblas_fill_18rocblas_operation_17rocblas_diagonal_iiT3_T4_lilT5_lili.private_seg_size, 272
	.set _ZL38rocblas_trsm_small_left_device_sharedBILi32ELi32ELb0E19rocblas_complex_numIfES1_PKS1_PS1_Ev13rocblas_fill_18rocblas_operation_17rocblas_diagonal_iiT3_T4_lilT5_lili.uses_vcc, 1
	.set _ZL38rocblas_trsm_small_left_device_sharedBILi32ELi32ELb0E19rocblas_complex_numIfES1_PKS1_PS1_Ev13rocblas_fill_18rocblas_operation_17rocblas_diagonal_iiT3_T4_lilT5_lili.uses_flat_scratch, 0
	.set _ZL38rocblas_trsm_small_left_device_sharedBILi32ELi32ELb0E19rocblas_complex_numIfES1_PKS1_PS1_Ev13rocblas_fill_18rocblas_operation_17rocblas_diagonal_iiT3_T4_lilT5_lili.has_dyn_sized_stack, 0
	.set _ZL38rocblas_trsm_small_left_device_sharedBILi32ELi32ELb0E19rocblas_complex_numIfES1_PKS1_PS1_Ev13rocblas_fill_18rocblas_operation_17rocblas_diagonal_iiT3_T4_lilT5_lili.has_recursion, 0
	.set _ZL38rocblas_trsm_small_left_device_sharedBILi32ELi32ELb0E19rocblas_complex_numIfES1_PKS1_PS1_Ev13rocblas_fill_18rocblas_operation_17rocblas_diagonal_iiT3_T4_lilT5_lili.has_indirect_call, 0
	.section	.AMDGPU.csdata,"",@progbits
; Kernel info:
; codeLenInByte = 58256
; TotalNumSgprs: 54
; NumVgprs: 245
; ScratchSize: 272
; MemoryBound: 0
; FloatMode: 240
; IeeeMode: 1
; LDSByteSize: 16384 bytes/workgroup (compile time only)
; SGPRBlocks: 12
; VGPRBlocks: 61
; NumSGPRsForWavesPerEU: 102
; NumVGPRsForWavesPerEU: 245
; Occupancy: 1
; WaveLimiterHint : 1
; COMPUTE_PGM_RSRC2:SCRATCH_EN: 1
; COMPUTE_PGM_RSRC2:USER_SGPR: 6
; COMPUTE_PGM_RSRC2:TRAP_HANDLER: 0
; COMPUTE_PGM_RSRC2:TGID_X_EN: 1
; COMPUTE_PGM_RSRC2:TGID_Y_EN: 0
; COMPUTE_PGM_RSRC2:TGID_Z_EN: 1
; COMPUTE_PGM_RSRC2:TIDIG_COMP_CNT: 0
	.section	.text._ZL30rocblas_trsm_small_left_deviceILi32ELi32ELb0E19rocblas_complex_numIfES1_PKS1_PS1_Ev13rocblas_fill_18rocblas_operation_17rocblas_diagonal_iiT3_T4_lilT5_lili,"axG",@progbits,_ZL30rocblas_trsm_small_left_deviceILi32ELi32ELb0E19rocblas_complex_numIfES1_PKS1_PS1_Ev13rocblas_fill_18rocblas_operation_17rocblas_diagonal_iiT3_T4_lilT5_lili,comdat
	.globl	_ZL30rocblas_trsm_small_left_deviceILi32ELi32ELb0E19rocblas_complex_numIfES1_PKS1_PS1_Ev13rocblas_fill_18rocblas_operation_17rocblas_diagonal_iiT3_T4_lilT5_lili ; -- Begin function _ZL30rocblas_trsm_small_left_deviceILi32ELi32ELb0E19rocblas_complex_numIfES1_PKS1_PS1_Ev13rocblas_fill_18rocblas_operation_17rocblas_diagonal_iiT3_T4_lilT5_lili
	.p2align	8
	.type	_ZL30rocblas_trsm_small_left_deviceILi32ELi32ELb0E19rocblas_complex_numIfES1_PKS1_PS1_Ev13rocblas_fill_18rocblas_operation_17rocblas_diagonal_iiT3_T4_lilT5_lili,@function
_ZL30rocblas_trsm_small_left_deviceILi32ELi32ELb0E19rocblas_complex_numIfES1_PKS1_PS1_Ev13rocblas_fill_18rocblas_operation_17rocblas_diagonal_iiT3_T4_lilT5_lili: ; @_ZL30rocblas_trsm_small_left_deviceILi32ELi32ELb0E19rocblas_complex_numIfES1_PKS1_PS1_Ev13rocblas_fill_18rocblas_operation_17rocblas_diagonal_iiT3_T4_lilT5_lili
; %bb.0:
	s_add_u32 s0, s0, s8
	s_load_dwordx4 s[12:15], s[4:5], 0x4
	s_load_dwordx2 s[16:17], s[4:5], 0x14
	s_load_dwordx4 s[8:11], s[4:5], 0x38
	s_load_dwordx2 s[18:19], s[4:5], 0x48
	s_load_dword s27, s[4:5], 0x68
	s_addc_u32 s1, s1, 0
	s_waitcnt lgkmcnt(0)
	s_min_i32 s26, s14, 32
	v_cmp_gt_i32_e32 vcc, s26, v0
	s_and_saveexec_b64 s[20:21], vcc
	s_cbranch_execz .LBB169_15
; %bb.1:
	s_load_dword s24, s[4:5], 0x30
	s_load_dwordx4 s[28:31], s[4:5], 0x20
	s_mul_i32 s9, s9, s7
	s_mul_hi_u32 s14, s8, s7
	s_mul_i32 s8, s8, s7
	s_waitcnt lgkmcnt(0)
	s_ashr_i32 s25, s24, 31
	s_cmpk_lg_i32 s12, 0x71
	s_cselect_b64 s[22:23], -1, 0
	s_add_i32 s9, s14, s9
	s_lshl_b64 s[8:9], s[8:9], 3
	s_lshl_b64 s[30:31], s[30:31], 3
	s_add_u32 s8, s8, s30
	s_addc_u32 s9, s9, s31
	s_add_u32 s8, s28, s8
	v_lshlrev_b32_e32 v5, 3, v0
	s_addc_u32 s9, s29, s9
	v_mov_b32_e32 v1, s9
	v_add_co_u32_e32 v2, vcc, s8, v5
	v_addc_co_u32_e32 v3, vcc, 0, v1, vcc
	v_add_co_u32_e32 v1, vcc, 4, v2
	s_lshl_b64 s[8:9], s[24:25], 3
	v_addc_co_u32_e32 v2, vcc, 0, v3, vcc
	v_mov_b32_e32 v6, s9
	v_mov_b32_e32 v7, v5
	s_mov_b32 s9, s26
	s_branch .LBB169_3
.LBB169_2:                              ;   in Loop: Header=BB169_3 Depth=1
	global_load_dword v3, v[1:2], off offset:-4
	s_add_i32 s9, s9, -1
	v_add_co_u32_e32 v1, vcc, s8, v1
	v_addc_co_u32_e32 v2, vcc, v2, v6, vcc
	s_cmp_eq_u32 s9, 0
	s_waitcnt vmcnt(0)
	ds_write_b64 v7, v[3:4]
	v_add_u32_e32 v7, 0x100, v7
	s_cbranch_scc1 .LBB169_7
.LBB169_3:                              ; =>This Inner Loop Header: Depth=1
	s_mov_b64 s[24:25], -1
	s_and_b64 vcc, exec, s[22:23]
                                        ; implicit-def: $vgpr4
	s_cbranch_vccz .LBB169_5
; %bb.4:                                ;   in Loop: Header=BB169_3 Depth=1
	global_load_dword v4, v[1:2], off
	s_mov_b64 s[24:25], 0
.LBB169_5:                              ;   in Loop: Header=BB169_3 Depth=1
	s_andn2_b64 vcc, exec, s[24:25]
	s_cbranch_vccnz .LBB169_2
; %bb.6:                                ;   in Loop: Header=BB169_3 Depth=1
	global_load_dword v3, v[1:2], off
	s_waitcnt vmcnt(0)
	v_xor_b32_e32 v4, 0x80000000, v3
	s_branch .LBB169_2
.LBB169_7:
	s_cmpk_lg_i32 s13, 0x84
	v_lshlrev_b32_e32 v6, 8, v0
	s_mov_b64 s[8:9], -1
	s_cbranch_scc0 .LBB169_13
; %bb.8:
	v_add_u32_e32 v7, v5, v6
	ds_read_b64 v[1:2], v7
                                        ; implicit-def: $vgpr3
	s_waitcnt lgkmcnt(0)
	v_cmp_ngt_f32_e64 s[8:9], |v1|, |v2|
	s_and_saveexec_b64 s[22:23], s[8:9]
	s_xor_b64 s[8:9], exec, s[22:23]
	s_cbranch_execz .LBB169_10
; %bb.9:
	v_div_scale_f32 v3, s[22:23], v2, v2, v1
	v_div_scale_f32 v4, vcc, v1, v2, v1
	v_rcp_f32_e32 v8, v3
	v_fma_f32 v9, -v3, v8, 1.0
	v_fmac_f32_e32 v8, v9, v8
	v_mul_f32_e32 v9, v4, v8
	v_fma_f32 v10, -v3, v9, v4
	v_fmac_f32_e32 v9, v10, v8
	v_fma_f32 v3, -v3, v9, v4
	v_div_fmas_f32 v3, v3, v8, v9
	v_div_fixup_f32 v3, v3, v2, v1
	v_fmac_f32_e32 v2, v1, v3
	v_div_scale_f32 v1, s[22:23], v2, v2, 1.0
	v_div_scale_f32 v4, vcc, 1.0, v2, 1.0
	v_rcp_f32_e32 v8, v1
	v_fma_f32 v9, -v1, v8, 1.0
	v_fmac_f32_e32 v8, v9, v8
	v_mul_f32_e32 v9, v4, v8
	v_fma_f32 v10, -v1, v9, v4
	v_fmac_f32_e32 v9, v10, v8
	v_fma_f32 v1, -v1, v9, v4
	v_div_fmas_f32 v1, v1, v8, v9
	v_add_f32_e32 v4, 0, v3
	v_fma_f32 v8, v3, 0, -1.0
	v_div_fixup_f32 v1, v1, v2, 1.0
	v_mul_f32_e32 v3, v4, v1
	v_mul_f32_e32 v4, v8, v1
                                        ; implicit-def: $vgpr1_vgpr2
.LBB169_10:
	s_andn2_saveexec_b64 s[8:9], s[8:9]
	s_cbranch_execz .LBB169_12
; %bb.11:
	v_div_scale_f32 v3, s[22:23], v1, v1, v2
	v_div_scale_f32 v4, vcc, v2, v1, v2
	v_rcp_f32_e32 v8, v3
	v_fma_f32 v9, -v3, v8, 1.0
	v_fmac_f32_e32 v8, v9, v8
	v_mul_f32_e32 v9, v4, v8
	v_fma_f32 v10, -v3, v9, v4
	v_fmac_f32_e32 v9, v10, v8
	v_fma_f32 v3, -v3, v9, v4
	v_div_fmas_f32 v3, v3, v8, v9
	v_div_fixup_f32 v4, v3, v1, v2
	v_fmac_f32_e32 v1, v2, v4
	v_div_scale_f32 v2, s[22:23], v1, v1, 1.0
	v_div_scale_f32 v3, vcc, 1.0, v1, 1.0
	v_rcp_f32_e32 v8, v2
	v_fma_f32 v9, -v2, v8, 1.0
	v_fmac_f32_e32 v8, v9, v8
	v_mul_f32_e32 v9, v3, v8
	v_fma_f32 v10, -v2, v9, v3
	v_fmac_f32_e32 v9, v10, v8
	v_fma_f32 v2, -v2, v9, v3
	v_div_fmas_f32 v2, v2, v8, v9
	v_fma_f32 v3, v4, 0, 1.0
	v_div_fixup_f32 v1, v2, v1, 1.0
	v_mul_f32_e32 v3, v3, v1
	v_mul_f32_e64 v4, -v4, v1
.LBB169_12:
	s_or_b64 exec, exec, s[8:9]
	s_mov_b64 s[8:9], 0
	ds_write_b64 v7, v[3:4]
.LBB169_13:
	s_and_b64 vcc, exec, s[8:9]
	s_cbranch_vccz .LBB169_15
; %bb.14:
	v_add_u32_e32 v3, v5, v6
	v_mov_b32_e32 v1, 1.0
	v_mov_b32_e32 v2, 0
	ds_write_b64 v3, v[1:2]
.LBB169_15:
	s_or_b64 exec, exec, s[20:21]
	s_lshl_b32 s8, s6, 5
	s_add_i32 s27, s27, -1
	s_sub_i32 s9, s15, s8
	s_cmp_ge_u32 s6, s27
	s_cselect_b32 s6, s9, 32
	v_cmp_gt_i32_e32 vcc, s6, v0
	s_waitcnt lgkmcnt(0)
	; wave barrier
	s_and_saveexec_b64 s[14:15], vcc
	s_cbranch_execz .LBB169_58
; %bb.16:
	s_load_dwordx2 s[14:15], s[4:5], 0x58
	s_load_dword s6, s[4:5], 0x50
	v_add_u32_e32 v0, s8, v0
	s_waitcnt lgkmcnt(0)
	s_mul_i32 s5, s15, s7
	s_mul_hi_u32 s8, s14, s7
	s_mul_i32 s4, s14, s7
	s_add_i32 s5, s8, s5
	v_mad_i64_i32 v[0:1], s[6:7], s6, v0, 0
	s_lshl_b64 s[4:5], s[4:5], 3
	s_add_u32 s8, s10, s4
	s_addc_u32 s9, s11, s5
	s_lshl_b64 s[6:7], s[18:19], 3
	s_add_u32 s8, s8, s6
	v_lshlrev_b64 v[0:1], 3, v[0:1]
	s_addc_u32 s9, s9, s7
	v_mov_b32_e32 v2, s9
	v_add_co_u32_e32 v6, vcc, s8, v0
	v_addc_co_u32_e32 v7, vcc, v2, v1, vcc
	s_cmpk_eq_i32 s12, 0x6f
	s_mov_b64 s[8:9], -1
	s_cbranch_scc1 .LBB169_38
; %bb.17:
	s_add_u32 s8, s10, s6
	s_addc_u32 s9, s11, s7
	s_add_u32 s8, s8, s4
	s_addc_u32 s9, s9, s5
	v_mov_b32_e32 v2, s9
	v_add_co_u32_e32 v3, vcc, s8, v0
	v_addc_co_u32_e32 v2, vcc, v2, v1, vcc
	v_add_co_u32_e32 v8, vcc, 4, v3
	s_mov_b32 s9, 0
	v_addc_co_u32_e32 v9, vcc, 0, v2, vcc
	s_mov_b32 s12, s9
	s_mov_b32 s14, s9
	s_branch .LBB169_19
.LBB169_18:                             ;   in Loop: Header=BB169_19 Depth=1
	s_cmp_ge_i32 s14, s26
	s_cselect_b64 s[18:19], -1, 0
	s_add_i32 s12, s12, 1
	s_cmp_eq_u32 s12, 3
	s_cselect_b64 s[20:21], -1, 0
	s_or_b64 s[18:19], s[18:19], s[20:21]
	s_andn2_b64 vcc, exec, s[18:19]
	s_cbranch_vccz .LBB169_37
.LBB169_19:                             ; =>This Loop Header: Depth=1
                                        ;     Child Loop BB169_22 Depth 2
                                        ;       Child Loop BB169_23 Depth 3
                                        ;       Child Loop BB169_26 Depth 3
                                        ;         Child Loop BB169_27 Depth 4
                                        ;       Child Loop BB169_31 Depth 3
                                        ;         Child Loop BB169_33 Depth 4
	s_mov_b32 s13, s9
	s_lshl_b64 s[18:19], s[12:13], 2
	s_getpc_b64 s[20:21]
	s_add_u32 s20, s20, __const._ZL30rocblas_trsm_small_left_deviceILi32ELi32ELb0E19rocblas_complex_numIfES1_PKS1_PS1_Ev13rocblas_fill_18rocblas_operation_17rocblas_diagonal_iiT3_T4_lilT5_lili.step_sizes@rel32@lo+4
	s_addc_u32 s21, s21, __const._ZL30rocblas_trsm_small_left_deviceILi32ELi32ELb0E19rocblas_complex_numIfES1_PKS1_PS1_Ev13rocblas_fill_18rocblas_operation_17rocblas_diagonal_iiT3_T4_lilT5_lili.step_sizes@rel32@hi+12
	s_add_u32 s18, s20, s18
	s_addc_u32 s19, s21, s19
	s_load_dword s18, s[18:19], 0x0
	s_waitcnt lgkmcnt(0)
	s_add_i32 s13, s18, -1
	s_add_i32 s8, s13, s14
	s_cmp_ge_i32 s8, s26
	s_cbranch_scc1 .LBB169_18
; %bb.20:                               ;   in Loop: Header=BB169_19 Depth=1
	s_ashr_i32 s15, s14, 31
	s_lshl_b64 s[20:21], s[14:15], 3
	s_ashr_i32 s19, s18, 31
	v_mov_b32_e32 v3, s21
	v_add_co_u32_e32 v2, vcc, s20, v8
	s_lshl_b64 s[20:21], s[18:19], 3
	s_max_i32 s27, s18, 1
	v_addc_co_u32_e32 v3, vcc, v9, v3, vcc
	s_lshl_b32 s15, s14, 8
	s_lshl_b32 s19, s18, 8
	s_mul_i32 s28, s14, 0x108
	s_mul_i32 s29, s18, 0x108
	v_mov_b32_e32 v10, s21
	s_branch .LBB169_22
.LBB169_21:                             ;   in Loop: Header=BB169_22 Depth=2
	s_add_i32 s14, s14, s18
	s_add_i32 s8, s13, s14
	;; [unrolled: 1-line block ×4, first 2 shown]
	v_add_co_u32_e32 v2, vcc, s20, v2
	s_cmp_ge_i32 s8, s26
	v_addc_co_u32_e32 v3, vcc, v3, v10, vcc
	s_cbranch_scc1 .LBB169_18
.LBB169_22:                             ;   Parent Loop BB169_19 Depth=1
                                        ; =>  This Loop Header: Depth=2
                                        ;       Child Loop BB169_23 Depth 3
                                        ;       Child Loop BB169_26 Depth 3
                                        ;         Child Loop BB169_27 Depth 4
                                        ;       Child Loop BB169_31 Depth 3
                                        ;         Child Loop BB169_33 Depth 4
	v_mov_b32_e32 v5, v3
	s_mov_b32 s8, 0
	v_mov_b32_e32 v4, v2
	s_mov_b32 s21, s27
.LBB169_23:                             ;   Parent Loop BB169_19 Depth=1
                                        ;     Parent Loop BB169_22 Depth=2
                                        ; =>    This Inner Loop Header: Depth=3
	global_load_dwordx2 v[11:12], v[4:5], off offset:-4
	v_mov_b32_e32 v13, s8
	s_add_i32 s21, s21, -1
	v_add_co_u32_e32 v4, vcc, 8, v4
	s_add_i32 s8, s8, 8
	v_addc_co_u32_e32 v5, vcc, 0, v5, vcc
	s_cmp_eq_u32 s21, 0
	s_waitcnt vmcnt(0)
	v_mul_f32_e32 v14, s17, v12
	v_mul_f32_e32 v12, s16, v12
	v_fma_f32 v14, v11, s16, -v14
	v_fmac_f32_e32 v12, s17, v11
	buffer_store_dword v14, v13, s[0:3], 0 offen
	buffer_store_dword v12, v13, s[0:3], 0 offen offset:4
	s_cbranch_scc0 .LBB169_23
; %bb.24:                               ;   in Loop: Header=BB169_22 Depth=2
	s_cmp_lt_i32 s14, 1
	s_cbranch_scc1 .LBB169_29
; %bb.25:                               ;   in Loop: Header=BB169_22 Depth=2
	s_mov_b32 s8, 0
	s_mov_b32 s21, s15
.LBB169_26:                             ;   Parent Loop BB169_19 Depth=1
                                        ;     Parent Loop BB169_22 Depth=2
                                        ; =>    This Loop Header: Depth=3
                                        ;         Child Loop BB169_27 Depth 4
	s_lshl_b64 s[22:23], s[8:9], 3
	v_mov_b32_e32 v5, s23
	v_add_co_u32_e32 v4, vcc, s22, v6
	v_addc_co_u32_e32 v5, vcc, v7, v5, vcc
	global_load_dwordx2 v[4:5], v[4:5], off
	s_mov_b32 s22, 0
	s_mov_b32 s23, s21
	;; [unrolled: 1-line block ×3, first 2 shown]
.LBB169_27:                             ;   Parent Loop BB169_19 Depth=1
                                        ;     Parent Loop BB169_22 Depth=2
                                        ;       Parent Loop BB169_26 Depth=3
                                        ; =>      This Inner Loop Header: Depth=4
	v_mov_b32_e32 v13, s22
	buffer_load_dword v14, v13, s[0:3], 0 offen
	buffer_load_dword v15, v13, s[0:3], 0 offen offset:4
	v_mov_b32_e32 v11, s23
	ds_read_b64 v[11:12], v11
	s_add_i32 s24, s24, -1
	s_addk_i32 s23, 0x100
	s_add_i32 s22, s22, 8
	s_cmp_eq_u32 s24, 0
	s_waitcnt vmcnt(2) lgkmcnt(0)
	v_mul_f32_e32 v16, v12, v5
	v_mul_f32_e32 v12, v12, v4
	v_fma_f32 v16, v11, v4, -v16
	v_fmac_f32_e32 v12, v11, v5
	s_waitcnt vmcnt(1)
	v_sub_f32_e32 v11, v14, v16
	s_waitcnt vmcnt(0)
	v_sub_f32_e32 v12, v15, v12
	buffer_store_dword v11, v13, s[0:3], 0 offen
	buffer_store_dword v12, v13, s[0:3], 0 offen offset:4
	s_cbranch_scc0 .LBB169_27
; %bb.28:                               ;   in Loop: Header=BB169_26 Depth=3
	s_add_i32 s8, s8, 1
	s_add_i32 s21, s21, 8
	s_cmp_eq_u32 s8, s14
	s_cbranch_scc0 .LBB169_26
.LBB169_29:                             ;   in Loop: Header=BB169_22 Depth=2
	s_mov_b32 s8, 0
	s_mov_b32 s21, s28
	s_branch .LBB169_31
.LBB169_30:                             ;   in Loop: Header=BB169_31 Depth=3
	s_mul_i32 s23, s22, 0x108
	v_mov_b32_e32 v11, s23
	ds_read_b64 v[11:12], v11
	s_lshl_b32 s23, s8, 3
	v_mov_b32_e32 v15, s23
	s_ashr_i32 s23, s22, 31
	s_lshl_b64 s[22:23], s[22:23], 3
	s_waitcnt vmcnt(0) lgkmcnt(0)
	v_mul_f32_e32 v13, v12, v5
	v_mul_f32_e32 v14, v11, v5
	v_fma_f32 v13, v11, v4, -v13
	v_fmac_f32_e32 v14, v12, v4
	v_mov_b32_e32 v5, s23
	v_add_co_u32_e32 v4, vcc, s22, v6
	s_add_i32 s8, s8, 1
	s_addk_i32 s21, 0x100
	v_addc_co_u32_e32 v5, vcc, v7, v5, vcc
	s_cmp_eq_u32 s8, s27
	buffer_store_dword v13, v15, s[0:3], 0 offen
	buffer_store_dword v14, v15, s[0:3], 0 offen offset:4
	global_store_dwordx2 v[4:5], v[13:14], off
	s_cbranch_scc1 .LBB169_21
.LBB169_31:                             ;   Parent Loop BB169_19 Depth=1
                                        ;     Parent Loop BB169_22 Depth=2
                                        ; =>    This Loop Header: Depth=3
                                        ;         Child Loop BB169_33 Depth 4
	s_cmp_lg_u32 s8, 0
	s_cbranch_scc0 .LBB169_35
; %bb.32:                               ;   in Loop: Header=BB169_31 Depth=3
	s_lshl_b32 s22, s8, 3
	v_mov_b32_e32 v11, s22
	buffer_load_dword v4, v11, s[0:3], 0 offen
	buffer_load_dword v5, v11, s[0:3], 0 offen offset:4
	s_add_i32 s22, s8, s14
	s_mov_b32 s23, 0
	s_mov_b32 s24, s21
	;; [unrolled: 1-line block ×3, first 2 shown]
.LBB169_33:                             ;   Parent Loop BB169_19 Depth=1
                                        ;     Parent Loop BB169_22 Depth=2
                                        ;       Parent Loop BB169_31 Depth=3
                                        ; =>      This Inner Loop Header: Depth=4
	v_mov_b32_e32 v12, s23
	buffer_load_dword v14, v12, s[0:3], 0 offen offset:4
	buffer_load_dword v15, v12, s[0:3], 0 offen
	v_mov_b32_e32 v12, s24
	ds_read_b64 v[12:13], v12
	s_add_i32 s25, s25, -1
	s_add_i32 s23, s23, 8
	s_add_i32 s24, s24, 8
	s_cmp_eq_u32 s25, 0
	s_waitcnt vmcnt(1) lgkmcnt(0)
	v_mul_f32_e32 v16, v13, v14
	v_mul_f32_e32 v14, v12, v14
	s_waitcnt vmcnt(0)
	v_fma_f32 v12, v12, v15, -v16
	v_fmac_f32_e32 v14, v13, v15
	v_sub_f32_e32 v4, v4, v12
	v_sub_f32_e32 v5, v5, v14
	buffer_store_dword v4, v11, s[0:3], 0 offen
	buffer_store_dword v5, v11, s[0:3], 0 offen offset:4
	s_cbranch_scc0 .LBB169_33
; %bb.34:                               ;   in Loop: Header=BB169_31 Depth=3
	s_branch .LBB169_30
.LBB169_35:                             ;   in Loop: Header=BB169_31 Depth=3
                                        ; implicit-def: $vgpr4
                                        ; implicit-def: $vgpr5
                                        ; implicit-def: $sgpr22
	s_cbranch_execz .LBB169_30
; %bb.36:                               ;   in Loop: Header=BB169_31 Depth=3
	buffer_load_dword v4, off, s[0:3], 0
	buffer_load_dword v5, off, s[0:3], 0 offset:4
	s_mov_b32 s22, s14
	s_branch .LBB169_30
.LBB169_37:
	s_mov_b64 s[8:9], 0
.LBB169_38:
	s_and_b64 vcc, exec, s[8:9]
	s_cbranch_vccz .LBB169_58
; %bb.39:
	s_add_i32 s14, s26, -1
	s_add_u32 s6, s10, s6
	s_addc_u32 s7, s11, s7
	s_add_u32 s4, s6, s4
	s_addc_u32 s5, s7, s5
	v_mov_b32_e32 v2, s5
	v_add_co_u32_e32 v0, vcc, s4, v0
	v_addc_co_u32_e32 v1, vcc, v2, v1, vcc
	v_add_co_u32_e32 v2, vcc, 4, v0
	s_lshl_b32 s15, s26, 8
	s_mov_b32 s5, 0
	v_addc_co_u32_e32 v3, vcc, 0, v1, vcc
	s_addk_i32 s15, 0xff00
	s_mov_b32 s6, s14
	s_mov_b32 s4, s5
	s_branch .LBB169_41
.LBB169_40:                             ;   in Loop: Header=BB169_41 Depth=1
	s_cmp_lt_i32 s6, 0
	s_cselect_b64 s[8:9], -1, 0
	s_add_i32 s4, s4, 1
	s_cmp_eq_u32 s4, 3
	s_cselect_b64 s[10:11], -1, 0
	s_or_b64 s[8:9], s[8:9], s[10:11]
	s_and_b64 vcc, exec, s[8:9]
	s_cbranch_vccnz .LBB169_58
.LBB169_41:                             ; =>This Loop Header: Depth=1
                                        ;     Child Loop BB169_44 Depth 2
                                        ;       Child Loop BB169_45 Depth 3
                                        ;       Child Loop BB169_47 Depth 3
                                        ;         Child Loop BB169_48 Depth 4
                                        ;       Child Loop BB169_52 Depth 3
                                        ;         Child Loop BB169_54 Depth 4
	s_lshl_b64 s[8:9], s[4:5], 2
	s_getpc_b64 s[10:11]
	s_add_u32 s10, s10, __const._ZL30rocblas_trsm_small_left_deviceILi32ELi32ELb0E19rocblas_complex_numIfES1_PKS1_PS1_Ev13rocblas_fill_18rocblas_operation_17rocblas_diagonal_iiT3_T4_lilT5_lili.step_sizes@rel32@lo+4
	s_addc_u32 s11, s11, __const._ZL30rocblas_trsm_small_left_deviceILi32ELi32ELb0E19rocblas_complex_numIfES1_PKS1_PS1_Ev13rocblas_fill_18rocblas_operation_17rocblas_diagonal_iiT3_T4_lilT5_lili.step_sizes@rel32@hi+12
	s_add_u32 s8, s10, s8
	s_addc_u32 s9, s11, s9
	s_load_dword s18, s[8:9], 0x0
	s_waitcnt lgkmcnt(0)
	s_add_i32 s19, s18, -1
	s_cmp_lt_i32 s6, s19
	s_cbranch_scc1 .LBB169_40
; %bb.42:                               ;   in Loop: Header=BB169_41 Depth=1
	s_lshl_b32 s7, s6, 3
	s_add_i32 s21, s15, s7
	s_lshl_b32 s7, s18, 3
	s_max_i32 s20, s18, 1
	s_sub_i32 s22, 0, s7
	s_mul_i32 s23, s6, 0x108
	s_mul_i32 s24, s18, 0xfffffef8
	s_branch .LBB169_44
.LBB169_43:                             ;   in Loop: Header=BB169_44 Depth=2
	s_sub_i32 s6, s6, s18
	s_add_i32 s21, s21, s22
	s_add_i32 s23, s23, s24
	s_cmp_lt_i32 s6, s19
	s_cbranch_scc1 .LBB169_40
.LBB169_44:                             ;   Parent Loop BB169_41 Depth=1
                                        ; =>  This Loop Header: Depth=2
                                        ;       Child Loop BB169_45 Depth 3
                                        ;       Child Loop BB169_47 Depth 3
                                        ;         Child Loop BB169_48 Depth 4
                                        ;       Child Loop BB169_52 Depth 3
                                        ;         Child Loop BB169_54 Depth 4
	s_ashr_i32 s7, s6, 31
	s_lshl_b64 s[8:9], s[6:7], 3
	v_mov_b32_e32 v1, s9
	v_add_co_u32_e32 v0, vcc, s8, v2
	v_addc_co_u32_e32 v1, vcc, v3, v1, vcc
	s_mov_b32 s8, 0
	s_mov_b32 s9, s20
.LBB169_45:                             ;   Parent Loop BB169_41 Depth=1
                                        ;     Parent Loop BB169_44 Depth=2
                                        ; =>    This Inner Loop Header: Depth=3
	global_load_dwordx2 v[4:5], v[0:1], off offset:-4
	v_mov_b32_e32 v8, s8
	s_add_i32 s9, s9, -1
	v_add_co_u32_e32 v0, vcc, -8, v0
	s_add_i32 s8, s8, 8
	v_addc_co_u32_e32 v1, vcc, -1, v1, vcc
	s_cmp_eq_u32 s9, 0
	s_waitcnt vmcnt(0)
	v_mul_f32_e32 v9, s17, v5
	v_mul_f32_e32 v5, s16, v5
	v_fma_f32 v9, v4, s16, -v9
	v_fmac_f32_e32 v5, s17, v4
	buffer_store_dword v9, v8, s[0:3], 0 offen
	buffer_store_dword v5, v8, s[0:3], 0 offen offset:4
	s_cbranch_scc0 .LBB169_45
; %bb.46:                               ;   in Loop: Header=BB169_44 Depth=2
	s_cmp_le_i32 s14, s6
	s_mov_b32 s10, s21
	s_mov_b32 s8, s14
	s_cbranch_scc1 .LBB169_50
.LBB169_47:                             ;   Parent Loop BB169_41 Depth=1
                                        ;     Parent Loop BB169_44 Depth=2
                                        ; =>    This Loop Header: Depth=3
                                        ;         Child Loop BB169_48 Depth 4
	s_ashr_i32 s9, s8, 31
	s_lshl_b64 s[12:13], s[8:9], 3
	v_mov_b32_e32 v1, s13
	v_add_co_u32_e32 v0, vcc, s12, v6
	v_addc_co_u32_e32 v1, vcc, v7, v1, vcc
	global_load_dwordx2 v[0:1], v[0:1], off
	s_mov_b32 s9, 0
	s_mov_b32 s11, s10
	;; [unrolled: 1-line block ×3, first 2 shown]
.LBB169_48:                             ;   Parent Loop BB169_41 Depth=1
                                        ;     Parent Loop BB169_44 Depth=2
                                        ;       Parent Loop BB169_47 Depth=3
                                        ; =>      This Inner Loop Header: Depth=4
	v_mov_b32_e32 v8, s9
	buffer_load_dword v9, v8, s[0:3], 0 offen
	buffer_load_dword v10, v8, s[0:3], 0 offen offset:4
	v_mov_b32_e32 v4, s11
	ds_read_b64 v[4:5], v4
	s_add_i32 s12, s12, -1
	s_add_i32 s11, s11, -8
	s_add_i32 s9, s9, 8
	s_cmp_eq_u32 s12, 0
	s_waitcnt vmcnt(2) lgkmcnt(0)
	v_mul_f32_e32 v11, v5, v1
	v_mul_f32_e32 v5, v5, v0
	v_fma_f32 v11, v4, v0, -v11
	v_fmac_f32_e32 v5, v4, v1
	s_waitcnt vmcnt(1)
	v_sub_f32_e32 v4, v9, v11
	s_waitcnt vmcnt(0)
	v_sub_f32_e32 v5, v10, v5
	buffer_store_dword v4, v8, s[0:3], 0 offen
	buffer_store_dword v5, v8, s[0:3], 0 offen offset:4
	s_cbranch_scc0 .LBB169_48
; %bb.49:                               ;   in Loop: Header=BB169_47 Depth=3
	s_add_i32 s8, s8, -1
	s_addk_i32 s10, 0xff00
	s_cmp_le_i32 s8, s6
	s_cbranch_scc0 .LBB169_47
.LBB169_50:                             ;   in Loop: Header=BB169_44 Depth=2
	s_mov_b32 s25, 0
	s_mov_b32 s26, s23
	s_branch .LBB169_52
.LBB169_51:                             ;   in Loop: Header=BB169_52 Depth=3
	s_mulk_i32 s10, 0x108
	v_mov_b32_e32 v4, s10
	ds_read_b64 v[4:5], v4
	s_lshl_b64 s[8:9], s[8:9], 3
	s_lshl_b32 s10, s25, 3
	s_add_i32 s25, s25, 1
	s_add_i32 s26, s26, -8
	s_waitcnt vmcnt(0) lgkmcnt(0)
	v_mul_f32_e32 v8, v5, v1
	v_mul_f32_e32 v9, v4, v1
	v_fma_f32 v8, v4, v0, -v8
	v_fmac_f32_e32 v9, v5, v0
	v_mov_b32_e32 v1, s9
	v_add_co_u32_e32 v0, vcc, s8, v6
	v_mov_b32_e32 v10, s10
	v_addc_co_u32_e32 v1, vcc, v7, v1, vcc
	s_cmp_eq_u32 s25, s20
	buffer_store_dword v8, v10, s[0:3], 0 offen
	buffer_store_dword v9, v10, s[0:3], 0 offen offset:4
	global_store_dwordx2 v[0:1], v[8:9], off
	s_cbranch_scc1 .LBB169_43
.LBB169_52:                             ;   Parent Loop BB169_41 Depth=1
                                        ;     Parent Loop BB169_44 Depth=2
                                        ; =>    This Loop Header: Depth=3
                                        ;         Child Loop BB169_54 Depth 4
	s_cmp_lg_u32 s25, 0
	s_cbranch_scc0 .LBB169_56
; %bb.53:                               ;   in Loop: Header=BB169_52 Depth=3
	s_lshl_b32 s8, s25, 3
	v_mov_b32_e32 v4, s8
	buffer_load_dword v0, v4, s[0:3], 0 offen
	buffer_load_dword v1, v4, s[0:3], 0 offen offset:4
	s_mov_b32 s8, 0
	s_mov_b32 s9, s26
	;; [unrolled: 1-line block ×3, first 2 shown]
.LBB169_54:                             ;   Parent Loop BB169_41 Depth=1
                                        ;     Parent Loop BB169_44 Depth=2
                                        ;       Parent Loop BB169_52 Depth=3
                                        ; =>      This Inner Loop Header: Depth=4
	v_mov_b32_e32 v5, s8
	buffer_load_dword v10, v5, s[0:3], 0 offen offset:4
	buffer_load_dword v11, v5, s[0:3], 0 offen
	v_mov_b32_e32 v5, s9
	ds_read_b64 v[8:9], v5
	s_add_i32 s10, s10, -1
	s_addk_i32 s9, 0xff00
	s_add_i32 s8, s8, 8
	s_cmp_eq_u32 s10, 0
	s_waitcnt vmcnt(1) lgkmcnt(0)
	v_mul_f32_e32 v5, v9, v10
	v_mul_f32_e32 v10, v8, v10
	s_waitcnt vmcnt(0)
	v_fma_f32 v5, v8, v11, -v5
	v_fmac_f32_e32 v10, v9, v11
	v_sub_f32_e32 v0, v0, v5
	v_sub_f32_e32 v1, v1, v10
	buffer_store_dword v0, v4, s[0:3], 0 offen
	buffer_store_dword v1, v4, s[0:3], 0 offen offset:4
	s_cbranch_scc0 .LBB169_54
; %bb.55:                               ;   in Loop: Header=BB169_52 Depth=3
	s_sub_i32 s10, s6, s25
	s_ashr_i32 s11, s10, 31
	s_mov_b64 s[8:9], s[10:11]
	s_branch .LBB169_51
.LBB169_56:                             ;   in Loop: Header=BB169_52 Depth=3
                                        ; implicit-def: $vgpr0
                                        ; implicit-def: $vgpr1
                                        ; implicit-def: $sgpr10
                                        ; implicit-def: $sgpr8_sgpr9
	s_cbranch_execz .LBB169_51
; %bb.57:                               ;   in Loop: Header=BB169_52 Depth=3
	buffer_load_dword v0, off, s[0:3], 0
	buffer_load_dword v1, off, s[0:3], 0 offset:4
	s_mov_b64 s[8:9], s[6:7]
	s_mov_b32 s10, s6
	s_branch .LBB169_51
.LBB169_58:
	s_endpgm
	.section	.rodata,"a",@progbits
	.p2align	6, 0x0
	.amdhsa_kernel _ZL30rocblas_trsm_small_left_deviceILi32ELi32ELb0E19rocblas_complex_numIfES1_PKS1_PS1_Ev13rocblas_fill_18rocblas_operation_17rocblas_diagonal_iiT3_T4_lilT5_lili
		.amdhsa_group_segment_fixed_size 8192
		.amdhsa_private_segment_fixed_size 272
		.amdhsa_kernarg_size 360
		.amdhsa_user_sgpr_count 6
		.amdhsa_user_sgpr_private_segment_buffer 1
		.amdhsa_user_sgpr_dispatch_ptr 0
		.amdhsa_user_sgpr_queue_ptr 0
		.amdhsa_user_sgpr_kernarg_segment_ptr 1
		.amdhsa_user_sgpr_dispatch_id 0
		.amdhsa_user_sgpr_flat_scratch_init 0
		.amdhsa_user_sgpr_private_segment_size 0
		.amdhsa_uses_dynamic_stack 0
		.amdhsa_system_sgpr_private_segment_wavefront_offset 1
		.amdhsa_system_sgpr_workgroup_id_x 1
		.amdhsa_system_sgpr_workgroup_id_y 0
		.amdhsa_system_sgpr_workgroup_id_z 1
		.amdhsa_system_sgpr_workgroup_info 0
		.amdhsa_system_vgpr_workitem_id 0
		.amdhsa_next_free_vgpr 85
		.amdhsa_next_free_sgpr 98
		.amdhsa_reserve_vcc 1
		.amdhsa_reserve_flat_scratch 0
		.amdhsa_float_round_mode_32 0
		.amdhsa_float_round_mode_16_64 0
		.amdhsa_float_denorm_mode_32 3
		.amdhsa_float_denorm_mode_16_64 3
		.amdhsa_dx10_clamp 1
		.amdhsa_ieee_mode 1
		.amdhsa_fp16_overflow 0
		.amdhsa_exception_fp_ieee_invalid_op 0
		.amdhsa_exception_fp_denorm_src 0
		.amdhsa_exception_fp_ieee_div_zero 0
		.amdhsa_exception_fp_ieee_overflow 0
		.amdhsa_exception_fp_ieee_underflow 0
		.amdhsa_exception_fp_ieee_inexact 0
		.amdhsa_exception_int_div_zero 0
	.end_amdhsa_kernel
	.section	.text._ZL30rocblas_trsm_small_left_deviceILi32ELi32ELb0E19rocblas_complex_numIfES1_PKS1_PS1_Ev13rocblas_fill_18rocblas_operation_17rocblas_diagonal_iiT3_T4_lilT5_lili,"axG",@progbits,_ZL30rocblas_trsm_small_left_deviceILi32ELi32ELb0E19rocblas_complex_numIfES1_PKS1_PS1_Ev13rocblas_fill_18rocblas_operation_17rocblas_diagonal_iiT3_T4_lilT5_lili,comdat
.Lfunc_end169:
	.size	_ZL30rocblas_trsm_small_left_deviceILi32ELi32ELb0E19rocblas_complex_numIfES1_PKS1_PS1_Ev13rocblas_fill_18rocblas_operation_17rocblas_diagonal_iiT3_T4_lilT5_lili, .Lfunc_end169-_ZL30rocblas_trsm_small_left_deviceILi32ELi32ELb0E19rocblas_complex_numIfES1_PKS1_PS1_Ev13rocblas_fill_18rocblas_operation_17rocblas_diagonal_iiT3_T4_lilT5_lili
                                        ; -- End function
	.set _ZL30rocblas_trsm_small_left_deviceILi32ELi32ELb0E19rocblas_complex_numIfES1_PKS1_PS1_Ev13rocblas_fill_18rocblas_operation_17rocblas_diagonal_iiT3_T4_lilT5_lili.num_vgpr, 17
	.set _ZL30rocblas_trsm_small_left_deviceILi32ELi32ELb0E19rocblas_complex_numIfES1_PKS1_PS1_Ev13rocblas_fill_18rocblas_operation_17rocblas_diagonal_iiT3_T4_lilT5_lili.num_agpr, 0
	.set _ZL30rocblas_trsm_small_left_deviceILi32ELi32ELb0E19rocblas_complex_numIfES1_PKS1_PS1_Ev13rocblas_fill_18rocblas_operation_17rocblas_diagonal_iiT3_T4_lilT5_lili.numbered_sgpr, 32
	.set _ZL30rocblas_trsm_small_left_deviceILi32ELi32ELb0E19rocblas_complex_numIfES1_PKS1_PS1_Ev13rocblas_fill_18rocblas_operation_17rocblas_diagonal_iiT3_T4_lilT5_lili.num_named_barrier, 0
	.set _ZL30rocblas_trsm_small_left_deviceILi32ELi32ELb0E19rocblas_complex_numIfES1_PKS1_PS1_Ev13rocblas_fill_18rocblas_operation_17rocblas_diagonal_iiT3_T4_lilT5_lili.private_seg_size, 272
	.set _ZL30rocblas_trsm_small_left_deviceILi32ELi32ELb0E19rocblas_complex_numIfES1_PKS1_PS1_Ev13rocblas_fill_18rocblas_operation_17rocblas_diagonal_iiT3_T4_lilT5_lili.uses_vcc, 1
	.set _ZL30rocblas_trsm_small_left_deviceILi32ELi32ELb0E19rocblas_complex_numIfES1_PKS1_PS1_Ev13rocblas_fill_18rocblas_operation_17rocblas_diagonal_iiT3_T4_lilT5_lili.uses_flat_scratch, 0
	.set _ZL30rocblas_trsm_small_left_deviceILi32ELi32ELb0E19rocblas_complex_numIfES1_PKS1_PS1_Ev13rocblas_fill_18rocblas_operation_17rocblas_diagonal_iiT3_T4_lilT5_lili.has_dyn_sized_stack, 0
	.set _ZL30rocblas_trsm_small_left_deviceILi32ELi32ELb0E19rocblas_complex_numIfES1_PKS1_PS1_Ev13rocblas_fill_18rocblas_operation_17rocblas_diagonal_iiT3_T4_lilT5_lili.has_recursion, 0
	.set _ZL30rocblas_trsm_small_left_deviceILi32ELi32ELb0E19rocblas_complex_numIfES1_PKS1_PS1_Ev13rocblas_fill_18rocblas_operation_17rocblas_diagonal_iiT3_T4_lilT5_lili.has_indirect_call, 0
	.section	.AMDGPU.csdata,"",@progbits
; Kernel info:
; codeLenInByte = 2516
; TotalNumSgprs: 36
; NumVgprs: 17
; ScratchSize: 272
; MemoryBound: 0
; FloatMode: 240
; IeeeMode: 1
; LDSByteSize: 8192 bytes/workgroup (compile time only)
; SGPRBlocks: 12
; VGPRBlocks: 21
; NumSGPRsForWavesPerEU: 102
; NumVGPRsForWavesPerEU: 85
; Occupancy: 2
; WaveLimiterHint : 0
; COMPUTE_PGM_RSRC2:SCRATCH_EN: 1
; COMPUTE_PGM_RSRC2:USER_SGPR: 6
; COMPUTE_PGM_RSRC2:TRAP_HANDLER: 0
; COMPUTE_PGM_RSRC2:TGID_X_EN: 1
; COMPUTE_PGM_RSRC2:TGID_Y_EN: 0
; COMPUTE_PGM_RSRC2:TGID_Z_EN: 1
; COMPUTE_PGM_RSRC2:TIDIG_COMP_CNT: 0
	.section	.text._ZL38rocblas_trsm_small_left_device_sharedBILi32ELi32ELb1E19rocblas_complex_numIfES1_PKS1_PS1_Ev13rocblas_fill_18rocblas_operation_17rocblas_diagonal_iiT3_T4_lilT5_lili,"axG",@progbits,_ZL38rocblas_trsm_small_left_device_sharedBILi32ELi32ELb1E19rocblas_complex_numIfES1_PKS1_PS1_Ev13rocblas_fill_18rocblas_operation_17rocblas_diagonal_iiT3_T4_lilT5_lili,comdat
	.globl	_ZL38rocblas_trsm_small_left_device_sharedBILi32ELi32ELb1E19rocblas_complex_numIfES1_PKS1_PS1_Ev13rocblas_fill_18rocblas_operation_17rocblas_diagonal_iiT3_T4_lilT5_lili ; -- Begin function _ZL38rocblas_trsm_small_left_device_sharedBILi32ELi32ELb1E19rocblas_complex_numIfES1_PKS1_PS1_Ev13rocblas_fill_18rocblas_operation_17rocblas_diagonal_iiT3_T4_lilT5_lili
	.p2align	8
	.type	_ZL38rocblas_trsm_small_left_device_sharedBILi32ELi32ELb1E19rocblas_complex_numIfES1_PKS1_PS1_Ev13rocblas_fill_18rocblas_operation_17rocblas_diagonal_iiT3_T4_lilT5_lili,@function
_ZL38rocblas_trsm_small_left_device_sharedBILi32ELi32ELb1E19rocblas_complex_numIfES1_PKS1_PS1_Ev13rocblas_fill_18rocblas_operation_17rocblas_diagonal_iiT3_T4_lilT5_lili: ; @_ZL38rocblas_trsm_small_left_device_sharedBILi32ELi32ELb1E19rocblas_complex_numIfES1_PKS1_PS1_Ev13rocblas_fill_18rocblas_operation_17rocblas_diagonal_iiT3_T4_lilT5_lili
; %bb.0:
	s_add_u32 s0, s0, s8
	s_load_dwordx4 s[12:15], s[4:5], 0x4
	s_load_dwordx2 s[20:21], s[4:5], 0x14
	s_load_dwordx4 s[8:11], s[4:5], 0x38
	s_load_dwordx2 s[16:17], s[4:5], 0x48
	s_load_dword s27, s[4:5], 0x68
	s_addc_u32 s1, s1, 0
	v_mov_b32_e32 v215, v0
	s_waitcnt lgkmcnt(0)
	s_min_i32 s26, s14, 32
	v_cmp_gt_i32_e32 vcc, s26, v215
	s_and_saveexec_b64 s[18:19], vcc
	s_cbranch_execz .LBB170_15
; %bb.1:
	s_load_dword s24, s[4:5], 0x30
	s_load_dwordx4 s[28:31], s[4:5], 0x20
	s_mul_i32 s9, s9, s7
	s_mul_hi_u32 s33, s8, s7
	s_mul_i32 s8, s8, s7
	s_waitcnt lgkmcnt(0)
	s_ashr_i32 s25, s24, 31
	s_cmpk_lg_i32 s12, 0x71
	s_cselect_b64 s[22:23], -1, 0
	s_add_i32 s9, s33, s9
	s_lshl_b64 s[8:9], s[8:9], 3
	s_lshl_b64 s[30:31], s[30:31], 3
	s_add_u32 s8, s8, s30
	s_addc_u32 s9, s9, s31
	s_add_u32 s8, s28, s8
	v_lshlrev_b32_e32 v5, 3, v215
	s_addc_u32 s9, s29, s9
	v_mov_b32_e32 v1, s9
	v_add_co_u32_e32 v2, vcc, s8, v5
	v_addc_co_u32_e32 v3, vcc, 0, v1, vcc
	v_add_co_u32_e32 v1, vcc, 4, v2
	s_lshl_b64 s[8:9], s[24:25], 3
	v_addc_co_u32_e32 v2, vcc, 0, v3, vcc
	v_mov_b32_e32 v6, s9
	v_mov_b32_e32 v7, v5
	s_mov_b32 s9, s26
	s_branch .LBB170_3
.LBB170_2:                              ;   in Loop: Header=BB170_3 Depth=1
	global_load_dword v3, v[1:2], off offset:-4
	s_add_i32 s9, s9, -1
	v_add_co_u32_e32 v1, vcc, s8, v1
	v_addc_co_u32_e32 v2, vcc, v2, v6, vcc
	s_cmp_eq_u32 s9, 0
	s_waitcnt vmcnt(0)
	ds_write_b64 v7, v[3:4]
	v_add_u32_e32 v7, 0x100, v7
	s_cbranch_scc1 .LBB170_7
.LBB170_3:                              ; =>This Inner Loop Header: Depth=1
	s_mov_b64 s[24:25], -1
	s_and_b64 vcc, exec, s[22:23]
                                        ; implicit-def: $vgpr4
	s_cbranch_vccz .LBB170_5
; %bb.4:                                ;   in Loop: Header=BB170_3 Depth=1
	global_load_dword v4, v[1:2], off
	s_mov_b64 s[24:25], 0
.LBB170_5:                              ;   in Loop: Header=BB170_3 Depth=1
	s_andn2_b64 vcc, exec, s[24:25]
	s_cbranch_vccnz .LBB170_2
; %bb.6:                                ;   in Loop: Header=BB170_3 Depth=1
	global_load_dword v3, v[1:2], off
	s_waitcnt vmcnt(0)
	v_xor_b32_e32 v4, 0x80000000, v3
	s_branch .LBB170_2
.LBB170_7:
	v_lshlrev_b32_e32 v1, 8, v215
	s_cmpk_lg_i32 s13, 0x84
	s_mov_b64 s[8:9], -1
	v_add_u32_e32 v5, v5, v1
	s_cbranch_scc0 .LBB170_13
; %bb.8:
	ds_read_b64 v[1:2], v5
                                        ; implicit-def: $vgpr3
	s_waitcnt lgkmcnt(0)
	v_cmp_ngt_f32_e64 s[8:9], |v1|, |v2|
	s_and_saveexec_b64 s[22:23], s[8:9]
	s_xor_b64 s[8:9], exec, s[22:23]
	s_cbranch_execz .LBB170_10
; %bb.9:
	v_div_scale_f32 v3, s[22:23], v2, v2, v1
	v_div_scale_f32 v4, vcc, v1, v2, v1
	v_rcp_f32_e32 v6, v3
	v_fma_f32 v7, -v3, v6, 1.0
	v_fmac_f32_e32 v6, v7, v6
	v_mul_f32_e32 v7, v4, v6
	v_fma_f32 v8, -v3, v7, v4
	v_fmac_f32_e32 v7, v8, v6
	v_fma_f32 v3, -v3, v7, v4
	v_div_fmas_f32 v3, v3, v6, v7
	v_div_fixup_f32 v3, v3, v2, v1
	v_fmac_f32_e32 v2, v1, v3
	v_div_scale_f32 v1, s[22:23], v2, v2, 1.0
	v_div_scale_f32 v4, vcc, 1.0, v2, 1.0
	v_rcp_f32_e32 v6, v1
	v_fma_f32 v7, -v1, v6, 1.0
	v_fmac_f32_e32 v6, v7, v6
	v_mul_f32_e32 v7, v4, v6
	v_fma_f32 v8, -v1, v7, v4
	v_fmac_f32_e32 v7, v8, v6
	v_fma_f32 v1, -v1, v7, v4
	v_div_fmas_f32 v1, v1, v6, v7
	v_add_f32_e32 v4, 0, v3
	v_fma_f32 v6, v3, 0, -1.0
	v_div_fixup_f32 v1, v1, v2, 1.0
	v_mul_f32_e32 v3, v4, v1
	v_mul_f32_e32 v4, v6, v1
                                        ; implicit-def: $vgpr1_vgpr2
.LBB170_10:
	s_andn2_saveexec_b64 s[8:9], s[8:9]
	s_cbranch_execz .LBB170_12
; %bb.11:
	v_div_scale_f32 v3, s[22:23], v1, v1, v2
	v_div_scale_f32 v4, vcc, v2, v1, v2
	v_rcp_f32_e32 v6, v3
	v_fma_f32 v7, -v3, v6, 1.0
	v_fmac_f32_e32 v6, v7, v6
	v_mul_f32_e32 v7, v4, v6
	v_fma_f32 v8, -v3, v7, v4
	v_fmac_f32_e32 v7, v8, v6
	v_fma_f32 v3, -v3, v7, v4
	v_div_fmas_f32 v3, v3, v6, v7
	v_div_fixup_f32 v4, v3, v1, v2
	v_fmac_f32_e32 v1, v2, v4
	v_div_scale_f32 v2, s[22:23], v1, v1, 1.0
	v_div_scale_f32 v3, vcc, 1.0, v1, 1.0
	v_rcp_f32_e32 v6, v2
	v_fma_f32 v7, -v2, v6, 1.0
	v_fmac_f32_e32 v6, v7, v6
	v_mul_f32_e32 v7, v3, v6
	v_fma_f32 v8, -v2, v7, v3
	v_fmac_f32_e32 v7, v8, v6
	v_fma_f32 v2, -v2, v7, v3
	v_div_fmas_f32 v2, v2, v6, v7
	v_fma_f32 v3, v4, 0, 1.0
	v_div_fixup_f32 v1, v2, v1, 1.0
	v_mul_f32_e32 v3, v3, v1
	v_mul_f32_e64 v4, -v4, v1
.LBB170_12:
	s_or_b64 exec, exec, s[8:9]
	s_mov_b64 s[8:9], 0
	ds_write_b64 v5, v[3:4]
.LBB170_13:
	s_and_b64 vcc, exec, s[8:9]
	s_cbranch_vccz .LBB170_15
; %bb.14:
	v_mov_b32_e32 v1, 1.0
	v_mov_b32_e32 v2, 0
	ds_write_b64 v5, v[1:2]
.LBB170_15:
	s_or_b64 exec, exec, s[18:19]
	s_load_dword s24, s[4:5], 0x50
	s_load_dwordx2 s[8:9], s[4:5], 0x58
	s_add_i32 s27, s27, -1
	s_waitcnt lgkmcnt(0)
	s_ashr_i32 s13, s24, 31
	s_mul_i32 s4, s9, s7
	s_mul_hi_u32 s5, s8, s7
	s_mul_i32 s18, s8, s7
	s_lshl_b32 s8, s6, 5
	s_add_i32 s19, s5, s4
	s_sub_i32 s4, s15, s8
	s_cmp_ge_u32 s6, s27
	s_cselect_b32 s4, s4, 32
	s_ashr_i32 s9, s8, 31
	s_cmp_gt_i32 s14, 0
	v_cmp_gt_i32_e64 s[4:5], s4, v215
	s_cselect_b64 s[6:7], -1, 0
	s_and_b64 s[28:29], s[4:5], s[6:7]
	s_and_saveexec_b64 s[22:23], s[28:29]
	s_cbranch_execz .LBB170_18
; %bb.16:
	v_lshlrev_b32_e32 v3, 3, v215
	s_lshl_b64 s[30:31], s[8:9], 3
	s_lshl_b64 s[28:29], s[18:19], 3
	v_mov_b32_e32 v1, s31
	v_add_co_u32_e32 v4, vcc, s30, v3
	s_lshl_b64 s[30:31], s[16:17], 3
	s_add_u32 s9, s10, s30
	s_addc_u32 s15, s11, s31
	s_add_u32 s28, s9, s28
	v_addc_co_u32_e32 v5, vcc, 0, v1, vcc
	s_addc_u32 s29, s15, s29
	v_mov_b32_e32 v1, s28
	v_mov_b32_e32 v2, s29
	v_mad_u64_u32 v[1:2], s[28:29], v4, s24, v[1:2]
	v_mul_lo_u32 v4, v4, s13
	v_mul_lo_u32 v5, v5, s24
	v_add_co_u32_e32 v1, vcc, 4, v1
	v_or_b32_e32 v3, 0x2000, v3
	v_add3_u32 v2, v5, v2, v4
	v_addc_co_u32_e32 v2, vcc, 0, v2, vcc
	s_mov_b32 s9, s26
.LBB170_17:                             ; =>This Inner Loop Header: Depth=1
	global_load_dwordx2 v[4:5], v[1:2], off offset:-4
	s_add_i32 s9, s9, -1
	v_add_co_u32_e32 v1, vcc, 8, v1
	v_addc_co_u32_e32 v2, vcc, 0, v2, vcc
	s_cmp_lg_u32 s9, 0
	s_waitcnt vmcnt(0)
	v_mul_f32_e32 v7, s21, v5
	v_mul_f32_e32 v6, s20, v5
	v_fma_f32 v5, s20, v4, -v7
	v_fmac_f32_e32 v6, s21, v4
	ds_write_b64 v3, v[5:6]
	v_add_u32_e32 v3, 0x100, v3
	s_cbranch_scc1 .LBB170_17
.LBB170_18:
	s_or_b64 exec, exec, s[22:23]
	v_mov_b32_e32 v1, 0x2000
	s_cmpk_eq_i32 s12, 0x6f
	v_lshl_or_b32 v169, v215, 3, v1
	s_mov_b64 s[12:13], -1
	s_waitcnt lgkmcnt(0)
	; wave barrier
	s_cbranch_scc1 .LBB170_47
; %bb.19:
	s_add_i32 s9, s26, -1
	s_cmp_gt_i32 s14, 31
	s_mov_b32 s14, s9
	s_cbranch_scc0 .LBB170_21
; %bb.20:
	v_add_u32_e32 v175, 0x1800, v169
	ds_read2_b64 v[1:4], v175 offset0:192 offset1:224
	ds_read2_b64 v[13:16], v175 offset0:128 offset1:160
	v_mov_b32_e32 v170, 0
	s_movk_i32 s12, 0x1f8
	v_mov_b32_e32 v5, 0x1be8
	s_waitcnt lgkmcnt(1)
	buffer_store_dword v4, off, s[0:3], 0 offset:4
	buffer_load_dword v19, off, s[0:3], 0 offset:4
	v_add_u32_e64 v172, s12, 0
	buffer_store_dword v3, off, s[0:3], 0
	buffer_load_dword v20, off, s[0:3], 0
	s_nop 0
	buffer_store_dword v2, off, s[0:3], 0 offset:12
	buffer_store_dword v1, off, s[0:3], 0 offset:8
	s_waitcnt lgkmcnt(0)
	buffer_store_dword v16, off, s[0:3], 0 offset:20
	buffer_store_dword v15, off, s[0:3], 0 offset:16
	buffer_load_dword v27, off, s[0:3], 0 offset:8
	buffer_load_dword v28, off, s[0:3], 0 offset:12
	;; [unrolled: 1-line block ×4, first 2 shown]
	v_mov_b32_e32 v1, 0x1de8
	ds_read_b128 v[15:18], v170 offset:7920
	ds_read_b128 v[9:12], v170 offset:7408
	ds_read2_b64 v[1:4], v1 offset1:1
	ds_read2_b64 v[29:32], v5 offset1:1
	ds_read2st64_b64 v[23:26], v172 offset0:14 offset1:15
	ds_read2st64_b64 v[5:8], v172 offset0:12 offset1:13
	buffer_store_dword v14, off, s[0:3], 0 offset:28
	buffer_store_dword v13, off, s[0:3], 0 offset:24
	buffer_load_dword v21, off, s[0:3], 0 offset:24
	buffer_load_dword v22, off, s[0:3], 0 offset:28
	v_add_u32_e32 v173, 0x1000, v169
	v_add_u32_e32 v171, 0x800, v169
	v_mov_b32_e32 v101, 0x15c8
	v_mov_b32_e32 v113, 0x15b8
	v_mov_b32_e32 v178, 0x15a8
	s_mov_b32 s14, -1
	s_waitcnt vmcnt(14) lgkmcnt(1)
	v_mul_f32_e32 v164, v25, v19
	v_mul_f32_e32 v13, v26, v19
	s_waitcnt vmcnt(12)
	v_fmac_f32_e32 v164, v26, v20
	v_fma_f32 v163, v25, v20, -v13
	v_mul_f32_e32 v14, v17, v164
	v_mul_f32_e32 v13, v18, v164
	v_fmac_f32_e32 v14, v18, v163
	v_fma_f32 v13, v17, v163, -v13
	s_waitcnt vmcnt(6)
	v_sub_f32_e32 v14, v28, v14
	v_mul_f32_e32 v19, v24, v164
	v_sub_f32_e32 v13, v27, v13
	v_mul_f32_e32 v166, v15, v14
	v_mul_f32_e32 v20, v23, v164
	v_fma_f32 v17, v23, v163, -v19
	v_mul_f32_e32 v19, v16, v14
	v_fmac_f32_e32 v166, v16, v13
	v_fmac_f32_e32 v20, v24, v163
	v_fma_f32 v165, v15, v13, -v19
	v_mul_f32_e32 v14, v3, v166
	s_waitcnt vmcnt(4)
	v_sub_f32_e32 v18, v34, v20
	v_mul_f32_e32 v13, v4, v166
	v_fmac_f32_e32 v14, v4, v165
	v_sub_f32_e32 v17, v33, v17
	v_fma_f32 v3, v3, v165, -v13
	v_sub_f32_e32 v23, v18, v14
	v_sub_f32_e32 v3, v17, v3
	v_mul_f32_e32 v4, v2, v23
	v_fma_f32 v4, v1, v3, -v4
	buffer_store_dword v4, off, s[0:3], 0 offset:16
	buffer_load_dword v161, off, s[0:3], 0 offset:16
	v_mul_f32_e32 v103, v11, v164
	v_mul_f32_e32 v102, v12, v164
	v_fmac_f32_e32 v103, v12, v163
	v_mul_f32_e32 v162, v1, v23
	v_mov_b32_e32 v13, 0x1bd8
	v_mov_b32_e32 v14, 0x19e8
	;; [unrolled: 1-line block ×8, first 2 shown]
	v_fma_f32 v11, v11, v163, -v102
	s_waitcnt vmcnt(2)
	v_sub_f32_e32 v12, v22, v103
	v_mul_f32_e32 v22, v9, v166
	v_fmac_f32_e32 v162, v2, v3
	ds_read2_b64 v[69:72], v169 offset0:192 offset1:224
	ds_read2_b64 v[65:68], v169 offset0:128 offset1:160
	;; [unrolled: 1-line block ×3, first 2 shown]
	ds_read2_b64 v[57:60], v169 offset1:32
	ds_read2_b64 v[183:186], v175 offset0:64 offset1:96
	ds_read2_b64 v[187:190], v175 offset1:32
	ds_read2_b64 v[191:194], v173 offset0:192 offset1:224
	ds_read2_b64 v[157:160], v173 offset0:128 offset1:160
	;; [unrolled: 1-line block ×3, first 2 shown]
	ds_read2_b64 v[145:148], v173 offset1:32
	ds_read2_b64 v[141:144], v171 offset0:192 offset1:224
	ds_read2_b64 v[137:140], v171 offset0:128 offset1:160
	;; [unrolled: 1-line block ×3, first 2 shown]
	ds_read2_b64 v[129:132], v171 offset1:32
	ds_read_b128 v[117:120], v170 offset:6864
	ds_read_b128 v[121:124], v170 offset:6880
	ds_read_b128 v[25:28], v170 offset:7392
	ds_read_b128 v[125:128], v170 offset:6896
	ds_read2_b64 v[149:152], v13 offset1:1
	ds_read2_b64 v[93:96], v14 offset1:1
	;; [unrolled: 1-line block ×4, first 2 shown]
	ds_read_b128 v[53:56], v170 offset:6336
	ds_read_b128 v[73:76], v170 offset:6352
	;; [unrolled: 1-line block ×4, first 2 shown]
	ds_read2_b64 v[49:52], v17 offset1:1
	ds_read2_b64 v[41:44], v18 offset1:1
	;; [unrolled: 1-line block ×4, first 2 shown]
	ds_read_b128 v[17:20], v170 offset:5824
	ds_read_b128 v[37:40], v170 offset:5840
	;; [unrolled: 1-line block ×4, first 2 shown]
	v_sub_f32_e32 v11, v21, v11
	v_mul_f32_e32 v21, v10, v166
	v_fmac_f32_e32 v22, v10, v165
	s_waitcnt lgkmcnt(14)
	v_mul_f32_e32 v2, v27, v162
	v_fma_f32 v9, v9, v165, -v21
	v_sub_f32_e32 v10, v12, v22
	v_mul_f32_e32 v1, v28, v162
	v_sub_f32_e32 v9, v11, v9
	buffer_store_dword v186, off, s[0:3], 0 offset:36
	buffer_store_dword v185, off, s[0:3], 0 offset:32
	buffer_load_dword v185, off, s[0:3], 0 offset:32
	s_nop 0
	buffer_load_dword v186, off, s[0:3], 0 offset:36
	buffer_load_dword v182, off, s[0:3], 0 offset:16
	;; [unrolled: 1-line block ×8, first 2 shown]
	v_mov_b32_e32 v4, 0x15e8
	v_mov_b32_e32 v24, 0x15d8
	s_waitcnt vmcnt(11)
	v_fmac_f32_e32 v2, v28, v161
	v_fma_f32 v1, v27, v161, -v1
	v_sub_f32_e32 v2, v10, v2
	v_sub_f32_e32 v1, v9, v1
	v_mul_f32_e32 v3, v26, v2
	v_mul_f32_e32 v2, v25, v2
	v_fmac_f32_e32 v2, v26, v1
	v_fma_f32 v3, v25, v1, -v3
	buffer_store_dword v2, off, s[0:3], 0 offset:28
	buffer_load_dword v168, off, s[0:3], 0 offset:28
	s_nop 0
	buffer_store_dword v3, off, s[0:3], 0 offset:24
	buffer_load_dword v167, off, s[0:3], 0 offset:24
	ds_read2_b64 v[109:112], v4 offset1:1
	ds_read2_b64 v[105:108], v24 offset1:1
	;; [unrolled: 1-line block ×4, first 2 shown]
	ds_read_b128 v[25:28], v170 offset:5808
	ds_read_b128 v[9:12], v170 offset:5360
	ds_read2st64_b64 v[113:116], v172 offset0:10 offset1:11
	ds_read2st64_b64 v[1:4], v172 offset0:8 offset1:9
	buffer_store_dword v71, off, s[0:3], 0 offset:192
	buffer_store_dword v72, off, s[0:3], 0 offset:196
	;; [unrolled: 1-line block ×35, first 2 shown]
	v_mul_f32_e32 v57, v8, v164
	v_mul_f32_e32 v60, v7, v164
	v_fma_f32 v7, v7, v163, -v57
	v_fmac_f32_e32 v60, v8, v163
	v_mul_f32_e32 v57, v32, v166
	buffer_load_dword v58, off, s[0:3], 0 offset:40
	buffer_load_dword v59, off, s[0:3], 0 offset:44
	v_mul_f32_e32 v69, v5, v164
	v_mul_f32_e32 v63, v6, v164
	v_fmac_f32_e32 v69, v6, v163
	v_fma_f32 v71, v5, v163, -v63
	s_waitcnt lgkmcnt(14)
	v_mul_f32_e32 v65, v100, v164
	v_mul_f32_e32 v70, v99, v164
	s_waitcnt vmcnt(49)
	v_sub_f32_e32 v7, v185, v7
	s_waitcnt vmcnt(48)
	v_sub_f32_e32 v8, v186, v60
	v_mul_f32_e32 v60, v31, v166
	v_fma_f32 v31, v31, v165, -v57
	v_fmac_f32_e32 v60, v32, v165
	v_sub_f32_e32 v7, v7, v31
	v_mul_f32_e32 v31, v30, v162
	v_mul_f32_e32 v32, v29, v162
	v_sub_f32_e32 v8, v8, v60
	v_fma_f32 v29, v29, v161, -v31
	v_fmac_f32_e32 v32, v30, v161
	v_sub_f32_e32 v7, v7, v29
	v_sub_f32_e32 v8, v8, v32
	buffer_load_dword v159, off, s[0:3], 0 offset:24
	buffer_load_dword v158, off, s[0:3], 0 offset:24
	;; [unrolled: 1-line block ×14, first 2 shown]
	v_mul_f32_e32 v32, v127, v164
	v_fmac_f32_e32 v32, v128, v163
	v_fmac_f32_e32 v70, v100, v163
	v_mul_f32_e32 v190, v80, v162
	v_mul_f32_e32 v191, v79, v162
	v_fmac_f32_e32 v191, v80, v161
	s_waitcnt vmcnt(53)
	v_mul_f32_e32 v30, v151, v168
	v_mul_f32_e32 v29, v152, v168
	s_waitcnt vmcnt(51)
	v_fmac_f32_e32 v30, v152, v167
	v_fma_f32 v29, v151, v167, -v29
	v_sub_f32_e32 v8, v8, v30
	v_sub_f32_e32 v7, v7, v29
	v_mul_f32_e32 v29, v150, v8
	v_mul_f32_e32 v8, v149, v8
	v_fmac_f32_e32 v8, v150, v7
	v_fma_f32 v29, v149, v7, -v29
	buffer_store_dword v8, off, s[0:3], 0 offset:36
	buffer_load_dword v8, off, s[0:3], 0 offset:36
	v_mul_f32_e32 v30, v128, v164
	buffer_store_dword v29, off, s[0:3], 0 offset:32
	buffer_load_dword v7, off, s[0:3], 0 offset:32
	v_fma_f32 v30, v127, v163, -v30
	s_waitcnt vmcnt(18)
	v_sub_f32_e32 v6, v59, v32
	v_mul_f32_e32 v32, v125, v166
	v_sub_f32_e32 v5, v58, v30
	v_mul_f32_e32 v30, v126, v166
	v_fmac_f32_e32 v32, v126, v165
	v_fma_f32 v30, v125, v165, -v30
	v_sub_f32_e32 v6, v6, v32
	v_mul_f32_e32 v32, v123, v162
	v_sub_f32_e32 v5, v5, v30
	v_mul_f32_e32 v30, v124, v162
	v_fmac_f32_e32 v32, v124, v161
	v_fma_f32 v30, v123, v161, -v30
	;; [unrolled: 6-line block ×3, first 2 shown]
	v_sub_f32_e32 v6, v6, v32
	v_sub_f32_e32 v5, v5, v30
	buffer_store_dword v147, off, s[0:3], 0 offset:112
	buffer_store_dword v145, off, s[0:3], 0 offset:120
	;; [unrolled: 1-line block ×19, first 2 shown]
	buffer_load_dword v29, off, s[0:3], 0 offset:48
	buffer_load_dword v62, off, s[0:3], 0 offset:52
	buffer_load_dword v67, off, s[0:3], 0 offset:56
	buffer_load_dword v68, off, s[0:3], 0 offset:60
	buffer_load_dword v135, off, s[0:3], 0 offset:64
	buffer_load_dword v136, off, s[0:3], 0 offset:68
	buffer_load_dword v137, off, s[0:3], 0 offset:72
	buffer_load_dword v138, off, s[0:3], 0 offset:76
	buffer_load_dword v131, off, s[0:3], 0 offset:80
	buffer_load_dword v132, off, s[0:3], 0 offset:84
	buffer_load_dword v129, off, s[0:3], 0 offset:88
	buffer_load_dword v130, off, s[0:3], 0 offset:92
	s_nop 0
	buffer_store_dword v163, off, s[0:3], 0
	buffer_store_dword v164, off, s[0:3], 0 offset:4
	buffer_load_dword v139, off, s[0:3], 0 offset:32
	buffer_load_dword v140, off, s[0:3], 0 offset:32
	;; [unrolled: 1-line block ×14, first 2 shown]
	v_fma_f32 v58, v99, v163, -v65
	v_mul_f32_e32 v59, v96, v166
	v_mul_f32_e32 v126, v97, v166
	v_fmac_f32_e32 v126, v98, v165
	s_waitcnt vmcnt(49)
	v_mul_f32_e32 v32, v119, v8
	v_mul_f32_e32 v30, v120, v8
	s_waitcnt vmcnt(47)
	v_fmac_f32_e32 v32, v120, v7
	v_fma_f32 v30, v119, v7, -v30
	v_sub_f32_e32 v6, v6, v32
	v_sub_f32_e32 v5, v5, v30
	v_mul_f32_e32 v30, v118, v6
	v_mul_f32_e32 v6, v117, v6
	v_fmac_f32_e32 v6, v118, v5
	v_fma_f32 v30, v117, v5, -v30
	buffer_store_dword v6, off, s[0:3], 0 offset:44
	buffer_load_dword v6, off, s[0:3], 0 offset:44
	s_waitcnt vmcnt(29)
	v_sub_f32_e32 v29, v29, v71
	buffer_store_dword v30, off, s[0:3], 0 offset:40
	buffer_load_dword v5, off, s[0:3], 0 offset:40
	s_waitcnt vmcnt(30)
	v_sub_f32_e32 v62, v62, v69
	s_waitcnt vmcnt(29)
	v_sub_f32_e32 v58, v67, v58
	v_mul_f32_e32 v67, v95, v166
	v_fma_f32 v69, v95, v165, -v59
	v_fmac_f32_e32 v67, v96, v165
	v_sub_f32_e32 v29, v29, v69
	v_mul_f32_e32 v69, v93, v162
	v_sub_f32_e32 v62, v62, v67
	v_mul_f32_e32 v67, v94, v162
	v_fmac_f32_e32 v69, v94, v161
	v_fma_f32 v67, v93, v161, -v67
	v_sub_f32_e32 v62, v62, v69
	v_mul_f32_e32 v69, v91, v168
	buffer_load_dword v143, off, s[0:3], 0
	buffer_load_dword v144, off, s[0:3], 0
	;; [unrolled: 1-line block ×8, first 2 shown]
	buffer_load_dword v146, off, s[0:3], 0 offset:4
	buffer_load_dword v147, off, s[0:3], 0 offset:4
	;; [unrolled: 1-line block ×8, first 2 shown]
	v_sub_f32_e32 v29, v29, v67
	v_mul_f32_e32 v67, v92, v168
	v_fmac_f32_e32 v69, v92, v167
	v_fma_f32 v67, v91, v167, -v67
	v_sub_f32_e32 v62, v62, v69
	v_mul_f32_e32 v69, v89, v8
	s_waitcnt vmcnt(44)
	v_sub_f32_e32 v71, v68, v70
	buffer_store_dword v165, off, s[0:3], 0 offset:8
	buffer_store_dword v166, off, s[0:3], 0 offset:12
	ds_write2_b64 v175, v[165:166], v[163:164] offset0:192 offset1:224
	v_mul_f32_e32 v68, v98, v166
	v_sub_f32_e32 v29, v29, v67
	v_mul_f32_e32 v67, v90, v8
	v_fmac_f32_e32 v69, v90, v7
	v_fma_f32 v150, v97, v165, -v68
	buffer_load_dword v151, off, s[0:3], 0 offset:12
	buffer_load_dword v152, off, s[0:3], 0 offset:12
	;; [unrolled: 1-line block ×10, first 2 shown]
	v_fma_f32 v67, v89, v7, -v67
	v_sub_f32_e32 v62, v62, v69
	v_sub_f32_e32 v29, v29, v67
	buffer_load_dword v166, off, s[0:3], 0 offset:40
	buffer_load_dword v184, off, s[0:3], 0 offset:40
	;; [unrolled: 1-line block ×14, first 2 shown]
	v_sub_f32_e32 v58, v58, v150
	v_sub_f32_e32 v150, v71, v126
	s_waitcnt vmcnt(44)
	v_mul_f32_e32 v98, v87, v6
	v_mul_f32_e32 v70, v88, v6
	s_waitcnt vmcnt(42)
	v_fmac_f32_e32 v98, v88, v5
	v_fma_f32 v70, v87, v5, -v70
	v_sub_f32_e32 v62, v62, v98
	v_sub_f32_e32 v29, v29, v70
	v_mul_f32_e32 v70, v86, v62
	v_mul_f32_e32 v62, v85, v62
	v_fma_f32 v70, v85, v29, -v70
	v_fmac_f32_e32 v62, v86, v29
	buffer_store_dword v70, off, s[0:3], 0 offset:48
	buffer_store_dword v62, off, s[0:3], 0 offset:52
	buffer_load_dword v133, off, s[0:3], 0 offset:48
	buffer_load_dword v134, off, s[0:3], 0 offset:52
	;; [unrolled: 1-line block ×8, first 2 shown]
	s_waitcnt vmcnt(43) lgkmcnt(2)
	v_mul_f32_e32 v195, v116, v146
	v_mul_f32_e32 v146, v115, v146
	s_waitcnt vmcnt(42)
	v_mul_f32_e32 v196, v84, v147
	v_mul_f32_e32 v147, v83, v147
	v_fma_f32 v115, v115, v143, -v195
	v_fmac_f32_e32 v146, v116, v143
	v_fmac_f32_e32 v147, v84, v144
	v_sub_f32_e32 v84, v135, v115
	v_fma_f32 v83, v83, v144, -v196
	v_sub_f32_e32 v115, v136, v146
	s_waitcnt vmcnt(33)
	v_mul_f32_e32 v135, v52, v151
	v_sub_f32_e32 v116, v138, v147
	v_mul_f32_e32 v136, v51, v151
	s_waitcnt vmcnt(32)
	v_mul_f32_e32 v138, v81, v152
	s_waitcnt vmcnt(31)
	v_fma_f32 v51, v51, v163, -v135
	v_sub_f32_e32 v83, v137, v83
	v_mul_f32_e32 v137, v82, v152
	s_waitcnt vmcnt(30)
	v_fmac_f32_e32 v138, v82, v164
	v_sub_f32_e32 v82, v84, v51
	v_fma_f32 v51, v79, v161, -v190
	v_sub_f32_e32 v51, v58, v51
	v_mul_f32_e32 v58, v78, v168
	v_mul_f32_e32 v79, v77, v168
	v_fma_f32 v58, v77, v167, -v58
	v_fmac_f32_e32 v136, v52, v163
	v_sub_f32_e32 v52, v150, v191
	v_fmac_f32_e32 v79, v78, v167
	v_sub_f32_e32 v51, v51, v58
	v_mul_f32_e32 v58, v76, v8
	v_mul_f32_e32 v77, v75, v8
	v_sub_f32_e32 v52, v52, v79
	v_fma_f32 v58, v75, v7, -v58
	v_fmac_f32_e32 v77, v76, v7
	v_mul_f32_e32 v75, v73, v6
	v_sub_f32_e32 v51, v51, v58
	v_sub_f32_e32 v52, v52, v77
	v_mul_f32_e32 v58, v74, v6
	v_fmac_f32_e32 v75, v74, v5
	v_sub_f32_e32 v84, v115, v136
	v_fma_f32 v58, v73, v5, -v58
	v_sub_f32_e32 v115, v52, v75
	buffer_store_dword v162, off, s[0:3], 0 offset:20
	v_sub_f32_e32 v80, v51, v58
	buffer_load_dword v192, off, s[0:3], 0 offset:20
	buffer_load_dword v193, off, s[0:3], 0 offset:20
	;; [unrolled: 1-line block ×8, first 2 shown]
	v_fma_f32 v81, v81, v164, -v137
	buffer_store_dword v83, off, s[0:3], 0 offset:72
	buffer_load_dword v135, off, s[0:3], 0 offset:52
	buffer_load_dword v136, off, s[0:3], 0 offset:48
	buffer_load_dword v137, off, s[0:3], 0 offset:48
	buffer_load_dword v78, off, s[0:3], 0 offset:48
	buffer_load_dword v76, off, s[0:3], 0 offset:48
	buffer_load_dword v74, off, s[0:3], 0 offset:48
	buffer_load_dword v52, off, s[0:3], 0 offset:48
	buffer_load_dword v51, off, s[0:3], 0 offset:48
	buffer_load_dword v143, off, s[0:3], 0 offset:52
	buffer_load_dword v79, off, s[0:3], 0 offset:52
	buffer_load_dword v77, off, s[0:3], 0 offset:52
	buffer_load_dword v75, off, s[0:3], 0 offset:52
	buffer_load_dword v73, off, s[0:3], 0 offset:52
	buffer_load_dword v58, off, s[0:3], 0 offset:52
	v_mul_f32_e32 v197, v114, v149
	v_mul_f32_e32 v149, v113, v149
	v_fmac_f32_e32 v149, v114, v145
	s_waitcnt vmcnt(30)
	v_mul_f32_e32 v146, v55, v134
	v_mul_f32_e32 v144, v56, v134
	v_fmac_f32_e32 v146, v56, v133
	v_fma_f32 v55, v55, v133, -v144
	v_sub_f32_e32 v56, v115, v146
	v_sub_f32_e32 v55, v80, v55
	v_mul_f32_e32 v80, v54, v56
	v_mul_f32_e32 v56, v53, v56
	v_fmac_f32_e32 v56, v54, v55
	buffer_store_dword v56, off, s[0:3], 0 offset:60
	v_fma_f32 v53, v53, v55, -v80
	buffer_load_dword v54, off, s[0:3], 0 offset:60
	buffer_load_dword v55, off, s[0:3], 0 offset:60
	v_sub_f32_e32 v56, v83, v81
	buffer_store_dword v53, off, s[0:3], 0 offset:56
	buffer_load_dword v53, off, s[0:3], 0 offset:56
	v_sub_f32_e32 v81, v116, v138
	buffer_load_dword v80, off, s[0:3], 0 offset:56
	s_waitcnt vmcnt(28)
	v_mul_f32_e32 v83, v50, v192
	s_waitcnt vmcnt(27)
	v_mul_f32_e32 v138, v47, v193
	v_mul_f32_e32 v115, v49, v192
	v_mul_f32_e32 v116, v48, v193
	v_fma_f32 v49, v49, v182, -v83
	v_fmac_f32_e32 v138, v48, v181
	v_fmac_f32_e32 v115, v50, v182
	v_fma_f32 v47, v47, v181, -v116
	v_sub_f32_e32 v48, v82, v49
	v_sub_f32_e32 v50, v81, v138
	v_mul_f32_e32 v81, v43, v160
	v_mul_f32_e32 v82, v46, v183
	v_sub_f32_e32 v47, v56, v47
	v_mul_f32_e32 v56, v44, v160
	v_mul_f32_e32 v83, v45, v183
	v_fmac_f32_e32 v81, v44, v159
	v_fma_f32 v44, v45, v158, -v82
	v_sub_f32_e32 v49, v84, v115
	v_fma_f32 v43, v43, v159, -v56
	v_fmac_f32_e32 v83, v46, v158
	v_sub_f32_e32 v44, v47, v44
	v_mul_f32_e32 v47, v42, v141
	v_sub_f32_e32 v43, v48, v43
	v_sub_f32_e32 v45, v49, v81
	v_sub_f32_e32 v46, v50, v83
	v_mul_f32_e32 v48, v41, v141
	v_mul_f32_e32 v49, v40, v142
	v_mul_f32_e32 v50, v39, v142
	v_fma_f32 v41, v41, v139, -v47
	v_fmac_f32_e32 v48, v42, v139
	v_fma_f32 v39, v39, v140, -v49
	v_fmac_f32_e32 v50, v40, v140
	v_sub_f32_e32 v40, v43, v41
	v_mul_f32_e32 v43, v36, v186
	v_sub_f32_e32 v41, v45, v48
	v_sub_f32_e32 v39, v44, v39
	;; [unrolled: 1-line block ×3, first 2 shown]
	v_mul_f32_e32 v44, v35, v186
	v_mul_f32_e32 v45, v38, v187
	;; [unrolled: 1-line block ×3, first 2 shown]
	v_fma_f32 v35, v35, v166, -v43
	v_fmac_f32_e32 v44, v36, v166
	v_fma_f32 v36, v37, v184, -v45
	v_fmac_f32_e32 v46, v38, v184
	v_sub_f32_e32 v35, v40, v35
	v_mul_f32_e32 v40, v33, v134
	v_sub_f32_e32 v37, v41, v44
	v_sub_f32_e32 v36, v39, v36
	;; [unrolled: 1-line block ×3, first 2 shown]
	v_mul_f32_e32 v39, v34, v134
	s_waitcnt vmcnt(19)
	v_mul_f32_e32 v42, v19, v135
	v_fmac_f32_e32 v40, v34, v133
	s_waitcnt vmcnt(4)
	v_mul_f32_e32 v48, v15, v54
	v_fma_f32 v33, v33, v133, -v39
	v_fmac_f32_e32 v42, v20, v136
	v_sub_f32_e32 v40, v37, v40
	v_mul_f32_e32 v47, v16, v54
	s_waitcnt vmcnt(3)
	v_mul_f32_e32 v49, v18, v55
	v_mul_f32_e32 v50, v17, v55
	s_waitcnt vmcnt(1)
	v_fmac_f32_e32 v48, v16, v53
	v_mul_f32_e32 v41, v20, v135
	v_sub_f32_e32 v33, v35, v33
	v_sub_f32_e32 v44, v38, v42
	v_fma_f32 v15, v15, v53, -v47
	s_waitcnt vmcnt(0)
	v_fma_f32 v16, v17, v80, -v49
	v_fmac_f32_e32 v50, v18, v80
	v_sub_f32_e32 v17, v40, v48
	v_fma_f32 v19, v19, v136, -v41
	v_sub_f32_e32 v15, v33, v15
	v_sub_f32_e32 v18, v44, v50
	v_mul_f32_e32 v44, v13, v17
	v_sub_f32_e32 v43, v36, v19
	v_mul_f32_e32 v33, v14, v17
	v_fmac_f32_e32 v44, v14, v15
	v_sub_f32_e32 v16, v43, v16
	v_fma_f32 v43, v13, v15, -v33
	v_mul_f32_e32 v14, v27, v44
	v_mul_f32_e32 v13, v28, v44
	v_fmac_f32_e32 v14, v28, v43
	v_fma_f32 v13, v27, v43, -v13
	v_sub_f32_e32 v18, v18, v14
	v_sub_f32_e32 v16, v16, v13
	v_mul_f32_e32 v13, v26, v18
	buffer_load_dword v45, off, s[0:3], 0 offset:56
	buffer_load_dword v41, off, s[0:3], 0 offset:56
	;; [unrolled: 1-line block ×12, first 2 shown]
	s_nop 0
	buffer_store_dword v43, off, s[0:3], 0 offset:64
	buffer_store_dword v44, off, s[0:3], 0 offset:68
	v_fma_f32 v13, v25, v16, -v13
	buffer_load_dword v47, off, s[0:3], 0 offset:64
	buffer_load_dword v48, off, s[0:3], 0 offset:68
	v_mul_f32_e32 v15, v112, v189
	buffer_store_dword v13, off, s[0:3], 0 offset:72
	buffer_load_dword v55, off, s[0:3], 0 offset:72
	v_fma_f32 v13, v113, v145, -v197
	v_mul_f32_e32 v17, v111, v189
	v_sub_f32_e32 v13, v131, v13
	v_sub_f32_e32 v14, v132, v149
	v_fma_f32 v15, v111, v165, -v15
	v_fmac_f32_e32 v17, v112, v165
	buffer_store_dword v14, off, s[0:3], 0 offset:84
	v_sub_f32_e32 v13, v13, v15
	v_sub_f32_e32 v14, v14, v17
	v_mul_f32_e32 v15, v110, v194
	v_mul_f32_e32 v17, v109, v194
	v_fma_f32 v15, v109, v180, -v15
	v_fmac_f32_e32 v17, v110, v180
	buffer_store_dword v13, off, s[0:3], 0 offset:80
	v_sub_f32_e32 v13, v13, v15
	v_sub_f32_e32 v14, v14, v17
	v_mul_f32_e32 v15, v108, v157
	v_mul_f32_e32 v17, v107, v157
	v_fma_f32 v15, v107, v156, -v15
	v_fmac_f32_e32 v17, v108, v156
	v_sub_f32_e32 v13, v13, v15
	v_sub_f32_e32 v14, v14, v17
	v_mul_f32_e32 v15, v106, v128
	v_mul_f32_e32 v17, v105, v128
	v_fma_f32 v15, v105, v127, -v15
	v_fmac_f32_e32 v17, v106, v127
	ds_write2_b64 v175, v[5:6], v[7:8] offset0:64 offset1:96
	v_mul_f32_e32 v5, v104, v188
	v_mul_f32_e32 v6, v103, v188
	v_sub_f32_e32 v13, v13, v15
	v_sub_f32_e32 v14, v14, v17
	v_fma_f32 v5, v103, v185, -v5
	v_fmac_f32_e32 v6, v104, v185
	v_mul_f32_e32 v7, v102, v143
	v_mul_f32_e32 v8, v101, v143
	v_sub_f32_e32 v5, v13, v5
	v_sub_f32_e32 v6, v14, v6
	v_fma_f32 v7, v101, v137, -v7
	v_fmac_f32_e32 v8, v102, v137
	v_sub_f32_e32 v5, v5, v7
	v_sub_f32_e32 v6, v6, v8
	v_mul_f32_e32 v56, v25, v18
	ds_write2_b64 v175, v[167:168], v[161:162] offset0:128 offset1:160
	ds_write2_b64 v175, v[53:54], v[133:134] offset1:32
	v_fmac_f32_e32 v56, v26, v16
	s_waitcnt vmcnt(13)
	v_mul_f32_e32 v7, v24, v46
	v_mul_f32_e32 v8, v23, v46
	v_fma_f32 v7, v23, v45, -v7
	v_fmac_f32_e32 v8, v24, v45
	v_sub_f32_e32 v49, v5, v7
	v_sub_f32_e32 v8, v6, v8
	buffer_load_dword v84, off, s[0:3], 0 offset:64
	buffer_load_dword v13, off, s[0:3], 0 offset:64
	;; [unrolled: 1-line block ×14, first 2 shown]
	s_waitcnt vmcnt(18)
	v_mul_f32_e32 v26, v22, v48
	buffer_store_dword v56, off, s[0:3], 0 offset:76
	buffer_load_dword v103, off, s[0:3], 0 offset:72
	buffer_load_dword v104, off, s[0:3], 0 offset:72
	;; [unrolled: 1-line block ×7, first 2 shown]
	s_waitcnt vmcnt(24)
	ds_write2_b64 v173, v[55:56], v[43:44] offset0:192 offset1:224
	ds_read2_b64 v[43:46], v178 offset1:1
	buffer_load_dword v105, off, s[0:3], 0 offset:76
	v_mul_f32_e32 v48, v21, v48
	v_fma_f32 v21, v21, v47, -v26
	v_fmac_f32_e32 v48, v22, v47
	v_mov_b32_e32 v22, 0x13e8
	v_sub_f32_e32 v21, v49, v21
	v_sub_f32_e32 v8, v8, v48
	ds_read2_b64 v[47:50], v22 offset1:1
	s_waitcnt lgkmcnt(1)
	v_mul_f32_e32 v26, v45, v56
	v_mul_f32_e32 v22, v46, v56
	v_fmac_f32_e32 v26, v46, v55
	v_fma_f32 v22, v45, v55, -v22
	v_sub_f32_e32 v8, v8, v26
	v_sub_f32_e32 v45, v21, v22
	v_mul_f32_e32 v21, v44, v8
	v_mul_f32_e32 v22, v43, v8
	;; [unrolled: 1-line block ×3, first 2 shown]
	v_fma_f32 v8, v11, v119, -v8
	v_mul_f32_e32 v11, v11, v120
	v_fmac_f32_e32 v11, v12, v119
	v_fma_f32 v21, v43, v45, -v21
	v_sub_f32_e32 v12, v130, v11
	v_mul_f32_e32 v11, v10, v98
	v_fmac_f32_e32 v22, v44, v45
	buffer_store_dword v21, off, s[0:3], 0 offset:80
	buffer_store_dword v22, off, s[0:3], 0 offset:84
	v_sub_f32_e32 v8, v129, v8
	v_fma_f32 v11, v9, v97, -v11
	v_mul_f32_e32 v26, v9, v98
	v_fmac_f32_e32 v26, v10, v97
	v_sub_f32_e32 v53, v8, v11
	ds_read_b128 v[8:11], v170 offset:5344
	buffer_load_dword v97, off, s[0:3], 0 offset:96
	buffer_load_dword v98, off, s[0:3], 0 offset:100
	v_sub_f32_e32 v12, v12, v26
	ds_read_b128 v[43:46], v170 offset:5328
	s_waitcnt lgkmcnt(1)
	v_mul_f32_e32 v26, v11, v126
	v_fma_f32 v26, v10, v179, -v26
	v_mul_f32_e32 v10, v10, v126
	v_fmac_f32_e32 v10, v11, v179
	v_sub_f32_e32 v10, v12, v10
	v_mul_f32_e32 v12, v9, v155
	v_fma_f32 v12, v8, v154, -v12
	v_mul_f32_e32 v8, v8, v155
	v_sub_f32_e32 v11, v53, v26
	v_fmac_f32_e32 v8, v9, v154
	s_waitcnt lgkmcnt(0)
	v_mul_f32_e32 v106, v46, v125
	v_sub_f32_e32 v12, v11, v12
	v_sub_f32_e32 v26, v10, v8
	ds_read_b128 v[53:56], v170 offset:5280
	ds_read_b128 v[80:83], v170 offset:5296
	;; [unrolled: 1-line block ×3, first 2 shown]
	v_fma_f32 v106, v45, v124, -v106
	v_mul_f32_e32 v45, v45, v125
	v_fmac_f32_e32 v45, v46, v124
	v_sub_f32_e32 v26, v26, v45
	v_mul_f32_e32 v45, v44, v94
	v_fma_f32 v45, v43, v93, -v45
	v_mul_f32_e32 v43, v43, v94
	v_fmac_f32_e32 v43, v44, v93
	v_sub_f32_e32 v12, v12, v106
	v_sub_f32_e32 v26, v26, v43
	s_waitcnt lgkmcnt(0)
	v_mul_f32_e32 v43, v11, v79
	v_sub_f32_e32 v12, v12, v45
	v_fma_f32 v43, v10, v78, -v43
	v_mul_f32_e32 v10, v10, v79
	v_fmac_f32_e32 v10, v11, v78
	v_sub_f32_e32 v11, v12, v43
	v_mul_f32_e32 v12, v9, v42
	v_fma_f32 v12, v8, v41, -v12
	v_mul_f32_e32 v8, v8, v42
	v_sub_f32_e32 v10, v26, v10
	v_fmac_f32_e32 v8, v9, v41
	v_sub_f32_e32 v9, v11, v12
	s_waitcnt vmcnt(19)
	v_mul_f32_e32 v11, v82, v101
	v_sub_f32_e32 v8, v10, v8
	v_mul_f32_e32 v10, v83, v101
	v_fmac_f32_e32 v11, v83, v84
	v_fma_f32 v10, v82, v84, -v10
	v_sub_f32_e32 v42, v8, v11
	v_sub_f32_e32 v12, v9, v10
	buffer_load_dword v84, off, s[0:3], 0 offset:76
	buffer_load_dword v41, off, s[0:3], 0 offset:76
	;; [unrolled: 1-line block ×7, first 2 shown]
	s_waitcnt vmcnt(11)
	v_mul_f32_e32 v44, v80, v105
	v_mul_f32_e32 v43, v81, v105
	v_fmac_f32_e32 v44, v81, v103
	v_fma_f32 v43, v80, v103, -v43
	v_sub_f32_e32 v42, v42, v44
	v_mul_f32_e32 v44, v55, v22
	v_sub_f32_e32 v12, v12, v43
	v_mul_f32_e32 v43, v56, v22
	v_fmac_f32_e32 v44, v56, v21
	v_fma_f32 v43, v55, v21, -v43
	v_sub_f32_e32 v42, v42, v44
	v_sub_f32_e32 v12, v12, v43
	v_mul_f32_e32 v43, v54, v42
	v_fma_f32 v82, v53, v12, -v43
	v_mul_f32_e32 v83, v53, v42
	ds_read_b128 v[78:81], v170 offset:4848
	v_fmac_f32_e32 v83, v54, v12
	buffer_store_dword v82, off, s[0:3], 0 offset:88
	buffer_store_dword v83, off, s[0:3], 0 offset:92
	buffer_load_dword v53, off, s[0:3], 0 offset:84
	buffer_load_dword v54, off, s[0:3], 0 offset:80
	v_mul_f32_e32 v12, v4, v118
	v_fma_f32 v12, v3, v117, -v12
	v_mul_f32_e32 v3, v3, v118
	v_fmac_f32_e32 v3, v4, v117
	ds_write2_b64 v173, v[82:83], v[21:22] offset0:128 offset1:160
	v_mul_f32_e32 v21, v49, v87
	v_fmac_f32_e32 v21, v50, v96
	v_mov_b32_e32 v22, 0x13b8
	s_waitcnt vmcnt(12)
	v_sub_f32_e32 v4, v97, v12
	v_mul_f32_e32 v12, v50, v87
	v_fma_f32 v12, v49, v96, -v12
	v_sub_f32_e32 v4, v4, v12
	v_mul_f32_e32 v12, v48, v88
	v_fma_f32 v12, v47, v177, -v12
	v_sub_f32_e32 v4, v4, v12
	v_mov_b32_e32 v12, 0x13d8
	ds_read2_b64 v[42:45], v12 offset1:1
	s_waitcnt vmcnt(11)
	v_sub_f32_e32 v3, v98, v3
	v_sub_f32_e32 v3, v3, v21
	v_mul_f32_e32 v21, v47, v88
	v_mov_b32_e32 v12, 0x13c8
	v_fmac_f32_e32 v21, v48, v177
	ds_read2_b64 v[46:49], v12 offset1:1
	s_waitcnt lgkmcnt(1)
	v_mul_f32_e32 v12, v45, v153
	v_fma_f32 v12, v44, v148, -v12
	v_sub_f32_e32 v3, v3, v21
	v_sub_f32_e32 v4, v4, v12
	buffer_store_dword v3, off, s[0:3], 0 offset:100
	buffer_store_dword v4, off, s[0:3], 0 offset:96
	buffer_load_dword v50, off, s[0:3], 0 offset:104
	buffer_load_dword v56, off, s[0:3], 0 offset:108
	v_mul_f32_e32 v21, v44, v153
	v_mul_f32_e32 v12, v43, v123
	v_fmac_f32_e32 v21, v45, v148
	v_fma_f32 v12, v42, v122, -v12
	v_sub_f32_e32 v3, v3, v21
	v_mul_f32_e32 v21, v42, v123
	v_sub_f32_e32 v4, v4, v12
	s_waitcnt lgkmcnt(0)
	v_mul_f32_e32 v12, v49, v92
	v_fmac_f32_e32 v21, v43, v122
	v_fma_f32 v12, v48, v91, -v12
	ds_read2_b64 v[42:45], v22 offset1:1
	v_sub_f32_e32 v3, v3, v21
	v_mul_f32_e32 v21, v48, v92
	v_sub_f32_e32 v4, v4, v12
	v_mul_f32_e32 v12, v47, v77
	v_fmac_f32_e32 v21, v49, v91
	v_fma_f32 v12, v46, v76, -v12
	v_sub_f32_e32 v3, v3, v21
	v_mul_f32_e32 v21, v46, v77
	v_sub_f32_e32 v4, v4, v12
	v_mov_b32_e32 v12, 0x13a8
	v_fmac_f32_e32 v21, v47, v76
	ds_read2_b64 v[46:49], v12 offset1:1
	s_waitcnt lgkmcnt(1)
	v_mul_f32_e32 v12, v45, v39
	v_fma_f32 v12, v44, v38, -v12
	v_sub_f32_e32 v3, v3, v21
	v_mul_f32_e32 v21, v44, v39
	v_sub_f32_e32 v4, v4, v12
	v_mul_f32_e32 v12, v43, v102
	v_fmac_f32_e32 v21, v45, v38
	v_fma_f32 v12, v42, v13, -v12
	v_sub_f32_e32 v3, v3, v21
	v_mul_f32_e32 v21, v42, v102
	v_sub_f32_e32 v4, v4, v12
	s_waitcnt vmcnt(14) lgkmcnt(0)
	v_mul_f32_e32 v12, v49, v84
	v_fmac_f32_e32 v21, v43, v13
	v_fma_f32 v12, v48, v104, -v12
	v_mul_f32_e32 v13, v48, v84
	v_sub_f32_e32 v3, v3, v21
	v_fmac_f32_e32 v13, v49, v104
	v_sub_f32_e32 v39, v4, v12
	v_sub_f32_e32 v42, v3, v13
	buffer_load_dword v88, off, s[0:3], 0 offset:84
	buffer_load_dword v38, off, s[0:3], 0 offset:84
	;; [unrolled: 1-line block ×14, first 2 shown]
	s_waitcnt vmcnt(19)
	v_mul_f32_e32 v48, v47, v53
	s_waitcnt vmcnt(18)
	v_fma_f32 v76, v46, v54, -v48
	v_mul_f32_e32 v53, v46, v53
	v_mov_b32_e32 v46, 0x1398
	v_fmac_f32_e32 v53, v47, v54
	ds_read2_b64 v[46:49], v46 offset1:1
	v_sub_f32_e32 v42, v42, v53
	v_mov_b32_e32 v53, 0x11e8
	ds_read2_b64 v[91:94], v53 offset1:1
	v_sub_f32_e32 v39, v39, v76
	s_waitcnt lgkmcnt(1)
	v_mul_f32_e32 v53, v49, v83
	v_fma_f32 v53, v48, v82, -v53
	v_mul_f32_e32 v48, v48, v83
	v_fmac_f32_e32 v48, v49, v82
	v_sub_f32_e32 v42, v42, v48
	v_sub_f32_e32 v39, v39, v53
	v_mul_f32_e32 v48, v47, v42
	v_fma_f32 v96, v46, v39, -v48
	v_mul_f32_e32 v97, v46, v42
	v_fmac_f32_e32 v97, v47, v39
	buffer_store_dword v96, off, s[0:3], 0 offset:96
	buffer_store_dword v97, off, s[0:3], 0 offset:100
	ds_read_b128 v[46:49], v170 offset:4816
	ds_read_b128 v[101:104], v170 offset:4832
	v_mul_f32_e32 v39, v81, v100
	v_fma_f32 v39, v80, v99, -v39
	v_mul_f32_e32 v42, v80, v100
	buffer_load_dword v54, off, s[0:3], 0 offset:92
	v_mul_f32_e32 v53, v78, v85
	v_fmac_f32_e32 v42, v81, v99
	v_fmac_f32_e32 v53, v79, v95
	s_waitcnt vmcnt(18)
	v_sub_f32_e32 v39, v50, v39
	v_mul_f32_e32 v50, v79, v85
	v_fma_f32 v50, v78, v95, -v50
	buffer_load_dword v95, off, s[0:3], 0 offset:88
	s_waitcnt vmcnt(18)
	v_sub_f32_e32 v42, v56, v42
	v_sub_f32_e32 v39, v39, v50
	;; [unrolled: 1-line block ×3, first 2 shown]
	s_waitcnt lgkmcnt(0)
	v_mul_f32_e32 v50, v104, v86
	v_mul_f32_e32 v53, v103, v86
	v_fma_f32 v50, v103, v176, -v50
	v_fmac_f32_e32 v53, v104, v176
	v_sub_f32_e32 v39, v39, v50
	v_sub_f32_e32 v42, v42, v53
	v_mul_f32_e32 v50, v102, v57
	v_mul_f32_e32 v53, v101, v57
	v_fma_f32 v50, v101, v31, -v50
	v_fmac_f32_e32 v53, v102, v31
	v_sub_f32_e32 v31, v39, v50
	v_sub_f32_e32 v39, v42, v53
	v_mul_f32_e32 v42, v49, v121
	buffer_store_dword v39, off, s[0:3], 0 offset:108
	v_fma_f32 v42, v48, v72, -v42
	v_mul_f32_e32 v48, v48, v121
	v_fmac_f32_e32 v48, v49, v72
	buffer_load_dword v50, off, s[0:3], 0 offset:112
	buffer_load_dword v72, off, s[0:3], 0 offset:116
	v_sub_f32_e32 v31, v31, v42
	buffer_store_dword v31, off, s[0:3], 0 offset:104
	v_mul_f32_e32 v42, v47, v90
	v_mul_f32_e32 v53, v46, v90
	v_sub_f32_e32 v39, v39, v48
	v_fma_f32 v42, v46, v89, -v42
	v_fmac_f32_e32 v53, v47, v89
	ds_read_b128 v[46:49], v170 offset:4784
	ds_read_b128 v[76:79], v170 offset:4800
	v_sub_f32_e32 v31, v31, v42
	v_sub_f32_e32 v39, v39, v53
	ds_read_b128 v[84:87], v170 offset:4752
	ds_read_b128 v[80:83], v170 offset:4768
	s_waitcnt lgkmcnt(2)
	v_mul_f32_e32 v42, v79, v75
	v_fma_f32 v42, v78, v74, -v42
	v_mul_f32_e32 v53, v78, v75
	v_fmac_f32_e32 v53, v79, v74
	v_sub_f32_e32 v31, v31, v42
	v_mul_f32_e32 v42, v77, v37
	v_mul_f32_e32 v37, v76, v37
	v_sub_f32_e32 v39, v39, v53
	v_fma_f32 v42, v76, v19, -v42
	v_fmac_f32_e32 v37, v77, v19
	v_sub_f32_e32 v19, v31, v42
	v_sub_f32_e32 v31, v39, v37
	v_mul_f32_e32 v37, v49, v28
	v_mul_f32_e32 v28, v48, v28
	v_fmac_f32_e32 v28, v49, v24
	v_fma_f32 v37, v48, v24, -v37
	v_sub_f32_e32 v24, v31, v28
	v_mul_f32_e32 v28, v47, v41
	v_mul_f32_e32 v31, v46, v41
	v_sub_f32_e32 v19, v19, v37
	v_fma_f32 v28, v46, v40, -v28
	v_fmac_f32_e32 v31, v47, v40
	v_sub_f32_e32 v19, v19, v28
	v_sub_f32_e32 v24, v24, v31
	s_waitcnt vmcnt(21) lgkmcnt(0)
	v_mul_f32_e32 v28, v83, v88
	v_mul_f32_e32 v31, v82, v88
	s_waitcnt vmcnt(14)
	v_fma_f32 v28, v82, v98, -v28
	v_fmac_f32_e32 v31, v83, v98
	v_sub_f32_e32 v37, v19, v28
	v_sub_f32_e32 v39, v24, v31
	buffer_load_dword v41, off, s[0:3], 0 offset:92
	buffer_load_dword v24, off, s[0:3], 0 offset:92
	;; [unrolled: 1-line block ×14, first 2 shown]
	s_waitcnt vmcnt(19)
	v_mul_f32_e32 v40, v81, v54
	v_mul_f32_e32 v46, v80, v54
	s_waitcnt vmcnt(18)
	v_fma_f32 v40, v80, v95, -v40
	v_fmac_f32_e32 v46, v81, v95
	v_sub_f32_e32 v37, v37, v40
	v_sub_f32_e32 v39, v39, v46
	v_mul_f32_e32 v40, v87, v97
	v_mul_f32_e32 v46, v86, v97
	v_fma_f32 v40, v86, v96, -v40
	v_fmac_f32_e32 v46, v87, v96
	v_sub_f32_e32 v37, v37, v40
	v_sub_f32_e32 v40, v39, v46
	v_mul_f32_e32 v39, v85, v40
	v_mul_f32_e32 v40, v84, v40
	v_fma_f32 v39, v84, v37, -v39
	v_fmac_f32_e32 v40, v85, v37
	v_mul_f32_e32 v37, v2, v66
	v_fma_f32 v37, v1, v65, -v37
	v_mul_f32_e32 v1, v1, v66
	v_fmac_f32_e32 v1, v2, v65
	buffer_store_dword v39, off, s[0:3], 0 offset:104
	buffer_store_dword v40, off, s[0:3], 0 offset:108
	ds_write2_b64 v173, v[39:40], v[96:97] offset0:64 offset1:96
	s_waitcnt vmcnt(18)
	v_sub_f32_e32 v2, v50, v37
	v_mul_f32_e32 v37, v94, v70
	v_fma_f32 v37, v93, v68, -v37
	v_sub_f32_e32 v2, v2, v37
	v_mul_f32_e32 v37, v92, v71
	v_fma_f32 v37, v91, v174, -v37
	v_sub_f32_e32 v2, v2, v37
	v_mov_b32_e32 v37, 0x11d8
	ds_read2_b64 v[46:49], v37 offset1:1
	v_mul_f32_e32 v39, v93, v70
	s_waitcnt vmcnt(17)
	v_sub_f32_e32 v1, v72, v1
	v_fmac_f32_e32 v39, v94, v68
	v_sub_f32_e32 v1, v1, v39
	v_mul_f32_e32 v39, v91, v71
	v_fmac_f32_e32 v39, v92, v174
	v_mov_b32_e32 v37, 0x11c8
	s_waitcnt lgkmcnt(0)
	v_mul_f32_e32 v40, v48, v61
	v_sub_f32_e32 v1, v1, v39
	buffer_load_dword v39, off, s[0:3], 0 offset:100
	buffer_load_dword v54, off, s[0:3], 0 offset:108
	ds_read2_b64 v[77:80], v37 offset1:1
	v_mul_f32_e32 v37, v49, v61
	v_fmac_f32_e32 v40, v49, v60
	v_fma_f32 v37, v48, v60, -v37
	v_sub_f32_e32 v1, v1, v40
	buffer_load_dword v60, off, s[0:3], 0 offset:104
	buffer_load_dword v40, off, s[0:3], 0 offset:96
	v_sub_f32_e32 v2, v2, v37
	v_mul_f32_e32 v37, v47, v64
	v_fma_f32 v37, v46, v63, -v37
	v_mul_f32_e32 v46, v46, v64
	v_fmac_f32_e32 v46, v47, v63
	v_sub_f32_e32 v2, v2, v37
	v_sub_f32_e32 v1, v1, v46
	s_waitcnt lgkmcnt(0)
	v_mul_f32_e32 v37, v80, v69
	v_mul_f32_e32 v46, v79, v69
	v_fma_f32 v37, v79, v67, -v37
	v_fmac_f32_e32 v46, v80, v67
	buffer_store_dword v1, off, s[0:3], 0 offset:116
	v_sub_f32_e32 v2, v2, v37
	v_sub_f32_e32 v1, v1, v46
	v_mul_f32_e32 v37, v78, v73
	v_mov_b32_e32 v46, 0x11b8
	v_fma_f32 v37, v77, v52, -v37
	ds_read2_b64 v[46:49], v46 offset1:1
	buffer_store_dword v2, off, s[0:3], 0 offset:112
	v_sub_f32_e32 v2, v2, v37
	v_mov_b32_e32 v37, 0x11a8
	ds_read2_b64 v[63:66], v37 offset1:1
	v_mul_f32_e32 v50, v77, v73
	v_fmac_f32_e32 v50, v78, v52
	s_waitcnt lgkmcnt(1)
	v_mul_f32_e32 v37, v49, v36
	v_mul_f32_e32 v36, v48, v36
	v_sub_f32_e32 v1, v1, v50
	v_fma_f32 v37, v48, v35, -v37
	v_fmac_f32_e32 v36, v49, v35
	v_mul_f32_e32 v35, v47, v27
	v_mul_f32_e32 v27, v46, v27
	v_sub_f32_e32 v1, v1, v36
	v_fma_f32 v35, v46, v23, -v35
	v_fmac_f32_e32 v27, v47, v23
	s_waitcnt lgkmcnt(0)
	v_mul_f32_e32 v23, v66, v26
	v_mul_f32_e32 v26, v65, v26
	v_sub_f32_e32 v2, v2, v37
	v_sub_f32_e32 v1, v1, v27
	v_fmac_f32_e32 v26, v66, v25
	v_sub_f32_e32 v2, v2, v35
	v_fma_f32 v23, v65, v25, -v23
	v_sub_f32_e32 v1, v1, v26
	v_mov_b32_e32 v26, 0x1198
	buffer_load_dword v27, off, s[0:3], 0 offset:120
	buffer_load_dword v46, off, s[0:3], 0 offset:124
	v_sub_f32_e32 v2, v2, v23
	v_mul_f32_e32 v23, v64, v38
	v_mul_f32_e32 v25, v63, v38
	ds_read2_b64 v[35:38], v26 offset1:1
	v_fma_f32 v23, v63, v105, -v23
	v_sub_f32_e32 v2, v2, v23
	v_mov_b32_e32 v23, 0x1188
	ds_read2_b64 v[65:68], v23 offset1:1
	s_waitcnt vmcnt(23) lgkmcnt(1)
	v_mul_f32_e32 v23, v38, v41
	v_fmac_f32_e32 v25, v64, v105
	s_waitcnt vmcnt(16)
	v_fma_f32 v23, v37, v74, -v23
	v_mul_f32_e32 v26, v37, v41
	v_sub_f32_e32 v1, v1, v25
	v_fmac_f32_e32 v26, v38, v74
	buffer_load_dword v25, off, s[0:3], 0 offset:16
	v_sub_f32_e32 v1, v1, v26
	v_sub_f32_e32 v2, v2, v23
	buffer_load_dword v23, off, s[0:3], 0 offset:28
	buffer_load_dword v26, off, s[0:3], 0 offset:100
	;; [unrolled: 1-line block ×32, first 2 shown]
	s_waitcnt vmcnt(40)
	v_mul_f32_e32 v37, v36, v39
	s_waitcnt vmcnt(37)
	v_fma_f32 v37, v35, v40, -v37
	v_mul_f32_e32 v35, v35, v39
	v_fmac_f32_e32 v35, v36, v40
	v_sub_f32_e32 v1, v1, v35
	s_waitcnt lgkmcnt(0)
	v_mul_f32_e32 v35, v68, v54
	v_mul_f32_e32 v36, v67, v54
	v_sub_f32_e32 v2, v2, v37
	v_fma_f32 v35, v67, v60, -v35
	v_fmac_f32_e32 v36, v68, v60
	v_sub_f32_e32 v35, v2, v35
	v_sub_f32_e32 v2, v1, v36
	v_mul_f32_e32 v1, v66, v2
	v_fma_f32 v1, v65, v35, -v1
	v_mul_f32_e32 v2, v65, v2
	buffer_load_dword v54, off, s[0:3], 0 offset:44
	ds_read_b128 v[38:41], v170 offset:4320
	ds_read_b128 v[67:70], v170 offset:4336
	v_fmac_f32_e32 v2, v66, v35
	buffer_store_dword v1, off, s[0:3], 0 offset:112
	buffer_store_dword v2, off, s[0:3], 0 offset:116
	buffer_load_dword v65, off, s[0:3], 0 offset:40
	s_waitcnt lgkmcnt(1)
	v_mul_f32_e32 v36, v41, v29
	s_waitcnt lgkmcnt(0)
	v_mul_f32_e32 v35, v70, v32
	v_mul_f32_e32 v32, v69, v32
	v_fma_f32 v35, v69, v30, -v35
	v_fmac_f32_e32 v32, v70, v30
	v_mul_f32_e32 v29, v40, v29
	s_waitcnt vmcnt(38)
	v_sub_f32_e32 v27, v27, v35
	s_waitcnt vmcnt(37)
	v_sub_f32_e32 v30, v46, v32
	v_mul_f32_e32 v32, v68, v62
	v_mul_f32_e32 v35, v67, v62
	v_fma_f32 v32, v67, v59, -v32
	v_fmac_f32_e32 v35, v68, v59
	v_sub_f32_e32 v32, v27, v32
	v_sub_f32_e32 v30, v30, v35
	buffer_load_dword v27, off, s[0:3], 0 offset:16
	buffer_load_dword v144, off, s[0:3], 0 offset:16
	;; [unrolled: 1-line block ×7, first 2 shown]
	s_waitcnt vmcnt(43)
	v_fma_f32 v36, v40, v25, -v36
	v_fmac_f32_e32 v29, v41, v25
	v_sub_f32_e32 v25, v32, v36
	v_sub_f32_e32 v29, v30, v29
	buffer_load_dword v30, off, s[0:3], 0 offset:28
	buffer_load_dword v146, off, s[0:3], 0 offset:28
	;; [unrolled: 1-line block ×14, first 2 shown]
	ds_read_b128 v[95:98], v170 offset:4304
	ds_read_b128 v[147:150], v170 offset:4288
	s_waitcnt vmcnt(56)
	v_mul_f32_e32 v32, v39, v23
	s_waitcnt vmcnt(48)
	v_fma_f32 v32, v38, v47, -v32
	v_sub_f32_e32 v25, v25, v32
	s_waitcnt vmcnt(40) lgkmcnt(1)
	v_mul_f32_e32 v32, v98, v63
	v_mul_f32_e32 v23, v38, v23
	s_waitcnt vmcnt(32)
	v_fma_f32 v32, v97, v74, -v32
	v_fmac_f32_e32 v23, v39, v47
	v_mul_f32_e32 v40, v97, v63
	v_sub_f32_e32 v25, v25, v32
	v_sub_f32_e32 v23, v29, v23
	v_fmac_f32_e32 v40, v98, v74
	v_sub_f32_e32 v23, v23, v40
	buffer_load_dword v29, off, s[0:3], 0 offset:36
	buffer_load_dword v153, off, s[0:3], 0 offset:36
	;; [unrolled: 1-line block ×30, first 2 shown]
	s_waitcnt vmcnt(54)
	v_mul_f32_e32 v46, v96, v54
	v_mul_f32_e32 v47, v95, v54
	s_waitcnt vmcnt(51)
	v_fma_f32 v46, v95, v65, -v46
	v_sub_f32_e32 v25, v25, v46
	s_waitcnt lgkmcnt(0)
	v_mul_f32_e32 v46, v150, v58
	v_fmac_f32_e32 v47, v96, v65
	v_fma_f32 v46, v149, v51, -v46
	v_sub_f32_e32 v23, v23, v47
	v_mul_f32_e32 v47, v149, v58
	v_sub_f32_e32 v25, v25, v46
	v_mul_f32_e32 v46, v148, v34
	v_mul_f32_e32 v34, v147, v34
	v_fmac_f32_e32 v47, v150, v51
	v_fma_f32 v46, v147, v20, -v46
	v_fmac_f32_e32 v34, v148, v20
	ds_read_b128 v[95:98], v170 offset:4256
	ds_read_b128 v[147:150], v170 offset:4272
	v_sub_f32_e32 v20, v25, v46
	ds_read_b128 v[154:157], v170 offset:4224
	ds_read_b128 v[163:166], v170 offset:4240
	buffer_load_dword v65, off, s[0:3], 0 offset:4
	v_sub_f32_e32 v23, v23, v47
	s_waitcnt lgkmcnt(2)
	v_mul_f32_e32 v25, v150, v6
	v_fma_f32 v25, v149, v5, -v25
	v_mul_f32_e32 v6, v149, v6
	v_fmac_f32_e32 v6, v150, v5
	v_sub_f32_e32 v5, v20, v25
	buffer_load_dword v25, off, s[0:3], 0
	buffer_load_dword v100, off, s[0:3], 0 offset:128
	buffer_load_dword v103, off, s[0:3], 0 offset:132
	v_sub_f32_e32 v23, v23, v34
	v_mul_f32_e32 v20, v148, v8
	v_mul_f32_e32 v8, v147, v8
	v_sub_f32_e32 v6, v23, v6
	v_fma_f32 v20, v147, v7, -v20
	v_fmac_f32_e32 v8, v148, v7
	v_mul_f32_e32 v7, v98, v3
	v_mul_f32_e32 v3, v97, v3
	v_sub_f32_e32 v5, v5, v20
	v_sub_f32_e32 v6, v6, v8
	v_fma_f32 v7, v97, v4, -v7
	v_fmac_f32_e32 v3, v98, v4
	v_sub_f32_e32 v4, v5, v7
	v_sub_f32_e32 v3, v6, v3
	v_mul_f32_e32 v5, v96, v24
	v_mul_f32_e32 v6, v95, v24
	v_fma_f32 v5, v95, v28, -v5
	v_fmac_f32_e32 v6, v96, v28
	buffer_load_dword v28, off, s[0:3], 0 offset:12
	buffer_load_dword v98, off, s[0:3], 0 offset:8
	v_sub_f32_e32 v4, v4, v5
	v_sub_f32_e32 v3, v3, v6
	s_waitcnt lgkmcnt(0)
	v_mul_f32_e32 v5, v166, v26
	v_mul_f32_e32 v6, v165, v26
	v_fma_f32 v5, v165, v61, -v5
	v_fmac_f32_e32 v6, v166, v61
	v_sub_f32_e32 v4, v4, v5
	v_sub_f32_e32 v3, v3, v6
	v_mul_f32_e32 v5, v164, v71
	v_mul_f32_e32 v6, v163, v71
	v_fma_f32 v5, v163, v79, -v5
	v_fmac_f32_e32 v6, v164, v79
	v_sub_f32_e32 v4, v4, v5
	v_sub_f32_e32 v3, v3, v6
	s_waitcnt vmcnt(14)
	v_mul_f32_e32 v5, v157, v63
	v_mul_f32_e32 v6, v156, v63
	s_waitcnt vmcnt(13)
	v_fma_f32 v5, v156, v66, -v5
	v_fmac_f32_e32 v6, v157, v66
	v_sub_f32_e32 v5, v4, v5
	v_sub_f32_e32 v4, v3, v6
	buffer_load_dword v71, off, s[0:3], 0 offset:20
	buffer_load_dword v161, off, s[0:3], 0 offset:116
	;; [unrolled: 1-line block ×8, first 2 shown]
	v_mul_f32_e32 v3, v155, v4
	v_mul_f32_e32 v4, v154, v4
	v_fma_f32 v3, v154, v5, -v3
	v_fmac_f32_e32 v4, v155, v5
	buffer_load_dword v182, off, s[0:3], 0 offset:112
	buffer_load_dword v51, off, s[0:3], 0 offset:112
	;; [unrolled: 1-line block ×7, first 2 shown]
	s_nop 0
	buffer_store_dword v3, off, s[0:3], 0 offset:120
	buffer_store_dword v4, off, s[0:3], 0 offset:124
	ds_write2_b64 v173, v[3:4], v[1:2] offset1:32
	buffer_load_dword v105, off, s[0:3], 0 offset:48
	buffer_load_dword v108, off, s[0:3], 0 offset:52
	ds_read2st64_b64 v[5:8], v172 offset0:6 offset1:7
	ds_read2st64_b64 v[1:4], v172 offset0:4 offset1:5
	buffer_load_dword v192, off, s[0:3], 0 offset:4
	buffer_load_dword v58, off, s[0:3], 0 offset:4
	;; [unrolled: 1-line block ×7, first 2 shown]
	buffer_load_dword v193, off, s[0:3], 0
	buffer_load_dword v163, off, s[0:3], 0
	;; [unrolled: 1-line block ×7, first 2 shown]
	s_waitcnt vmcnt(38) lgkmcnt(1)
	v_mul_f32_e32 v26, v8, v65
	s_waitcnt vmcnt(37)
	v_fma_f32 v26, v7, v25, -v26
	v_mul_f32_e32 v7, v7, v65
	v_fmac_f32_e32 v7, v8, v25
	v_mov_b32_e32 v25, 0xfe8
	s_waitcnt vmcnt(36)
	v_sub_f32_e32 v8, v100, v26
	v_mov_b32_e32 v26, 0xfd8
	ds_read2_b64 v[154:157], v25 offset1:1
	ds_read2_b64 v[172:175], v26 offset1:1
	buffer_load_dword v178, off, s[0:3], 0 offset:60
	buffer_load_dword v194, off, s[0:3], 0 offset:12
	;; [unrolled: 1-line block ×16, first 2 shown]
	s_waitcnt vmcnt(51)
	v_sub_f32_e32 v7, v103, v7
	s_waitcnt vmcnt(50) lgkmcnt(1)
	v_mul_f32_e32 v66, v157, v28
	v_mul_f32_e32 v28, v156, v28
	s_waitcnt vmcnt(49)
	v_fmac_f32_e32 v28, v157, v98
	v_sub_f32_e32 v7, v7, v28
	v_fma_f32 v66, v156, v98, -v66
	v_sub_f32_e32 v8, v8, v66
	buffer_load_dword v196, off, s[0:3], 0 offset:20
	buffer_load_dword v166, off, s[0:3], 0 offset:20
	;; [unrolled: 1-line block ×7, first 2 shown]
	s_waitcnt vmcnt(55)
	v_mul_f32_e32 v100, v155, v71
	v_mul_f32_e32 v71, v154, v71
	v_fma_f32 v100, v154, v27, -v100
	v_fmac_f32_e32 v71, v155, v27
	s_waitcnt lgkmcnt(0)
	v_mul_f32_e32 v27, v175, v30
	v_mul_f32_e32 v30, v174, v30
	v_sub_f32_e32 v7, v7, v71
	v_fmac_f32_e32 v30, v175, v67
	v_sub_f32_e32 v7, v7, v30
	v_mov_b32_e32 v30, 0xfc8
	v_sub_f32_e32 v8, v8, v100
	v_fma_f32 v27, v174, v67, -v27
	ds_read2_b64 v[155:158], v30 offset1:1
	v_sub_f32_e32 v8, v8, v27
	v_mul_f32_e32 v27, v173, v29
	v_fma_f32 v27, v172, v69, -v27
	v_sub_f32_e32 v8, v8, v27
	v_mov_b32_e32 v27, 0xfb8
	v_mul_f32_e32 v29, v172, v29
	ds_read2_b64 v[174:177], v27 offset1:1
	v_fmac_f32_e32 v29, v173, v69
	s_waitcnt lgkmcnt(1)
	v_mul_f32_e32 v27, v158, v32
	v_sub_f32_e32 v7, v7, v29
	v_fma_f32 v27, v157, v74, -v27
	v_mul_f32_e32 v29, v157, v32
	s_waitcnt vmcnt(37)
	v_mul_f32_e32 v30, v156, v108
	v_fmac_f32_e32 v29, v158, v74
	v_sub_f32_e32 v8, v8, v27
	v_fma_f32 v30, v155, v105, -v30
	v_mul_f32_e32 v32, v155, v108
	v_sub_f32_e32 v7, v7, v29
	buffer_load_dword v197, off, s[0:3], 0 offset:52
	buffer_load_dword v167, off, s[0:3], 0 offset:52
	;; [unrolled: 1-line block ×14, first 2 shown]
	v_fmac_f32_e32 v32, v156, v105
	v_sub_f32_e32 v8, v8, v30
	buffer_load_dword v183, off, s[0:3], 0 offset:124
	buffer_load_dword v199, off, s[0:3], 0 offset:60
	;; [unrolled: 1-line block ×8, first 2 shown]
	v_sub_f32_e32 v7, v7, v32
	buffer_load_dword v184, off, s[0:3], 0 offset:120
	buffer_load_dword v200, off, s[0:3], 0 offset:56
	;; [unrolled: 1-line block ×8, first 2 shown]
	s_waitcnt vmcnt(52) lgkmcnt(0)
	v_mul_f32_e32 v156, v177, v178
	s_waitcnt vmcnt(44)
	v_fma_f32 v156, v176, v179, -v156
	v_sub_f32_e32 v8, v8, v156
	v_mul_f32_e32 v156, v175, v33
	v_mul_f32_e32 v33, v174, v33
	v_mul_f32_e32 v158, v176, v178
	v_fma_f32 v156, v174, v17, -v156
	v_fmac_f32_e32 v33, v175, v17
	v_mov_b32_e32 v17, 0xfa8
	v_fmac_f32_e32 v158, v177, v179
	ds_read2_b64 v[174:177], v17 offset1:1
	buffer_load_dword v201, off, s[0:3], 0 offset:136
	buffer_load_dword v202, off, s[0:3], 0 offset:140
	v_mov_b32_e32 v17, 0xf98
	ds_read2_b64 v[178:181], v17 offset1:1
	v_sub_f32_e32 v7, v7, v158
	s_waitcnt lgkmcnt(1)
	v_mul_f32_e32 v17, v177, v10
	v_mul_f32_e32 v10, v176, v10
	v_sub_f32_e32 v7, v7, v33
	v_fmac_f32_e32 v10, v177, v18
	v_sub_f32_e32 v8, v8, v156
	v_fma_f32 v17, v176, v18, -v17
	v_sub_f32_e32 v7, v7, v10
	v_mul_f32_e32 v10, v175, v43
	v_sub_f32_e32 v8, v8, v17
	v_fma_f32 v10, v174, v44, -v10
	v_mul_f32_e32 v17, v174, v43
	v_sub_f32_e32 v8, v8, v10
	s_waitcnt lgkmcnt(0)
	v_mul_f32_e32 v10, v181, v82
	v_fmac_f32_e32 v17, v175, v44
	v_fma_f32 v10, v180, v109, -v10
	v_mov_b32_e32 v18, 0xf88
	v_sub_f32_e32 v7, v7, v17
	v_mul_f32_e32 v17, v180, v82
	v_sub_f32_e32 v8, v8, v10
	v_mul_f32_e32 v10, v179, v73
	ds_read2_b64 v[174:177], v18 offset1:1
	v_fmac_f32_e32 v17, v181, v109
	v_fma_f32 v10, v178, v115, -v10
	v_sub_f32_e32 v7, v7, v17
	v_mul_f32_e32 v17, v178, v73
	v_sub_f32_e32 v8, v8, v10
	v_mov_b32_e32 v10, 0xf78
	v_fmac_f32_e32 v17, v179, v115
	ds_read2_b64 v[178:181], v10 offset1:1
	v_sub_f32_e32 v7, v7, v17
	s_waitcnt lgkmcnt(1)
	v_mul_f32_e32 v10, v177, v138
	v_mul_f32_e32 v17, v176, v138
	v_fma_f32 v10, v176, v143, -v10
	v_fmac_f32_e32 v17, v177, v143
	v_sub_f32_e32 v8, v8, v10
	v_sub_f32_e32 v7, v7, v17
	v_mul_f32_e32 v10, v175, v161
	v_mul_f32_e32 v17, v174, v161
	v_fma_f32 v10, v174, v182, -v10
	v_fmac_f32_e32 v17, v175, v182
	v_sub_f32_e32 v8, v8, v10
	v_sub_f32_e32 v7, v7, v17
	buffer_load_dword v18, off, s[0:3], 0 offset:124
	buffer_load_dword v17, off, s[0:3], 0 offset:124
	;; [unrolled: 1-line block ×14, first 2 shown]
	s_waitcnt vmcnt(31) lgkmcnt(0)
	v_mul_f32_e32 v174, v180, v183
	v_mul_f32_e32 v10, v181, v183
	s_waitcnt vmcnt(23)
	v_fmac_f32_e32 v174, v181, v184
	v_fma_f32 v10, v180, v184, -v10
	v_sub_f32_e32 v7, v7, v174
	v_sub_f32_e32 v8, v8, v10
	v_mul_f32_e32 v10, v179, v7
	v_mul_f32_e32 v191, v178, v7
	v_fma_f32 v190, v178, v8, -v10
	v_fmac_f32_e32 v191, v179, v8
	ds_read_b128 v[174:177], v170 offset:3808
	ds_read_b128 v[178:181], v170 offset:3824
	buffer_store_dword v190, off, s[0:3], 0 offset:128
	buffer_store_dword v191, off, s[0:3], 0 offset:132
	ds_read_b128 v[182:185], v170 offset:3776
	ds_read_b128 v[186:189], v170 offset:3792
	s_waitcnt lgkmcnt(2)
	v_mul_f32_e32 v7, v181, v192
	v_fma_f32 v7, v180, v193, -v7
	v_mul_f32_e32 v10, v179, v194
	v_mul_f32_e32 v8, v180, v192
	v_fma_f32 v10, v178, v195, -v10
	v_fmac_f32_e32 v8, v181, v193
	v_mul_f32_e32 v178, v178, v194
	v_fmac_f32_e32 v178, v179, v195
	s_waitcnt vmcnt(17)
	v_sub_f32_e32 v7, v201, v7
	v_sub_f32_e32 v7, v7, v10
	v_mul_f32_e32 v10, v177, v196
	s_waitcnt vmcnt(16)
	v_sub_f32_e32 v8, v202, v8
	v_fma_f32 v10, v176, v144, -v10
	v_mul_f32_e32 v176, v176, v196
	v_sub_f32_e32 v8, v8, v178
	v_fmac_f32_e32 v176, v177, v144
	v_mul_f32_e32 v144, v174, v146
	v_sub_f32_e32 v7, v7, v10
	v_sub_f32_e32 v8, v8, v176
	v_mul_f32_e32 v10, v175, v146
	v_fmac_f32_e32 v144, v175, v151
	v_fma_f32 v10, v174, v151, -v10
	v_sub_f32_e32 v8, v8, v144
	s_waitcnt lgkmcnt(0)
	v_mul_f32_e32 v144, v188, v153
	buffer_load_dword v151, off, s[0:3], 0 offset:132
	v_sub_f32_e32 v7, v7, v10
	v_mul_f32_e32 v10, v189, v153
	v_fmac_f32_e32 v144, v189, v159
	buffer_load_dword v153, off, s[0:3], 0 offset:128
	v_sub_f32_e32 v8, v8, v144
	v_mul_f32_e32 v144, v186, v160
	v_fmac_f32_e32 v144, v187, v162
	v_sub_f32_e32 v8, v8, v144
	v_mul_f32_e32 v144, v184, v197
	v_fmac_f32_e32 v144, v185, v198
	;; [unrolled: 3-line block ×3, first 2 shown]
	v_fma_f32 v10, v188, v159, -v10
	ds_read_b128 v[174:177], v170 offset:3760
	ds_read_b128 v[178:181], v170 offset:3744
	v_sub_f32_e32 v8, v8, v144
	buffer_load_dword v144, off, s[0:3], 0 offset:144
	buffer_load_dword v159, off, s[0:3], 0 offset:148
	v_sub_f32_e32 v7, v7, v10
	v_mul_f32_e32 v10, v187, v160
	v_fma_f32 v10, v186, v162, -v10
	v_sub_f32_e32 v7, v7, v10
	v_mul_f32_e32 v10, v185, v197
	v_fma_f32 v10, v184, v198, -v10
	;; [unrolled: 3-line block ×3, first 2 shown]
	v_sub_f32_e32 v7, v7, v10
	s_waitcnt lgkmcnt(1)
	v_mul_f32_e32 v10, v177, v15
	v_fma_f32 v10, v176, v14, -v10
	v_mul_f32_e32 v15, v176, v15
	v_fmac_f32_e32 v15, v177, v14
	v_sub_f32_e32 v7, v7, v10
	v_mul_f32_e32 v10, v175, v9
	v_mul_f32_e32 v9, v174, v9
	v_sub_f32_e32 v8, v8, v15
	v_fma_f32 v10, v174, v16, -v10
	v_fmac_f32_e32 v9, v175, v16
	v_sub_f32_e32 v14, v7, v10
	v_sub_f32_e32 v15, v8, v9
	ds_read_b128 v[7:10], v170 offset:3712
	ds_read_b128 v[174:177], v170 offset:3728
	s_waitcnt lgkmcnt(2)
	v_mul_f32_e32 v16, v181, v45
	v_fma_f32 v16, v180, v55, -v16
	v_sub_f32_e32 v14, v14, v16
	v_mul_f32_e32 v16, v179, v76
	v_mul_f32_e32 v45, v180, v45
	v_fma_f32 v16, v178, v83, -v16
	v_fmac_f32_e32 v45, v181, v55
	v_sub_f32_e32 v14, v14, v16
	s_waitcnt lgkmcnt(0)
	v_mul_f32_e32 v16, v177, v88
	v_sub_f32_e32 v15, v15, v45
	v_mul_f32_e32 v45, v178, v76
	v_fma_f32 v16, v176, v112, -v16
	v_fmac_f32_e32 v45, v179, v83
	v_sub_f32_e32 v14, v14, v16
	v_mul_f32_e32 v16, v175, v119
	v_sub_f32_e32 v15, v15, v45
	v_mul_f32_e32 v45, v176, v88
	v_fma_f32 v16, v174, v141, -v16
	v_fmac_f32_e32 v45, v177, v112
	v_sub_f32_e32 v14, v14, v16
	v_mul_f32_e32 v16, v10, v34
	v_sub_f32_e32 v15, v15, v45
	v_mul_f32_e32 v45, v174, v119
	v_fma_f32 v16, v9, v51, -v16
	v_mul_f32_e32 v9, v9, v34
	v_fmac_f32_e32 v45, v175, v141
	v_fmac_f32_e32 v9, v10, v51
	v_sub_f32_e32 v10, v14, v16
	s_waitcnt vmcnt(19)
	v_mul_f32_e32 v14, v8, v18
	v_sub_f32_e32 v15, v15, v45
	s_waitcnt vmcnt(12)
	v_fma_f32 v14, v7, v33, -v14
	v_mul_f32_e32 v7, v7, v18
	v_sub_f32_e32 v9, v15, v9
	v_fmac_f32_e32 v7, v8, v33
	v_sub_f32_e32 v15, v10, v14
	v_sub_f32_e32 v16, v9, v7
	ds_read_b128 v[175:178], v170 offset:3696
	ds_read_b128 v[7:10], v170 offset:3312
	buffer_load_dword v14, off, s[0:3], 0 offset:132
	buffer_load_dword v162, off, s[0:3], 0 offset:132
	;; [unrolled: 1-line block ×15, first 2 shown]
	s_waitcnt vmcnt(18) lgkmcnt(1)
	v_mul_f32_e32 v45, v177, v151
	v_mul_f32_e32 v18, v178, v151
	s_waitcnt vmcnt(17)
	v_fmac_f32_e32 v45, v178, v153
	v_fma_f32 v18, v177, v153, -v18
	v_sub_f32_e32 v16, v16, v45
	v_sub_f32_e32 v18, v15, v18
	v_mul_f32_e32 v15, v176, v16
	v_mul_f32_e32 v16, v175, v16
	v_fma_f32 v15, v175, v18, -v15
	v_fmac_f32_e32 v16, v176, v18
	buffer_load_dword v153, off, s[0:3], 0 offset:64
	s_nop 0
	buffer_store_dword v15, off, s[0:3], 0 offset:136
	buffer_store_dword v16, off, s[0:3], 0 offset:140
	ds_write2_b64 v171, v[15:16], v[190:191] offset0:192 offset1:224
	v_mul_f32_e32 v15, v6, v58
	v_fma_f32 v15, v5, v163, -v15
	v_mul_f32_e32 v5, v5, v58
	v_fmac_f32_e32 v5, v6, v163
	s_waitcnt vmcnt(18)
	v_sub_f32_e32 v5, v159, v5
	buffer_load_dword v159, off, s[0:3], 0 offset:72
	v_mov_b32_e32 v6, 0xde8
	ds_read2_b64 v[175:178], v6 offset1:1
	v_sub_f32_e32 v6, v144, v15
	v_mov_b32_e32 v15, 0xdd8
	ds_read2_b64 v[179:182], v15 offset1:1
	v_mov_b32_e32 v18, 0xdc8
	s_waitcnt lgkmcnt(1)
	v_mul_f32_e32 v15, v178, v164
	v_fma_f32 v15, v177, v165, -v15
	v_mul_f32_e32 v16, v177, v164
	v_sub_f32_e32 v6, v6, v15
	v_mul_f32_e32 v15, v176, v166
	v_fmac_f32_e32 v16, v178, v165
	v_fma_f32 v15, v175, v59, -v15
	v_sub_f32_e32 v5, v5, v16
	v_mul_f32_e32 v16, v175, v166
	v_sub_f32_e32 v6, v6, v15
	s_waitcnt lgkmcnt(0)
	v_mul_f32_e32 v15, v182, v91
	v_fmac_f32_e32 v16, v176, v59
	v_fma_f32 v15, v181, v92, -v15
	ds_read2_b64 v[163:166], v18 offset1:1
	v_sub_f32_e32 v5, v5, v16
	v_mul_f32_e32 v16, v181, v91
	v_sub_f32_e32 v6, v6, v15
	v_mul_f32_e32 v15, v180, v118
	v_fmac_f32_e32 v16, v182, v92
	v_fma_f32 v15, v179, v121, -v15
	v_sub_f32_e32 v5, v5, v16
	v_mul_f32_e32 v16, v179, v118
	v_sub_f32_e32 v6, v6, v15
	v_mov_b32_e32 v15, 0xdb8
	v_fmac_f32_e32 v16, v180, v121
	ds_read2_b64 v[175:178], v15 offset1:1
	v_sub_f32_e32 v5, v5, v16
	s_waitcnt lgkmcnt(1)
	v_mul_f32_e32 v15, v166, v123
	v_mul_f32_e32 v16, v165, v123
	v_fma_f32 v15, v165, v140, -v15
	v_fmac_f32_e32 v16, v166, v140
	v_sub_f32_e32 v6, v6, v15
	v_sub_f32_e32 v5, v5, v16
	v_mul_f32_e32 v15, v164, v167
	v_mul_f32_e32 v16, v163, v167
	v_fma_f32 v15, v163, v168, -v15
	v_fmac_f32_e32 v16, v164, v168
	v_sub_f32_e32 v6, v6, v15
	v_sub_f32_e32 v5, v5, v16
	s_waitcnt lgkmcnt(0)
	v_mul_f32_e32 v15, v178, v172
	v_mul_f32_e32 v16, v177, v172
	v_fma_f32 v15, v177, v173, -v15
	v_fmac_f32_e32 v16, v178, v173
	v_mov_b32_e32 v123, 0xda8
	v_sub_f32_e32 v18, v6, v15
	v_sub_f32_e32 v58, v5, v16
	buffer_load_dword v168, off, s[0:3], 0 offset:68
	buffer_load_dword v5, off, s[0:3], 0 offset:68
	;; [unrolled: 1-line block ×15, first 2 shown]
	ds_read2_b64 v[164:167], v123 offset1:1
	s_waitcnt vmcnt(26)
	v_mul_f32_e32 v59, v176, v183
	v_mul_f32_e32 v92, v175, v183
	s_waitcnt vmcnt(18)
	v_fma_f32 v59, v175, v153, -v59
	v_sub_f32_e32 v59, v18, v59
	v_mov_b32_e32 v18, 0xd98
	v_fmac_f32_e32 v92, v176, v153
	ds_read2_b64 v[175:178], v18 offset1:1
	s_waitcnt lgkmcnt(1)
	v_mul_f32_e32 v179, v167, v11
	v_sub_f32_e32 v140, v58, v92
	buffer_load_dword v180, off, s[0:3], 0 offset:136
	buffer_load_dword v187, off, s[0:3], 0 offset:72
	;; [unrolled: 1-line block ×8, first 2 shown]
	s_waitcnt vmcnt(23)
	v_fma_f32 v179, v166, v159, -v179
	v_sub_f32_e32 v59, v59, v179
	buffer_load_dword v179, off, s[0:3], 0 offset:152
	buffer_load_dword v181, off, s[0:3], 0 offset:156
	v_mul_f32_e32 v11, v166, v11
	v_fmac_f32_e32 v11, v167, v159
	v_sub_f32_e32 v11, v140, v11
	v_mul_f32_e32 v140, v165, v12
	v_mul_f32_e32 v12, v164, v12
	v_fmac_f32_e32 v12, v165, v13
	v_sub_f32_e32 v11, v11, v12
	s_waitcnt lgkmcnt(0)
	v_mul_f32_e32 v12, v178, v19
	v_mul_f32_e32 v19, v177, v19
	v_fma_f32 v140, v164, v13, -v140
	v_fma_f32 v12, v177, v42, -v12
	v_fmac_f32_e32 v19, v178, v42
	v_mov_b32_e32 v42, 0xd88
	v_sub_f32_e32 v13, v59, v140
	ds_read2_b64 v[164:167], v42 offset1:1
	v_sub_f32_e32 v12, v13, v12
	v_mul_f32_e32 v13, v176, v80
	v_fma_f32 v13, v175, v94, -v13
	v_sub_f32_e32 v11, v11, v19
	v_mul_f32_e32 v19, v175, v80
	v_sub_f32_e32 v12, v12, v13
	v_mov_b32_e32 v13, 0xd78
	v_fmac_f32_e32 v19, v176, v94
	ds_read2_b64 v[175:178], v13 offset1:1
	s_waitcnt lgkmcnt(1)
	v_mul_f32_e32 v13, v167, v101
	v_fma_f32 v13, v166, v124, -v13
	v_sub_f32_e32 v11, v11, v19
	v_mul_f32_e32 v19, v166, v101
	v_sub_f32_e32 v12, v12, v13
	v_mul_f32_e32 v13, v165, v20
	v_fmac_f32_e32 v19, v167, v124
	v_fma_f32 v13, v164, v62, -v13
	v_sub_f32_e32 v11, v11, v19
	v_mul_f32_e32 v19, v164, v20
	v_sub_f32_e32 v12, v12, v13
	s_waitcnt lgkmcnt(0)
	v_mul_f32_e32 v13, v178, v17
	v_fmac_f32_e32 v19, v165, v62
	v_fma_f32 v13, v177, v156, -v13
	v_mul_f32_e32 v17, v177, v17
	v_sub_f32_e32 v11, v11, v19
	v_fmac_f32_e32 v17, v178, v156
	v_sub_f32_e32 v12, v12, v13
	v_mul_f32_e32 v13, v176, v14
	v_mul_f32_e32 v14, v175, v14
	v_sub_f32_e32 v11, v11, v17
	v_fma_f32 v13, v175, v184, -v13
	v_fmac_f32_e32 v14, v176, v184
	v_sub_f32_e32 v42, v12, v13
	v_sub_f32_e32 v80, v11, v14
	v_mov_b32_e32 v11, 0xd68
	v_mov_b32_e32 v12, 0xbe8
	ds_read2_b64 v[175:178], v11 offset1:1
	ds_read2_b64 v[11:14], v12 offset1:1
	buffer_load_dword v20, off, s[0:3], 0 offset:80
	buffer_load_dword v188, off, s[0:3], 0 offset:140
	buffer_load_dword v164, off, s[0:3], 0 offset:140
	buffer_load_dword v156, off, s[0:3], 0 offset:140
	buffer_load_dword v124, off, s[0:3], 0 offset:140
	buffer_load_dword v94, off, s[0:3], 0 offset:140
	buffer_load_dword v59, off, s[0:3], 0 offset:140
	buffer_load_dword v17, off, s[0:3], 0 offset:140
	buffer_load_dword v189, off, s[0:3], 0 offset:76
	buffer_load_dword v190, off, s[0:3], 0 offset:136
	buffer_load_dword v165, off, s[0:3], 0 offset:136
	buffer_load_dword v159, off, s[0:3], 0 offset:136
	buffer_load_dword v140, off, s[0:3], 0 offset:136
	buffer_load_dword v101, off, s[0:3], 0 offset:136
	buffer_load_dword v62, off, s[0:3], 0 offset:136
	buffer_load_dword v19, off, s[0:3], 0 offset:136
	s_waitcnt vmcnt(26) lgkmcnt(1)
	v_mul_f32_e32 v167, v177, v173
	v_mul_f32_e32 v166, v178, v173
	s_waitcnt vmcnt(25)
	v_fmac_f32_e32 v167, v178, v180
	v_fma_f32 v166, v177, v180, -v166
	v_sub_f32_e32 v80, v80, v167
	v_sub_f32_e32 v42, v42, v166
	v_mul_f32_e32 v166, v176, v80
	v_mul_f32_e32 v167, v175, v80
	v_fma_f32 v166, v175, v42, -v166
	v_fmac_f32_e32 v167, v176, v42
	v_mul_f32_e32 v42, v10, v145
	v_fma_f32 v42, v9, v147, -v42
	v_mul_f32_e32 v9, v9, v145
	v_fmac_f32_e32 v9, v10, v147
	buffer_store_dword v166, off, s[0:3], 0 offset:144
	buffer_store_dword v167, off, s[0:3], 0 offset:148
	s_waitcnt vmcnt(18)
	v_sub_f32_e32 v80, v181, v9
	v_mul_f32_e32 v9, v8, v148
	v_mul_f32_e32 v147, v7, v148
	v_fma_f32 v145, v7, v149, -v9
	v_fmac_f32_e32 v147, v8, v149
	ds_read_b128 v[7:10], v170 offset:3280
	ds_read_b128 v[175:178], v170 offset:3296
	v_sub_f32_e32 v42, v179, v42
	v_sub_f32_e32 v42, v42, v145
	;; [unrolled: 1-line block ×3, first 2 shown]
	ds_read_b128 v[179:182], v170 offset:3248
	ds_read_b128 v[183:186], v170 offset:3264
	s_waitcnt lgkmcnt(2)
	v_mul_f32_e32 v145, v178, v150
	v_mul_f32_e32 v147, v177, v150
	v_fma_f32 v145, v177, v114, -v145
	v_fmac_f32_e32 v147, v178, v114
	v_mul_f32_e32 v114, v176, v125
	v_sub_f32_e32 v42, v42, v145
	v_fma_f32 v114, v175, v127, -v114
	buffer_load_dword v145, off, s[0:3], 0 offset:148
	v_sub_f32_e32 v42, v42, v114
	v_mul_f32_e32 v114, v10, v129
	v_mul_f32_e32 v125, v175, v125
	v_fma_f32 v114, v9, v131, -v114
	v_mul_f32_e32 v9, v9, v129
	v_sub_f32_e32 v80, v80, v147
	v_fmac_f32_e32 v125, v176, v127
	v_fmac_f32_e32 v9, v10, v131
	v_sub_f32_e32 v10, v42, v114
	v_mul_f32_e32 v42, v8, v133
	v_sub_f32_e32 v80, v80, v125
	v_fma_f32 v42, v7, v134, -v42
	v_mul_f32_e32 v7, v7, v133
	v_sub_f32_e32 v9, v80, v9
	v_fmac_f32_e32 v7, v8, v134
	v_sub_f32_e32 v8, v10, v42
	v_sub_f32_e32 v7, v9, v7
	s_waitcnt lgkmcnt(0)
	v_mul_f32_e32 v9, v186, v152
	v_mul_f32_e32 v10, v185, v152
	v_fma_f32 v9, v185, v154, -v9
	v_fmac_f32_e32 v10, v186, v154
	buffer_load_dword v152, off, s[0:3], 0 offset:144
	buffer_load_dword v154, off, s[0:3], 0 offset:76
	;; [unrolled: 1-line block ×7, first 2 shown]
	v_sub_f32_e32 v7, v7, v10
	v_mul_f32_e32 v10, v183, v155
	v_sub_f32_e32 v8, v8, v9
	v_mul_f32_e32 v9, v184, v155
	v_fmac_f32_e32 v10, v184, v157
	v_fma_f32 v9, v183, v157, -v9
	v_sub_f32_e32 v7, v7, v10
	v_mul_f32_e32 v10, v181, v168
	v_sub_f32_e32 v8, v8, v9
	v_mul_f32_e32 v9, v182, v168
	v_fmac_f32_e32 v10, v182, v172
	v_fma_f32 v9, v181, v172, -v9
	v_sub_f32_e32 v129, v7, v10
	s_waitcnt vmcnt(17)
	v_mul_f32_e32 v7, v180, v189
	v_sub_f32_e32 v125, v8, v9
	v_fma_f32 v131, v179, v187, -v7
	ds_read_b128 v[7:10], v170 offset:3232
	ds_read_b128 v[147:150], v170 offset:3216
	buffer_load_dword v155, off, s[0:3], 0 offset:160
	buffer_load_dword v157, off, s[0:3], 0 offset:164
	v_mul_f32_e32 v134, v179, v189
	v_sub_f32_e32 v125, v125, v131
	s_waitcnt lgkmcnt(1)
	v_mul_f32_e32 v131, v10, v21
	v_fmac_f32_e32 v134, v180, v187
	v_fma_f32 v131, v9, v22, -v131
	v_mul_f32_e32 v9, v9, v21
	v_mul_f32_e32 v21, v8, v31
	v_sub_f32_e32 v129, v129, v134
	v_fmac_f32_e32 v9, v10, v22
	v_fma_f32 v21, v7, v53, -v21
	v_mul_f32_e32 v7, v7, v31
	v_sub_f32_e32 v10, v125, v131
	v_sub_f32_e32 v9, v129, v9
	v_fmac_f32_e32 v7, v8, v53
	v_sub_f32_e32 v21, v10, v21
	v_sub_f32_e32 v22, v9, v7
	ds_read_b128 v[7:10], v170 offset:3184
	ds_read_b128 v[175:178], v170 offset:3200
	s_waitcnt lgkmcnt(2)
	v_mul_f32_e32 v31, v150, v81
	v_fma_f32 v31, v149, v93, -v31
	v_sub_f32_e32 v21, v21, v31
	v_mul_f32_e32 v31, v148, v113
	v_mul_f32_e32 v53, v149, v81
	v_fma_f32 v31, v147, v117, -v31
	v_fmac_f32_e32 v53, v150, v93
	v_sub_f32_e32 v21, v21, v31
	s_waitcnt lgkmcnt(0)
	v_mul_f32_e32 v31, v178, v136
	v_sub_f32_e32 v22, v22, v53
	v_mul_f32_e32 v53, v147, v113
	v_fma_f32 v31, v177, v142, -v31
	v_fmac_f32_e32 v53, v148, v117
	v_sub_f32_e32 v21, v21, v31
	v_mul_f32_e32 v31, v176, v158
	v_sub_f32_e32 v22, v22, v53
	v_mul_f32_e32 v53, v177, v136
	v_fma_f32 v31, v175, v161, -v31
	v_fmac_f32_e32 v53, v178, v142
	v_sub_f32_e32 v21, v21, v31
	v_mul_f32_e32 v31, v10, v162
	v_sub_f32_e32 v22, v22, v53
	v_mul_f32_e32 v53, v175, v158
	v_fma_f32 v31, v9, v174, -v31
	v_mul_f32_e32 v9, v9, v162
	v_fmac_f32_e32 v53, v176, v161
	v_fmac_f32_e32 v9, v10, v174
	v_sub_f32_e32 v10, v21, v31
	v_mul_f32_e32 v21, v8, v188
	v_sub_f32_e32 v22, v22, v53
	s_waitcnt vmcnt(18)
	v_fma_f32 v21, v7, v190, -v21
	v_mul_f32_e32 v7, v7, v188
	v_sub_f32_e32 v9, v22, v9
	v_fmac_f32_e32 v7, v8, v190
	v_sub_f32_e32 v136, v10, v21
	v_sub_f32_e32 v142, v9, v7
	ds_read_b128 v[147:150], v170 offset:3168
	ds_read_b128 v[7:10], v170 offset:2800
	buffer_load_dword v158, off, s[0:3], 0 offset:148
	buffer_load_dword v131, off, s[0:3], 0 offset:148
	;; [unrolled: 1-line block ×14, first 2 shown]
	s_waitcnt vmcnt(23) lgkmcnt(1)
	v_mul_f32_e32 v161, v150, v145
	v_mul_f32_e32 v145, v149, v145
	s_waitcnt vmcnt(22)
	v_fmac_f32_e32 v145, v150, v152
	v_fma_f32 v161, v149, v152, -v161
	v_sub_f32_e32 v142, v142, v145
	v_sub_f32_e32 v136, v136, v161
	v_mul_f32_e32 v145, v148, v142
	v_fma_f32 v149, v147, v136, -v145
	v_mul_f32_e32 v150, v147, v142
	buffer_load_dword v152, off, s[0:3], 0 offset:84
	v_fmac_f32_e32 v150, v148, v136
	buffer_store_dword v149, off, s[0:3], 0 offset:152
	buffer_store_dword v150, off, s[0:3], 0 offset:156
	buffer_load_dword v136, off, s[0:3], 0 offset:80
	v_mul_f32_e32 v142, v4, v120
	v_fma_f32 v142, v3, v122, -v142
	v_mul_f32_e32 v3, v3, v120
	v_mul_f32_e32 v120, v14, v126
	v_fmac_f32_e32 v3, v4, v122
	v_fma_f32 v120, v13, v128, -v120
	v_mul_f32_e32 v13, v13, v126
	v_fmac_f32_e32 v13, v14, v128
	s_waitcnt vmcnt(19)
	v_sub_f32_e32 v4, v155, v142
	s_waitcnt vmcnt(18)
	v_sub_f32_e32 v3, v157, v3
	v_sub_f32_e32 v3, v3, v13
	v_mul_f32_e32 v13, v12, v130
	v_sub_f32_e32 v4, v4, v120
	v_fma_f32 v120, v11, v90, -v13
	v_mul_f32_e32 v122, v11, v130
	v_mov_b32_e32 v11, 0xbd8
	v_fmac_f32_e32 v122, v12, v90
	ds_read2_b64 v[11:14], v11 offset1:1
	v_mov_b32_e32 v90, 0xbc8
	ds_write2_b64 v171, v[149:150], v[166:167] offset0:128 offset1:160
	ds_read2_b64 v[147:150], v90 offset1:1
	v_sub_f32_e32 v3, v3, v122
	s_waitcnt lgkmcnt(2)
	v_mul_f32_e32 v90, v14, v99
	v_fma_f32 v90, v13, v102, -v90
	v_mul_f32_e32 v13, v13, v99
	v_fmac_f32_e32 v13, v14, v102
	v_sub_f32_e32 v3, v3, v13
	v_mul_f32_e32 v13, v12, v104
	v_fma_f32 v13, v11, v106, -v13
	v_mul_f32_e32 v11, v11, v104
	v_sub_f32_e32 v4, v4, v120
	v_fmac_f32_e32 v11, v12, v106
	v_sub_f32_e32 v4, v4, v90
	v_sub_f32_e32 v3, v3, v11
	s_waitcnt lgkmcnt(0)
	v_mul_f32_e32 v11, v150, v107
	v_sub_f32_e32 v4, v4, v13
	v_fma_f32 v11, v149, v111, -v11
	v_mul_f32_e32 v12, v149, v107
	v_sub_f32_e32 v4, v4, v11
	v_mul_f32_e32 v11, v148, v132
	v_fmac_f32_e32 v12, v150, v111
	v_fma_f32 v90, v147, v135, -v11
	v_mov_b32_e32 v11, 0xbb8
	v_sub_f32_e32 v3, v3, v12
	ds_read2_b64 v[11:14], v11 offset1:1
	v_mul_f32_e32 v99, v147, v132
	v_sub_f32_e32 v4, v4, v90
	v_mov_b32_e32 v90, 0xba8
	v_fmac_f32_e32 v99, v148, v135
	ds_read2_b64 v[147:150], v90 offset1:1
	s_waitcnt lgkmcnt(1)
	v_mul_f32_e32 v90, v14, v137
	v_fma_f32 v90, v13, v139, -v90
	v_sub_f32_e32 v3, v3, v99
	v_sub_f32_e32 v4, v4, v90
	buffer_load_dword v120, off, s[0:3], 0 offset:84
	buffer_load_dword v107, off, s[0:3], 0 offset:84
	;; [unrolled: 1-line block ×10, first 2 shown]
	v_mul_f32_e32 v13, v13, v137
	v_fmac_f32_e32 v13, v14, v139
	v_sub_f32_e32 v3, v3, v13
	v_mul_f32_e32 v13, v12, v5
	v_mul_f32_e32 v5, v11, v5
	v_fma_f32 v13, v11, v6, -v13
	v_fmac_f32_e32 v5, v12, v6
	s_waitcnt lgkmcnt(0)
	v_mul_f32_e32 v6, v149, v154
	v_sub_f32_e32 v3, v3, v5
	v_fmac_f32_e32 v6, v150, v163
	v_mul_f32_e32 v5, v150, v154
	v_sub_f32_e32 v12, v3, v6
	v_sub_f32_e32 v4, v4, v13
	v_fma_f32 v5, v149, v163, -v5
	v_sub_f32_e32 v11, v4, v5
	s_waitcnt vmcnt(13)
	v_mul_f32_e32 v3, v148, v152
	v_mul_f32_e32 v14, v147, v152
	s_waitcnt vmcnt(10)
	v_fma_f32 v13, v147, v136, -v3
	v_mov_b32_e32 v3, 0xb98
	ds_read2_b64 v[3:6], v3 offset1:1
	v_fmac_f32_e32 v14, v148, v136
	v_sub_f32_e32 v106, v11, v13
	v_mov_b32_e32 v11, 0xb88
	v_sub_f32_e32 v130, v12, v14
	ds_read2_b64 v[11:14], v11 offset1:1
	s_waitcnt lgkmcnt(1)
	v_mul_f32_e32 v132, v6, v56
	v_fma_f32 v132, v5, v57, -v132
	v_mul_f32_e32 v5, v5, v56
	v_mul_f32_e32 v56, v4, v64
	v_fmac_f32_e32 v5, v6, v57
	v_sub_f32_e32 v6, v106, v132
	v_fma_f32 v56, v3, v85, -v56
	v_mul_f32_e32 v3, v3, v64
	v_sub_f32_e32 v5, v130, v5
	v_fmac_f32_e32 v3, v4, v85
	v_sub_f32_e32 v4, v6, v56
	s_waitcnt lgkmcnt(0)
	v_mul_f32_e32 v6, v13, v86
	v_sub_f32_e32 v3, v5, v3
	v_fmac_f32_e32 v6, v14, v87
	v_mul_f32_e32 v5, v14, v86
	v_sub_f32_e32 v14, v3, v6
	v_mul_f32_e32 v3, v12, v110
	v_fma_f32 v5, v13, v87, -v5
	v_fma_f32 v56, v11, v116, -v3
	v_mov_b32_e32 v3, 0xb78
	buffer_load_dword v130, off, s[0:3], 0 offset:168
	buffer_load_dword v132, off, s[0:3], 0 offset:172
	v_sub_f32_e32 v13, v4, v5
	ds_read2_b64 v[3:6], v3 offset1:1
	v_mul_f32_e32 v11, v11, v110
	v_fmac_f32_e32 v11, v12, v116
	v_sub_f32_e32 v57, v14, v11
	v_mov_b32_e32 v11, 0xb68
	v_sub_f32_e32 v56, v13, v56
	ds_read2_b64 v[11:14], v11 offset1:1
	s_waitcnt lgkmcnt(1)
	v_mul_f32_e32 v64, v6, v138
	v_fma_f32 v64, v5, v143, -v64
	v_mul_f32_e32 v5, v5, v138
	v_fmac_f32_e32 v5, v6, v143
	v_sub_f32_e32 v6, v56, v64
	v_mul_f32_e32 v56, v4, v146
	v_fma_f32 v56, v3, v160, -v56
	v_mul_f32_e32 v3, v3, v146
	v_sub_f32_e32 v5, v57, v5
	v_fmac_f32_e32 v3, v4, v160
	v_sub_f32_e32 v4, v6, v56
	v_sub_f32_e32 v3, v5, v3
	s_waitcnt lgkmcnt(0)
	v_mul_f32_e32 v5, v14, v164
	v_mul_f32_e32 v6, v13, v164
	v_fma_f32 v5, v13, v165, -v5
	v_fmac_f32_e32 v6, v14, v165
	v_sub_f32_e32 v4, v4, v5
	v_sub_f32_e32 v3, v3, v6
	v_mul_f32_e32 v5, v12, v158
	v_mul_f32_e32 v6, v11, v158
	v_fma_f32 v5, v11, v162, -v5
	v_fmac_f32_e32 v6, v12, v162
	v_sub_f32_e32 v116, v4, v5
	v_sub_f32_e32 v139, v3, v6
	v_mov_b32_e32 v3, 0xb58
	v_mov_b32_e32 v4, 0x9e8
	ds_read2_b64 v[135:138], v3 offset1:1
	ds_read2_b64 v[3:6], v4 offset1:1
	buffer_load_dword v150, off, s[0:3], 0 offset:156
	buffer_load_dword v106, off, s[0:3], 0 offset:156
	;; [unrolled: 1-line block ×14, first 2 shown]
	s_waitcnt vmcnt(21) lgkmcnt(1)
	v_mul_f32_e32 v142, v138, v122
	v_mul_f32_e32 v122, v137, v122
	s_waitcnt vmcnt(16)
	v_fmac_f32_e32 v122, v138, v128
	v_fma_f32 v142, v137, v128, -v142
	v_sub_f32_e32 v122, v139, v122
	v_sub_f32_e32 v116, v116, v142
	v_mul_f32_e32 v128, v136, v122
	v_mul_f32_e32 v155, v135, v122
	v_fma_f32 v154, v135, v116, -v128
	v_fmac_f32_e32 v155, v136, v116
	buffer_load_dword v116, off, s[0:3], 0 offset:92
	buffer_load_dword v128, off, s[0:3], 0 offset:88
	v_mul_f32_e32 v122, v10, v89
	ds_read_b128 v[135:138], v170 offset:2784
	v_fma_f32 v122, v9, v95, -v122
	v_mul_f32_e32 v9, v9, v89
	v_mul_f32_e32 v89, v8, v96
	v_fmac_f32_e32 v9, v10, v95
	v_fma_f32 v89, v7, v97, -v89
	v_mul_f32_e32 v7, v7, v96
	v_fmac_f32_e32 v7, v8, v97
	buffer_store_dword v154, off, s[0:3], 0 offset:160
	buffer_store_dword v155, off, s[0:3], 0 offset:164
	s_waitcnt vmcnt(19)
	v_sub_f32_e32 v10, v130, v122
	s_waitcnt vmcnt(18)
	v_sub_f32_e32 v9, v132, v9
	v_sub_f32_e32 v89, v10, v89
	;; [unrolled: 1-line block ×3, first 2 shown]
	ds_read_b128 v[7:10], v170 offset:2768
	s_waitcnt lgkmcnt(1)
	v_mul_f32_e32 v96, v138, v98
	v_mul_f32_e32 v97, v137, v98
	v_fma_f32 v96, v137, v60, -v96
	v_fmac_f32_e32 v97, v138, v60
	v_sub_f32_e32 v60, v89, v96
	v_sub_f32_e32 v89, v95, v97
	v_mul_f32_e32 v95, v136, v68
	v_fma_f32 v95, v135, v70, -v95
	v_mul_f32_e32 v68, v135, v68
	v_fmac_f32_e32 v68, v136, v70
	v_sub_f32_e32 v60, v60, v95
	ds_read_b128 v[135:138], v170 offset:2720
	ds_read_b128 v[95:98], v170 offset:2736
	ds_read_b128 v[145:148], v170 offset:2752
	s_waitcnt lgkmcnt(3)
	v_mul_f32_e32 v70, v10, v72
	v_fma_f32 v70, v9, v75, -v70
	v_mul_f32_e32 v9, v9, v72
	v_fmac_f32_e32 v9, v10, v75
	v_sub_f32_e32 v10, v60, v70
	v_mul_f32_e32 v60, v8, v77
	v_sub_f32_e32 v68, v89, v68
	v_fma_f32 v60, v7, v78, -v60
	v_mul_f32_e32 v7, v7, v77
	v_sub_f32_e32 v9, v68, v9
	v_fmac_f32_e32 v7, v8, v78
	v_sub_f32_e32 v8, v10, v60
	v_sub_f32_e32 v7, v9, v7
	s_waitcnt lgkmcnt(0)
	v_mul_f32_e32 v9, v148, v100
	v_mul_f32_e32 v10, v147, v100
	v_fma_f32 v9, v147, v103, -v9
	v_fmac_f32_e32 v10, v148, v103
	v_sub_f32_e32 v8, v8, v9
	v_sub_f32_e32 v7, v7, v10
	v_mul_f32_e32 v9, v146, v105
	v_mul_f32_e32 v10, v145, v105
	v_fma_f32 v9, v145, v108, -v9
	v_fmac_f32_e32 v10, v146, v108
	v_sub_f32_e32 v8, v8, v9
	v_sub_f32_e32 v7, v7, v10
	;; [unrolled: 6-line block ×4, first 2 shown]
	ds_read_b128 v[7:10], v170 offset:2704
	v_mul_f32_e32 v70, v138, v120
	v_fma_f32 v70, v137, v126, -v70
	s_waitcnt vmcnt(3)
	v_mul_f32_e32 v78, v136, v116
	v_mul_f32_e32 v72, v137, v120
	v_sub_f32_e32 v70, v60, v70
	s_waitcnt vmcnt(2)
	v_fma_f32 v78, v135, v128, -v78
	v_fmac_f32_e32 v72, v138, v126
	v_mul_f32_e32 v96, v135, v116
	v_sub_f32_e32 v70, v70, v78
	s_waitcnt lgkmcnt(0)
	v_mul_f32_e32 v78, v10, v48
	v_sub_f32_e32 v72, v68, v72
	v_fmac_f32_e32 v96, v136, v128
	v_fma_f32 v78, v9, v49, -v78
	v_mul_f32_e32 v9, v9, v48
	v_sub_f32_e32 v72, v72, v96
	v_fmac_f32_e32 v9, v10, v49
	v_sub_f32_e32 v49, v72, v9
	v_mul_f32_e32 v9, v8, v50
	v_mul_f32_e32 v50, v7, v50
	buffer_load_dword v75, off, s[0:3], 0 offset:164
	buffer_load_dword v77, off, s[0:3], 0 offset:160
	;; [unrolled: 1-line block ×8, first 2 shown]
	v_sub_f32_e32 v48, v70, v78
	buffer_load_dword v100, off, s[0:3], 0 offset:176
	buffer_load_dword v103, off, s[0:3], 0 offset:180
	v_fma_f32 v70, v7, v52, -v9
	v_fmac_f32_e32 v50, v8, v52
	ds_read_b128 v[7:10], v170 offset:2672
	ds_read_b128 v[135:138], v170 offset:2688
	v_sub_f32_e32 v49, v49, v50
	v_sub_f32_e32 v48, v48, v70
	ds_read_b128 v[142:145], v170 offset:2640
	ds_read_b128 v[146:149], v170 offset:2656
	s_waitcnt lgkmcnt(2)
	v_mul_f32_e32 v50, v138, v79
	v_fma_f32 v50, v137, v84, -v50
	v_sub_f32_e32 v48, v48, v50
	v_mul_f32_e32 v50, v136, v109
	v_mul_f32_e32 v52, v137, v79
	v_fma_f32 v50, v135, v115, -v50
	v_fmac_f32_e32 v52, v138, v84
	v_sub_f32_e32 v48, v48, v50
	v_mul_f32_e32 v50, v10, v119
	v_sub_f32_e32 v49, v49, v52
	v_mul_f32_e32 v52, v135, v109
	v_fma_f32 v50, v9, v141, -v50
	v_mul_f32_e32 v9, v9, v119
	v_fmac_f32_e32 v52, v136, v115
	v_fmac_f32_e32 v9, v10, v141
	v_sub_f32_e32 v10, v48, v50
	v_mul_f32_e32 v48, v8, v156
	v_sub_f32_e32 v49, v49, v52
	v_fma_f32 v48, v7, v159, -v48
	v_mul_f32_e32 v7, v7, v156
	v_sub_f32_e32 v9, v49, v9
	v_fmac_f32_e32 v7, v8, v159
	v_sub_f32_e32 v8, v10, v48
	s_waitcnt lgkmcnt(0)
	v_mul_f32_e32 v10, v148, v131
	v_sub_f32_e32 v7, v9, v7
	v_fmac_f32_e32 v10, v149, v134
	v_sub_f32_e32 v7, v7, v10
	v_mul_f32_e32 v10, v146, v150
	v_fmac_f32_e32 v10, v147, v152
	v_sub_f32_e32 v84, v7, v10
	buffer_load_dword v105, off, s[0:3], 0 offset:164
	buffer_load_dword v79, off, s[0:3], 0 offset:164
	;; [unrolled: 1-line block ×7, first 2 shown]
	v_mul_f32_e32 v9, v149, v131
	v_fma_f32 v9, v148, v134, -v9
	v_sub_f32_e32 v8, v8, v9
	v_mul_f32_e32 v9, v147, v150
	v_fma_f32 v9, v146, v152, -v9
	v_sub_f32_e32 v78, v8, v9
	s_waitcnt vmcnt(16)
	v_mul_f32_e32 v108, v145, v75
	v_mul_f32_e32 v75, v144, v75
	s_waitcnt vmcnt(15)
	v_fmac_f32_e32 v75, v145, v77
	v_fma_f32 v108, v144, v77, -v108
	v_sub_f32_e32 v75, v84, v75
	v_sub_f32_e32 v108, v78, v108
	v_mul_f32_e32 v77, v143, v75
	v_mul_f32_e32 v78, v142, v75
	;; [unrolled: 1-line block ×3, first 2 shown]
	v_fma_f32 v75, v1, v61, -v75
	v_mul_f32_e32 v1, v1, v54
	v_mul_f32_e32 v54, v6, v63
	v_fmac_f32_e32 v1, v2, v61
	v_fma_f32 v54, v5, v65, -v54
	v_mul_f32_e32 v5, v5, v63
	s_waitcnt vmcnt(7)
	v_sub_f32_e32 v1, v103, v1
	v_fmac_f32_e32 v5, v6, v65
	v_fma_f32 v77, v142, v108, -v77
	v_sub_f32_e32 v2, v100, v75
	v_sub_f32_e32 v5, v1, v5
	v_mul_f32_e32 v1, v4, v66
	v_mul_f32_e32 v61, v3, v66
	v_fmac_f32_e32 v78, v143, v108
	v_sub_f32_e32 v2, v2, v54
	v_fma_f32 v1, v3, v35, -v1
	v_fmac_f32_e32 v61, v4, v35
	v_sub_f32_e32 v35, v2, v1
	v_mov_b32_e32 v1, 0x9d8
	v_sub_f32_e32 v5, v5, v61
	v_mov_b32_e32 v61, 0x9c8
	s_waitcnt vmcnt(0)
	buffer_store_dword v0, off, s[0:3], 0 offset:256 ; 4-byte Folded Spill
	buffer_load_dword v109, off, s[0:3], 0 offset:160
	buffer_load_dword v96, off, s[0:3], 0 offset:160
	;; [unrolled: 1-line block ×7, first 2 shown]
	s_nop 0
	buffer_store_dword v77, off, s[0:3], 0 offset:168
	buffer_store_dword v78, off, s[0:3], 0 offset:172
	buffer_load_dword v6, off, s[0:3], 0 offset:100
	buffer_load_dword v63, off, s[0:3], 0 offset:108
	ds_read2_b64 v[1:4], v1 offset1:1
	ds_read2_b64 v[130:133], v61 offset1:1
	buffer_load_dword v61, off, s[0:3], 0 offset:104
	buffer_load_dword v54, off, s[0:3], 0 offset:96
	ds_write2_b64 v171, v[77:78], v[154:155] offset0:64 offset1:96
	s_waitcnt lgkmcnt(2)
	v_mul_f32_e32 v65, v4, v36
	v_fma_f32 v65, v3, v37, -v65
	v_mul_f32_e32 v3, v3, v36
	v_fmac_f32_e32 v3, v4, v37
	v_sub_f32_e32 v3, v5, v3
	v_mul_f32_e32 v5, v2, v38
	v_sub_f32_e32 v4, v35, v65
	v_fma_f32 v5, v1, v39, -v5
	v_mul_f32_e32 v1, v1, v38
	v_fmac_f32_e32 v1, v2, v39
	v_sub_f32_e32 v2, v4, v5
	s_waitcnt lgkmcnt(1)
	v_mul_f32_e32 v4, v132, v40
	v_sub_f32_e32 v1, v3, v1
	v_fmac_f32_e32 v4, v133, v41
	v_mul_f32_e32 v3, v133, v40
	v_sub_f32_e32 v35, v1, v4
	v_mul_f32_e32 v1, v131, v67
	v_fma_f32 v3, v132, v41, -v3
	v_fma_f32 v36, v130, v69, -v1
	v_mov_b32_e32 v1, 0x9b8
	v_sub_f32_e32 v5, v2, v3
	ds_read2_b64 v[1:4], v1 offset1:1
	v_mul_f32_e32 v37, v130, v67
	v_fmac_f32_e32 v37, v131, v69
	v_sub_f32_e32 v39, v35, v37
	v_mov_b32_e32 v35, 0x9a8
	v_sub_f32_e32 v5, v5, v36
	ds_read2_b64 v[35:38], v35 offset1:1
	s_waitcnt lgkmcnt(1)
	v_mul_f32_e32 v40, v4, v71
	v_fma_f32 v40, v3, v74, -v40
	v_mul_f32_e32 v3, v3, v71
	v_fmac_f32_e32 v3, v4, v74
	v_sub_f32_e32 v4, v5, v40
	v_mul_f32_e32 v5, v2, v118
	v_fma_f32 v5, v1, v121, -v5
	v_mul_f32_e32 v1, v1, v118
	v_sub_f32_e32 v3, v39, v3
	v_fmac_f32_e32 v1, v2, v121
	v_sub_f32_e32 v2, v4, v5
	s_waitcnt lgkmcnt(0)
	v_mul_f32_e32 v4, v37, v127
	v_sub_f32_e32 v1, v3, v1
	v_mul_f32_e32 v3, v38, v127
	v_fmac_f32_e32 v4, v38, v123
	v_fma_f32 v3, v37, v123, -v3
	v_sub_f32_e32 v37, v1, v4
	v_mul_f32_e32 v1, v36, v107
	v_fma_f32 v38, v35, v111, -v1
	v_mov_b32_e32 v1, 0x998
	v_sub_f32_e32 v5, v2, v3
	ds_read2_b64 v[1:4], v1 offset1:1
	v_mul_f32_e32 v35, v35, v107
	v_fmac_f32_e32 v35, v36, v111
	v_sub_f32_e32 v39, v37, v35
	v_mov_b32_e32 v35, 0x988
	v_sub_f32_e32 v5, v5, v38
	ds_read2_b64 v[35:38], v35 offset1:1
	s_waitcnt lgkmcnt(1)
	v_mul_f32_e32 v40, v4, v97
	v_fma_f32 v40, v3, v98, -v40
	v_mul_f32_e32 v3, v3, v97
	v_fmac_f32_e32 v3, v4, v98
	v_sub_f32_e32 v4, v5, v40
	buffer_load_dword v100, off, s[0:3], 0 offset:100
	buffer_load_dword v75, off, s[0:3], 0 offset:100
	;; [unrolled: 1-line block ×4, first 2 shown]
	v_sub_f32_e32 v3, v39, v3
	s_waitcnt vmcnt(7)
	v_mul_f32_e32 v5, v2, v6
	s_waitcnt vmcnt(4)
	v_fma_f32 v5, v1, v54, -v5
	v_mul_f32_e32 v1, v1, v6
	v_fmac_f32_e32 v1, v2, v54
	buffer_load_dword v54, off, s[0:3], 0 offset:172
	buffer_load_dword v115, off, s[0:3], 0 offset:108
	;; [unrolled: 1-line block ×6, first 2 shown]
	v_sub_f32_e32 v2, v4, v5
	s_waitcnt lgkmcnt(0)
	v_mul_f32_e32 v4, v37, v63
	v_sub_f32_e32 v1, v3, v1
	v_fmac_f32_e32 v4, v38, v61
	v_mul_f32_e32 v3, v38, v63
	v_sub_f32_e32 v6, v1, v4
	v_mul_f32_e32 v1, v36, v46
	v_fma_f32 v3, v37, v61, -v3
	v_fma_f32 v37, v35, v47, -v1
	v_mul_f32_e32 v35, v35, v46
	v_fmac_f32_e32 v35, v36, v47
	v_sub_f32_e32 v5, v2, v3
	v_mov_b32_e32 v1, 0x978
	v_sub_f32_e32 v6, v6, v35
	v_mov_b32_e32 v35, 0x968
	ds_read2_b64 v[1:4], v1 offset1:1
	v_sub_f32_e32 v5, v5, v37
	ds_read2_b64 v[35:38], v35 offset1:1
	buffer_load_dword v46, off, s[0:3], 0 offset:184
	buffer_load_dword v47, off, s[0:3], 0 offset:188
	buffer_load_dword v61, off, s[0:3], 0 offset:16
	buffer_load_dword v66, off, s[0:3], 0 offset:28
	buffer_load_dword v69, off, s[0:3], 0 offset:36
	s_waitcnt lgkmcnt(1)
	v_mul_f32_e32 v39, v4, v73
	v_fma_f32 v39, v3, v82, -v39
	v_mul_f32_e32 v3, v3, v73
	v_fmac_f32_e32 v3, v4, v82
	v_sub_f32_e32 v4, v5, v39
	v_mul_f32_e32 v5, v2, v88
	v_fma_f32 v5, v1, v112, -v5
	v_mul_f32_e32 v1, v1, v88
	buffer_load_dword v82, off, s[0:3], 0 offset:44
	buffer_load_dword v88, off, s[0:3], 0 offset:40
	;; [unrolled: 1-line block ×4, first 2 shown]
	v_sub_f32_e32 v3, v6, v3
	v_fmac_f32_e32 v1, v2, v112
	v_sub_f32_e32 v2, v4, v5
	s_waitcnt lgkmcnt(0)
	v_mul_f32_e32 v4, v37, v124
	v_sub_f32_e32 v1, v3, v1
	v_mul_f32_e32 v3, v38, v124
	v_fmac_f32_e32 v4, v38, v140
	v_fma_f32 v3, v37, v140, -v3
	v_sub_f32_e32 v5, v1, v4
	v_mul_f32_e32 v1, v36, v125
	v_sub_f32_e32 v2, v2, v3
	v_fma_f32 v1, v35, v129, -v1
	v_mul_f32_e32 v6, v35, v125
	v_sub_f32_e32 v35, v2, v1
	v_mov_b32_e32 v1, 0x958
	ds_read2_b64 v[1:4], v1 offset1:1
	v_fmac_f32_e32 v6, v36, v129
	v_sub_f32_e32 v5, v5, v6
	v_mov_b32_e32 v6, 0x948
	ds_read2_b64 v[118:121], v6 offset1:1
	s_waitcnt lgkmcnt(1)
	v_mul_f32_e32 v6, v4, v106
	v_fma_f32 v6, v3, v110, -v6
	v_mul_f32_e32 v3, v3, v106
	v_fmac_f32_e32 v3, v4, v110
	v_sub_f32_e32 v3, v5, v3
	v_mul_f32_e32 v5, v2, v105
	v_sub_f32_e32 v4, v35, v6
	v_fma_f32 v5, v1, v109, -v5
	v_mul_f32_e32 v1, v1, v105
	v_fmac_f32_e32 v1, v2, v109
	v_sub_f32_e32 v2, v4, v5
	v_sub_f32_e32 v1, v3, v1
	buffer_load_dword v122, off, s[0:3], 0 offset:172
	buffer_load_dword v73, off, s[0:3], 0 offset:172
	;; [unrolled: 1-line block ×14, first 2 shown]
	s_waitcnt vmcnt(28) lgkmcnt(0)
	v_mul_f32_e32 v4, v120, v54
	v_mul_f32_e32 v3, v121, v54
	s_waitcnt vmcnt(25)
	v_fmac_f32_e32 v4, v121, v65
	v_fma_f32 v3, v120, v65, -v3
	v_sub_f32_e32 v1, v1, v4
	v_sub_f32_e32 v54, v2, v3
	v_mul_f32_e32 v2, v119, v1
	v_fma_f32 v97, v118, v54, -v2
	v_mul_f32_e32 v98, v118, v1
	ds_read_b128 v[1:4], v170 offset:2288
	v_fmac_f32_e32 v98, v119, v54
	buffer_store_dword v97, off, s[0:3], 0 offset:176
	buffer_store_dword v98, off, s[0:3], 0 offset:180
	ds_read_b128 v[105:108], v170 offset:2272
	s_waitcnt lgkmcnt(1)
	v_mul_f32_e32 v54, v4, v23
	v_fma_f32 v54, v3, v24, -v54
	v_mul_f32_e32 v3, v3, v23
	v_mul_f32_e32 v23, v2, v25
	v_fmac_f32_e32 v3, v4, v24
	v_fma_f32 v23, v1, v26, -v23
	v_mul_f32_e32 v1, v1, v25
	s_waitcnt vmcnt(24)
	v_sub_f32_e32 v4, v46, v54
	s_waitcnt vmcnt(23)
	v_sub_f32_e32 v3, v47, v3
	v_fmac_f32_e32 v1, v2, v26
	v_sub_f32_e32 v2, v4, v23
	v_sub_f32_e32 v1, v3, v1
	s_waitcnt lgkmcnt(0)
	v_mul_f32_e32 v3, v108, v28
	buffer_load_dword v118, off, s[0:3], 0 offset:16
	buffer_load_dword v47, off, s[0:3], 0 offset:16
	v_mul_f32_e32 v4, v107, v28
	buffer_load_dword v119, off, s[0:3], 0 offset:28
	buffer_load_dword v54, off, s[0:3], 0 offset:28
	;; [unrolled: 1-line block ×5, first 2 shown]
	s_waitcnt vmcnt(29)
	v_fma_f32 v3, v107, v61, -v3
	v_fmac_f32_e32 v4, v108, v61
	buffer_load_dword v61, off, s[0:3], 0 offset:112
	v_sub_f32_e32 v23, v1, v4
	s_waitcnt vmcnt(29)
	v_mul_f32_e32 v1, v106, v66
	v_sub_f32_e32 v2, v2, v3
	s_waitcnt vmcnt(24)
	v_fma_f32 v1, v105, v67, -v1
	v_sub_f32_e32 v28, v2, v1
	ds_read_b128 v[1:4], v170 offset:2256
	v_mul_f32_e32 v24, v105, v66
	v_fmac_f32_e32 v24, v106, v67
	v_sub_f32_e32 v105, v23, v24
	ds_read_b128 v[23:26], v170 offset:2240
	s_waitcnt lgkmcnt(1)
	v_mul_f32_e32 v106, v4, v69
	v_fma_f32 v106, v3, v71, -v106
	v_mul_f32_e32 v3, v3, v69
	v_fmac_f32_e32 v3, v4, v71
	v_sub_f32_e32 v4, v28, v106
	v_mul_f32_e32 v28, v2, v82
	v_fma_f32 v28, v1, v88, -v28
	v_mul_f32_e32 v1, v1, v82
	v_sub_f32_e32 v3, v105, v3
	v_fmac_f32_e32 v1, v2, v88
	buffer_load_dword v121, off, s[0:3], 0 offset:36
	buffer_load_dword v66, off, s[0:3], 0 offset:36
	buffer_load_dword v124, off, s[0:3], 0 offset:32
	buffer_load_dword v67, off, s[0:3], 0 offset:32
	buffer_load_dword v125, off, s[0:3], 0 offset:44
	buffer_load_dword v69, off, s[0:3], 0 offset:44
	buffer_load_dword v126, off, s[0:3], 0 offset:40
	buffer_load_dword v71, off, s[0:3], 0 offset:40
	v_sub_f32_e32 v28, v4, v28
	v_sub_f32_e32 v82, v3, v1
	ds_read_b128 v[1:4], v170 offset:2192
	ds_read_b128 v[105:108], v170 offset:2208
	ds_read_b128 v[109:112], v170 offset:2224
	s_waitcnt lgkmcnt(3)
	v_mul_f32_e32 v88, v26, v27
	v_fma_f32 v88, v25, v29, -v88
	v_mul_f32_e32 v25, v25, v27
	v_mul_f32_e32 v27, v24, v30
	v_fmac_f32_e32 v25, v26, v29
	v_fma_f32 v27, v23, v32, -v27
	v_mul_f32_e32 v23, v23, v30
	v_sub_f32_e32 v26, v28, v88
	v_sub_f32_e32 v25, v82, v25
	v_fmac_f32_e32 v23, v24, v32
	v_sub_f32_e32 v24, v26, v27
	v_sub_f32_e32 v23, v25, v23
	s_waitcnt lgkmcnt(0)
	v_mul_f32_e32 v25, v112, v83
	v_mul_f32_e32 v26, v111, v83
	v_fma_f32 v25, v111, v91, -v25
	v_fmac_f32_e32 v26, v112, v91
	v_sub_f32_e32 v24, v24, v25
	v_sub_f32_e32 v23, v23, v26
	v_mul_f32_e32 v25, v110, v114
	v_mul_f32_e32 v26, v109, v114
	v_fma_f32 v25, v109, v92, -v25
	v_fmac_f32_e32 v26, v110, v92
	v_sub_f32_e32 v24, v24, v25
	v_sub_f32_e32 v23, v23, v26
	v_mul_f32_e32 v25, v108, v102
	v_mul_f32_e32 v26, v107, v102
	v_fma_f32 v25, v107, v104, -v25
	v_fmac_f32_e32 v26, v108, v104
	v_sub_f32_e32 v24, v24, v25
	v_sub_f32_e32 v23, v23, v26
	v_mul_f32_e32 v25, v106, v89
	v_mul_f32_e32 v26, v105, v89
	buffer_load_dword v83, off, s[0:3], 0 offset:180
	v_fma_f32 v25, v105, v95, -v25
	v_fmac_f32_e32 v26, v106, v95
	v_sub_f32_e32 v27, v24, v25
	v_sub_f32_e32 v28, v23, v26
	ds_read_b128 v[23:26], v170 offset:2176
	buffer_load_dword v88, off, s[0:3], 0 offset:176
	buffer_load_dword v91, off, s[0:3], 0 offset:116
	v_mul_f32_e32 v29, v4, v100
	v_fma_f32 v29, v3, v103, -v29
	v_mul_f32_e32 v3, v3, v100
	v_fmac_f32_e32 v3, v4, v103
	v_sub_f32_e32 v4, v27, v29
	v_mul_f32_e32 v27, v2, v115
	v_fma_f32 v27, v1, v116, -v27
	v_mul_f32_e32 v1, v1, v115
	v_sub_f32_e32 v3, v28, v3
	v_fmac_f32_e32 v1, v2, v116
	v_sub_f32_e32 v2, v4, v27
	v_sub_f32_e32 v1, v3, v1
	s_waitcnt vmcnt(12) lgkmcnt(0)
	v_mul_f32_e32 v3, v26, v46
	v_mul_f32_e32 v4, v25, v46
	s_waitcnt vmcnt(11)
	v_fma_f32 v3, v25, v61, -v3
	v_fmac_f32_e32 v4, v26, v61
	buffer_load_dword v92, off, s[0:3], 0 offset:112
	v_sub_f32_e32 v2, v2, v3
	v_sub_f32_e32 v1, v1, v4
	v_mul_f32_e32 v3, v24, v43
	v_mul_f32_e32 v4, v23, v43
	buffer_load_dword v89, off, s[0:3], 0 offset:4
	buffer_load_dword v95, off, s[0:3], 0
	v_fma_f32 v3, v23, v44, -v3
	v_fmac_f32_e32 v4, v24, v44
	v_sub_f32_e32 v32, v2, v3
	v_sub_f32_e32 v43, v1, v4
	ds_read_b128 v[1:4], v170 offset:2144
	ds_read_b128 v[23:26], v170 offset:2160
	;; [unrolled: 1-line block ×4, first 2 shown]
	buffer_load_dword v100, off, s[0:3], 0 offset:192
	buffer_load_dword v106, off, s[0:3], 0 offset:196
	;; [unrolled: 1-line block ×4, first 2 shown]
	s_waitcnt lgkmcnt(2)
	v_mul_f32_e32 v44, v26, v51
	v_fma_f32 v44, v25, v76, -v44
	v_mul_f32_e32 v25, v25, v51
	buffer_load_dword v51, off, s[0:3], 0 offset:8
	v_fmac_f32_e32 v25, v26, v76
	v_sub_f32_e32 v26, v32, v44
	v_mul_f32_e32 v32, v24, v94
	v_fma_f32 v32, v23, v101, -v32
	v_mul_f32_e32 v23, v23, v94
	v_sub_f32_e32 v25, v43, v25
	v_fmac_f32_e32 v23, v24, v101
	v_sub_f32_e32 v23, v25, v23
	v_mul_f32_e32 v25, v4, v113
	v_fma_f32 v25, v3, v117, -v25
	v_mul_f32_e32 v3, v3, v113
	v_fmac_f32_e32 v3, v4, v117
	v_sub_f32_e32 v24, v26, v32
	v_sub_f32_e32 v3, v23, v3
	v_mul_f32_e32 v23, v2, v86
	v_sub_f32_e32 v4, v24, v25
	v_fma_f32 v23, v1, v87, -v23
	v_mul_f32_e32 v1, v1, v86
	v_fmac_f32_e32 v1, v2, v87
	v_sub_f32_e32 v2, v4, v23
	s_waitcnt lgkmcnt(0)
	v_mul_f32_e32 v4, v29, v79
	v_sub_f32_e32 v1, v3, v1
	v_mul_f32_e32 v3, v30, v79
	v_fmac_f32_e32 v4, v30, v96
	v_fma_f32 v3, v29, v96, -v3
	v_sub_f32_e32 v1, v1, v4
	v_mul_f32_e32 v4, v27, v122
	v_sub_f32_e32 v2, v2, v3
	v_mul_f32_e32 v3, v28, v122
	v_fmac_f32_e32 v4, v28, v123
	v_fma_f32 v3, v27, v123, -v3
	v_sub_f32_e32 v1, v1, v4
	v_sub_f32_e32 v2, v2, v3
	buffer_load_dword v28, off, s[0:3], 0 offset:52
	buffer_load_dword v30, off, s[0:3], 0 offset:48
	;; [unrolled: 1-line block ×18, first 2 shown]
	s_waitcnt vmcnt(28)
	v_mul_f32_e32 v4, v104, v83
	v_mul_f32_e32 v3, v105, v83
	s_waitcnt vmcnt(27)
	v_fmac_f32_e32 v4, v105, v88
	v_fma_f32 v3, v104, v88, -v3
	v_sub_f32_e32 v1, v1, v4
	v_sub_f32_e32 v2, v2, v3
	v_mul_f32_e32 v3, v103, v1
	v_mul_f32_e32 v44, v102, v1
	v_fma_f32 v43, v102, v2, -v3
	v_fmac_f32_e32 v44, v103, v2
	ds_read2_b64 v[1:4], v170 offset0:191 offset1:255
	buffer_store_dword v43, off, s[0:3], 0 offset:184
	buffer_store_dword v44, off, s[0:3], 0 offset:188
	ds_write2_b64 v171, v[43:44], v[97:98] offset1:32
	buffer_load_dword v43, off, s[0:3], 0 offset:4
	s_waitcnt vmcnt(27) lgkmcnt(1)
	v_mul_f32_e32 v44, v4, v89
	s_waitcnt vmcnt(26)
	v_fma_f32 v44, v3, v95, -v44
	v_mul_f32_e32 v3, v3, v89
	ds_read2_b64 v[86:89], v170 offset0:253 offset1:254
	v_fmac_f32_e32 v3, v4, v95
	ds_read2_b64 v[94:97], v170 offset0:251 offset1:252
	s_waitcnt vmcnt(25)
	v_sub_f32_e32 v4, v100, v44
	buffer_load_dword v44, off, s[0:3], 0 offset:12
	s_waitcnt vmcnt(24) lgkmcnt(1)
	v_mul_f32_e32 v83, v89, v107
	v_sub_f32_e32 v3, v106, v3
	s_waitcnt vmcnt(22)
	v_fma_f32 v83, v88, v51, -v83
	v_sub_f32_e32 v4, v4, v83
	v_mul_f32_e32 v83, v87, v108
	v_fma_f32 v83, v86, v118, -v83
	v_sub_f32_e32 v4, v4, v83
	s_waitcnt lgkmcnt(0)
	v_mul_f32_e32 v83, v97, v119
	v_mul_f32_e32 v88, v88, v107
	v_fma_f32 v83, v96, v120, -v83
	v_fmac_f32_e32 v88, v89, v51
	buffer_load_dword v51, off, s[0:3], 0 offset:20
	buffer_load_dword v100, off, s[0:3], 0 offset:8
	buffer_load_dword v98, off, s[0:3], 0
	v_sub_f32_e32 v4, v4, v83
	buffer_load_dword v83, off, s[0:3], 0 offset:124
	buffer_load_dword v102, off, s[0:3], 0 offset:120
	v_mul_f32_e32 v86, v86, v108
	v_sub_f32_e32 v3, v3, v88
	v_fmac_f32_e32 v86, v87, v118
	v_sub_f32_e32 v3, v3, v86
	v_mul_f32_e32 v86, v96, v119
	v_fmac_f32_e32 v86, v97, v120
	v_sub_f32_e32 v3, v3, v86
	v_mul_f32_e32 v86, v95, v121
	v_fma_f32 v96, v94, v124, -v86
	ds_read2_b64 v[86:89], v170 offset0:249 offset1:250
	v_mul_f32_e32 v94, v94, v121
	v_fmac_f32_e32 v94, v95, v124
	v_sub_f32_e32 v4, v4, v96
	v_sub_f32_e32 v3, v3, v94
	ds_read2_b64 v[94:97], v170 offset0:247 offset1:248
	s_waitcnt lgkmcnt(1)
	v_mul_f32_e32 v103, v89, v125
	v_fma_f32 v103, v88, v126, -v103
	v_mul_f32_e32 v88, v88, v125
	v_fmac_f32_e32 v88, v89, v126
	v_sub_f32_e32 v3, v3, v88
	s_waitcnt vmcnt(26)
	v_mul_f32_e32 v88, v87, v28
	v_sub_f32_e32 v4, v4, v103
	s_waitcnt vmcnt(25)
	v_fma_f32 v88, v86, v30, -v88
	v_mul_f32_e32 v28, v86, v28
	v_fmac_f32_e32 v28, v87, v30
	v_sub_f32_e32 v4, v4, v88
	ds_read2_b64 v[86:89], v170 offset0:245 offset1:246
	v_sub_f32_e32 v3, v3, v28
	s_waitcnt vmcnt(23) lgkmcnt(1)
	v_mul_f32_e32 v28, v97, v109
	v_mul_f32_e32 v30, v96, v109
	v_fma_f32 v28, v96, v101, -v28
	v_fmac_f32_e32 v30, v97, v101
	v_sub_f32_e32 v4, v4, v28
	v_sub_f32_e32 v3, v3, v30
	v_mul_f32_e32 v28, v95, v45
	v_mul_f32_e32 v30, v94, v45
	v_fma_f32 v28, v94, v55, -v28
	v_fmac_f32_e32 v30, v95, v55
	ds_read2_b64 v[94:97], v170 offset0:243 offset1:244
	v_sub_f32_e32 v4, v4, v28
	v_sub_f32_e32 v3, v3, v30
	s_waitcnt lgkmcnt(1)
	v_mul_f32_e32 v28, v89, v80
	v_mul_f32_e32 v30, v88, v80
	v_fma_f32 v28, v88, v58, -v28
	v_fmac_f32_e32 v30, v89, v58
	v_sub_f32_e32 v4, v4, v28
	v_sub_f32_e32 v3, v3, v30
	v_mul_f32_e32 v28, v87, v90
	v_mul_f32_e32 v30, v86, v90
	v_fma_f32 v28, v86, v99, -v28
	v_fmac_f32_e32 v30, v87, v99
	ds_read2_b64 v[86:89], v170 offset0:241 offset1:242
	v_sub_f32_e32 v4, v4, v28
	v_sub_f32_e32 v3, v3, v30
	s_waitcnt lgkmcnt(1)
	;; [unrolled: 14-line block ×3, first 2 shown]
	v_mul_f32_e32 v28, v89, v77
	v_mul_f32_e32 v30, v88, v77
	v_fma_f32 v28, v88, v78, -v28
	v_fmac_f32_e32 v30, v89, v78
	v_sub_f32_e32 v4, v4, v28
	v_sub_f32_e32 v3, v3, v30
	v_mul_f32_e32 v28, v87, v91
	v_mul_f32_e32 v30, v86, v91
	buffer_load_dword v103, off, s[0:3], 0 offset:52
	buffer_load_dword v105, off, s[0:3], 0 offset:60
	;; [unrolled: 1-line block ×6, first 2 shown]
	v_fma_f32 v28, v86, v92, -v28
	v_fmac_f32_e32 v30, v87, v92
	buffer_load_dword v60, off, s[0:3], 0 offset:200
	buffer_load_dword v68, off, s[0:3], 0 offset:204
	ds_read2_b64 v[86:89], v170 offset0:237 offset1:238
	v_sub_f32_e32 v4, v4, v28
	v_sub_f32_e32 v3, v3, v30
	s_waitcnt vmcnt(9) lgkmcnt(1)
	v_mul_f32_e32 v28, v97, v83
	v_mul_f32_e32 v30, v96, v83
	s_waitcnt vmcnt(8)
	v_fma_f32 v28, v96, v102, -v28
	v_fmac_f32_e32 v30, v97, v102
	v_sub_f32_e32 v4, v4, v28
	v_sub_f32_e32 v3, v3, v30
	v_mul_f32_e32 v28, v95, v33
	v_mul_f32_e32 v30, v94, v33
	v_fma_f32 v28, v94, v34, -v28
	v_fmac_f32_e32 v30, v95, v34
	ds_read2_b64 v[94:97], v170 offset0:235 offset1:236
	v_sub_f32_e32 v4, v4, v28
	v_sub_f32_e32 v3, v3, v30
	s_waitcnt lgkmcnt(1)
	v_mul_f32_e32 v28, v89, v59
	v_mul_f32_e32 v30, v88, v59
	v_fma_f32 v28, v88, v62, -v28
	v_fmac_f32_e32 v30, v89, v62
	v_sub_f32_e32 v4, v4, v28
	v_sub_f32_e32 v3, v3, v30
	v_mul_f32_e32 v28, v87, v81
	v_mul_f32_e32 v30, v86, v81
	v_fma_f32 v28, v86, v93, -v28
	v_fmac_f32_e32 v30, v87, v93
	v_sub_f32_e32 v4, v4, v28
	v_sub_f32_e32 v3, v3, v30
	s_waitcnt lgkmcnt(0)
	v_mul_f32_e32 v28, v97, v64
	v_mul_f32_e32 v30, v96, v64
	v_fma_f32 v28, v96, v85, -v28
	v_fmac_f32_e32 v30, v97, v85
	ds_read2_b64 v[85:88], v170 offset0:233 offset1:234
	ds_read2_b64 v[89:92], v170 offset0:231 offset1:232
	v_sub_f32_e32 v3, v3, v30
	v_mul_f32_e32 v30, v94, v70
	v_fmac_f32_e32 v30, v95, v72
	v_sub_f32_e32 v3, v3, v30
	s_waitcnt lgkmcnt(1)
	v_mul_f32_e32 v30, v87, v73
	v_fmac_f32_e32 v30, v88, v84
	v_sub_f32_e32 v3, v3, v30
	v_mul_f32_e32 v30, v85, v110
	v_fmac_f32_e32 v30, v86, v111
	v_sub_f32_e32 v59, v3, v30
	buffer_load_dword v77, off, s[0:3], 0 offset:188
	buffer_load_dword v115, off, s[0:3], 0 offset:188
	;; [unrolled: 1-line block ×7, first 2 shown]
	v_sub_f32_e32 v4, v4, v28
	v_mul_f32_e32 v28, v95, v70
	v_fma_f32 v28, v94, v72, -v28
	v_sub_f32_e32 v4, v4, v28
	v_mul_f32_e32 v28, v88, v73
	v_fma_f32 v28, v87, v84, -v28
	;; [unrolled: 3-line block ×3, first 2 shown]
	v_sub_f32_e32 v34, v4, v28
	s_waitcnt vmcnt(12) lgkmcnt(0)
	v_mul_f32_e32 v64, v92, v45
	v_mul_f32_e32 v45, v91, v45
	s_waitcnt vmcnt(11)
	v_fmac_f32_e32 v45, v92, v55
	v_fma_f32 v64, v91, v55, -v64
	v_sub_f32_e32 v45, v59, v45
	v_sub_f32_e32 v34, v34, v64
	v_mul_f32_e32 v55, v90, v45
	v_fma_f32 v80, v89, v34, -v55
	v_mul_f32_e32 v81, v89, v45
	v_fmac_f32_e32 v81, v90, v34
	s_waitcnt vmcnt(0)
	buffer_store_dword v0, off, s[0:3], 0 offset:260 ; 4-byte Folded Spill
	buffer_load_dword v78, off, s[0:3], 0 offset:184
	buffer_load_dword v176, off, s[0:3], 0 offset:184
	;; [unrolled: 1-line block ×7, first 2 shown]
	ds_read_b128 v[83:86], v170 offset:1776
	buffer_store_dword v80, off, s[0:3], 0 offset:192
	buffer_store_dword v81, off, s[0:3], 0 offset:196
	buffer_load_dword v45, off, s[0:3], 0 offset:84
	ds_read_b128 v[87:90], v170 offset:1760
	s_waitcnt lgkmcnt(1)
	v_mul_f32_e32 v34, v86, v43
	v_mul_f32_e32 v43, v85, v43
	v_fmac_f32_e32 v43, v86, v98
	v_mul_f32_e32 v55, v84, v44
	v_mul_f32_e32 v44, v83, v44
	v_fma_f32 v34, v85, v98, -v34
	v_sub_f32_e32 v43, v68, v43
	v_fma_f32 v55, v83, v100, -v55
	v_fmac_f32_e32 v44, v84, v100
	ds_read_b128 v[83:86], v170 offset:1744
	v_sub_f32_e32 v34, v60, v34
	v_sub_f32_e32 v43, v43, v44
	s_waitcnt lgkmcnt(1)
	v_mul_f32_e32 v44, v90, v51
	v_sub_f32_e32 v34, v34, v55
	v_fma_f32 v44, v89, v47, -v44
	v_mul_f32_e32 v51, v89, v51
	v_fmac_f32_e32 v51, v90, v47
	v_sub_f32_e32 v34, v34, v44
	v_mul_f32_e32 v44, v88, v54
	v_mul_f32_e32 v47, v87, v54
	v_fma_f32 v44, v87, v65, -v44
	v_fmac_f32_e32 v47, v88, v65
	ds_read_b128 v[87:90], v170 offset:1728
	v_sub_f32_e32 v34, v34, v44
	s_waitcnt lgkmcnt(1)
	v_mul_f32_e32 v44, v86, v66
	v_fma_f32 v44, v85, v67, -v44
	v_sub_f32_e32 v34, v34, v44
	v_mul_f32_e32 v44, v84, v69
	v_fma_f32 v44, v83, v71, -v44
	v_sub_f32_e32 v34, v34, v44
	s_waitcnt lgkmcnt(0)
	v_mul_f32_e32 v44, v90, v103
	buffer_load_dword v55, off, s[0:3], 0 offset:92
	buffer_load_dword v54, off, s[0:3], 0 offset:100
	v_fma_f32 v44, v89, v104, -v44
	v_sub_f32_e32 v43, v43, v51
	v_sub_f32_e32 v34, v34, v44
	buffer_load_dword v44, off, s[0:3], 0 offset:96
	buffer_load_dword v51, off, s[0:3], 0 offset:88
	v_sub_f32_e32 v43, v43, v47
	v_mul_f32_e32 v47, v85, v66
	v_fmac_f32_e32 v47, v86, v67
	v_sub_f32_e32 v43, v43, v47
	v_mul_f32_e32 v47, v83, v69
	v_fmac_f32_e32 v47, v84, v71
	ds_read_b128 v[64:67], v170 offset:1696
	ds_read_b128 v[68:71], v170 offset:1712
	v_sub_f32_e32 v43, v43, v47
	v_mul_f32_e32 v47, v89, v103
	v_fmac_f32_e32 v47, v90, v104
	v_sub_f32_e32 v43, v43, v47
	v_mul_f32_e32 v47, v88, v105
	v_mul_f32_e32 v59, v87, v105
	v_fma_f32 v47, v87, v106, -v47
	v_fmac_f32_e32 v59, v88, v106
	v_sub_f32_e32 v34, v34, v47
	v_sub_f32_e32 v43, v43, v59
	buffer_load_dword v47, off, s[0:3], 0 offset:108
	s_waitcnt lgkmcnt(0)
	v_mul_f32_e32 v59, v71, v15
	ds_read_b128 v[83:86], v170 offset:1664
	ds_read_b128 v[87:90], v170 offset:1680
	v_fma_f32 v59, v70, v16, -v59
	v_mul_f32_e32 v15, v70, v15
	buffer_load_dword v70, off, s[0:3], 0 offset:104
	v_fmac_f32_e32 v15, v71, v16
	v_sub_f32_e32 v16, v34, v59
	v_mul_f32_e32 v34, v69, v42
	v_fma_f32 v34, v68, v18, -v34
	v_mul_f32_e32 v42, v68, v42
	v_sub_f32_e32 v15, v43, v15
	v_fmac_f32_e32 v42, v69, v18
	v_sub_f32_e32 v16, v16, v34
	v_sub_f32_e32 v18, v15, v42
	buffer_load_dword v71, off, s[0:3], 0 offset:112
	buffer_load_dword v72, off, s[0:3], 0 offset:116
	buffer_load_dword v91, off, s[0:3], 0 offset:80
	buffer_load_dword v124, off, s[0:3], 0 offset:84
	buffer_load_dword v174, off, s[0:3], 0 offset:80
	buffer_load_dword v132, off, s[0:3], 0 offset:80
	buffer_load_dword v92, off, s[0:3], 0 offset:80
	buffer_load_dword v59, off, s[0:3], 0 offset:80
	buffer_load_dword v15, off, s[0:3], 0 offset:80
	s_waitcnt vmcnt(15)
	v_mul_f32_e32 v34, v67, v45
	v_fma_f32 v34, v66, v20, -v34
	v_mul_f32_e32 v42, v66, v45
	v_sub_f32_e32 v34, v16, v34
	buffer_load_dword v73, off, s[0:3], 0 offset:124
	buffer_load_dword v130, off, s[0:3], 0 offset:92
	;; [unrolled: 1-line block ×8, first 2 shown]
	v_fmac_f32_e32 v42, v67, v20
	buffer_load_dword v74, off, s[0:3], 0 offset:120
	buffer_load_dword v131, off, s[0:3], 0 offset:88
	;; [unrolled: 1-line block ×8, first 2 shown]
	v_sub_f32_e32 v18, v18, v42
	s_waitcnt vmcnt(30)
	v_mul_f32_e32 v43, v64, v55
	v_mul_f32_e32 v42, v65, v55
	s_waitcnt vmcnt(29) lgkmcnt(0)
	v_mul_f32_e32 v45, v90, v54
	s_waitcnt vmcnt(28)
	v_fma_f32 v45, v89, v44, -v45
	s_waitcnt vmcnt(27)
	v_fmac_f32_e32 v43, v65, v51
	v_fma_f32 v42, v64, v51, -v42
	v_sub_f32_e32 v43, v18, v43
	buffer_load_dword v106, off, s[0:3], 0 offset:132
	buffer_load_dword v171, off, s[0:3], 0 offset:100
	;; [unrolled: 1-line block ×8, first 2 shown]
	v_sub_f32_e32 v34, v34, v42
	buffer_load_dword v107, off, s[0:3], 0 offset:128
	buffer_load_dword v173, off, s[0:3], 0 offset:96
	buffer_load_dword v180, off, s[0:3], 0 offset:96
	buffer_load_dword v138, off, s[0:3], 0 offset:96
	buffer_load_dword v99, off, s[0:3], 0 offset:92
	buffer_load_dword v97, off, s[0:3], 0 offset:96
	buffer_load_dword v68, off, s[0:3], 0 offset:92
	buffer_load_dword v42, off, s[0:3], 0 offset:92
	v_mul_f32_e32 v51, v89, v54
	v_fmac_f32_e32 v51, v90, v44
	v_sub_f32_e32 v51, v43, v51
	v_sub_f32_e32 v44, v34, v45
	buffer_load_dword v200, off, s[0:3], 0 offset:108
	buffer_load_dword v181, off, s[0:3], 0 offset:108
	buffer_load_dword v139, off, s[0:3], 0 offset:108
	buffer_load_dword v98, off, s[0:3], 0 offset:108
	buffer_load_dword v67, off, s[0:3], 0 offset:108
	buffer_load_dword v34, off, s[0:3], 0 offset:108
	buffer_load_dword v201, off, s[0:3], 0 offset:104
	buffer_load_dword v182, off, s[0:3], 0 offset:104
	buffer_load_dword v140, off, s[0:3], 0 offset:104
	buffer_load_dword v100, off, s[0:3], 0 offset:104
	buffer_load_dword v69, off, s[0:3], 0 offset:104
	buffer_load_dword v43, off, s[0:3], 0 offset:104
	buffer_load_dword v45, off, s[0:3], 0 offset:100
	s_waitcnt vmcnt(55)
	v_mul_f32_e32 v54, v88, v47
	v_mul_f32_e32 v47, v87, v47
	s_waitcnt vmcnt(54)
	v_fmac_f32_e32 v47, v88, v70
	v_fma_f32 v54, v87, v70, -v54
	v_sub_f32_e32 v47, v51, v47
	s_waitcnt vmcnt(52)
	v_mul_f32_e32 v51, v86, v72
	v_mul_f32_e32 v55, v85, v72
	v_sub_f32_e32 v54, v44, v54
	v_fma_f32 v51, v85, v71, -v51
	v_fmac_f32_e32 v55, v86, v71
	v_sub_f32_e32 v54, v54, v51
	v_sub_f32_e32 v55, v47, v55
	buffer_load_dword v202, off, s[0:3], 0 offset:112
	buffer_load_dword v203, off, s[0:3], 0 offset:116
	;; [unrolled: 1-line block ×21, first 2 shown]
	s_waitcnt vmcnt(62)
	v_mul_f32_e32 v85, v84, v73
	v_mul_f32_e32 v73, v83, v73
	s_waitcnt vmcnt(57)
	v_fma_f32 v85, v83, v74, -v85
	v_fmac_f32_e32 v73, v84, v74
	v_sub_f32_e32 v108, v54, v85
	v_sub_f32_e32 v109, v55, v73
	ds_read_b128 v[83:86], v170 offset:1648
	ds_read_b128 v[87:90], v170 offset:1632
	buffer_load_dword v111, off, s[0:3], 0 offset:196
	buffer_load_dword v206, off, s[0:3], 0 offset:132
	;; [unrolled: 1-line block ×14, first 2 shown]
	s_waitcnt vmcnt(62) lgkmcnt(1)
	v_mul_f32_e32 v110, v86, v106
	s_waitcnt vmcnt(55)
	v_fma_f32 v110, v85, v107, -v110
	v_mul_f32_e32 v85, v85, v106
	v_fmac_f32_e32 v85, v86, v107
	v_mul_f32_e32 v106, v84, v17
	v_mul_f32_e32 v17, v83, v17
	v_sub_f32_e32 v86, v108, v110
	v_sub_f32_e32 v85, v109, v85
	v_fma_f32 v106, v83, v19, -v106
	v_fmac_f32_e32 v17, v84, v19
	v_sub_f32_e32 v19, v86, v106
	v_sub_f32_e32 v17, v85, v17
	ds_read_b128 v[83:86], v170 offset:1600
	ds_read_b128 v[106:109], v170 offset:1616
	s_waitcnt lgkmcnt(2)
	v_mul_f32_e32 v110, v90, v31
	v_mul_f32_e32 v31, v89, v31
	v_fmac_f32_e32 v31, v90, v53
	v_fma_f32 v110, v89, v53, -v110
	v_sub_f32_e32 v17, v17, v31
	v_mul_f32_e32 v31, v88, v56
	v_sub_f32_e32 v19, v19, v110
	v_fma_f32 v31, v87, v57, -v31
	v_sub_f32_e32 v19, v19, v31
	s_waitcnt lgkmcnt(0)
	v_mul_f32_e32 v31, v109, v50
	v_mul_f32_e32 v56, v87, v56
	v_fma_f32 v31, v108, v52, -v31
	buffer_load_dword v53, off, s[0:3], 0 offset:4
	buffer_load_dword v89, off, s[0:3], 0
	v_fmac_f32_e32 v56, v88, v57
	buffer_load_dword v87, off, s[0:3], 0 offset:208
	buffer_load_dword v88, off, s[0:3], 0 offset:212
	v_sub_f32_e32 v19, v19, v31
	v_mul_f32_e32 v31, v107, v41
	buffer_load_dword v90, off, s[0:3], 0 offset:12
	v_mul_f32_e32 v41, v106, v41
	v_mul_f32_e32 v50, v108, v50
	v_fma_f32 v31, v106, v63, -v31
	v_fmac_f32_e32 v41, v107, v63
	buffer_load_dword v63, off, s[0:3], 0 offset:8
	v_sub_f32_e32 v17, v17, v56
	v_fmac_f32_e32 v50, v109, v52
	buffer_load_dword v113, off, s[0:3], 0 offset:16
	buffer_load_dword v114, off, s[0:3], 0 offset:20
	v_sub_f32_e32 v17, v17, v50
	v_sub_f32_e32 v19, v19, v31
	;; [unrolled: 1-line block ×3, first 2 shown]
	v_mul_f32_e32 v31, v86, v76
	v_mul_f32_e32 v41, v85, v76
	v_fma_f32 v31, v85, v79, -v31
	v_fmac_f32_e32 v41, v86, v79
	v_sub_f32_e32 v19, v19, v31
	v_sub_f32_e32 v17, v17, v41
	v_mul_f32_e32 v31, v84, v77
	v_mul_f32_e32 v41, v83, v77
	v_fma_f32 v31, v83, v78, -v31
	v_fmac_f32_e32 v41, v84, v78
	v_sub_f32_e32 v31, v19, v31
	v_sub_f32_e32 v41, v17, v41
	ds_read_b128 v[76:79], v170 offset:1584
	ds_read2_b64 v[83:86], v170 offset0:189 offset1:190
	buffer_load_dword v208, off, s[0:3], 0 offset:196
	buffer_load_dword v189, off, s[0:3], 0 offset:196
	;; [unrolled: 1-line block ×14, first 2 shown]
	s_waitcnt vmcnt(35) lgkmcnt(1)
	v_mul_f32_e32 v57, v78, v111
	v_mul_f32_e32 v56, v79, v111
	s_waitcnt vmcnt(28)
	v_fmac_f32_e32 v57, v79, v112
	v_fma_f32 v56, v78, v112, -v56
	v_sub_f32_e32 v41, v41, v57
	v_sub_f32_e32 v31, v31, v56
	v_mul_f32_e32 v56, v77, v41
	v_mul_f32_e32 v57, v76, v41
	v_fma_f32 v56, v76, v31, -v56
	v_fmac_f32_e32 v57, v77, v31
	buffer_store_dword v56, off, s[0:3], 0 offset:200
	buffer_store_dword v57, off, s[0:3], 0 offset:204
	ds_write2_b64 v169, v[56:57], v[80:81] offset0:192 offset1:224
	buffer_load_dword v119, off, s[0:3], 0 offset:32
	buffer_load_dword v120, off, s[0:3], 0 offset:36
	;; [unrolled: 1-line block ×8, first 2 shown]
	buffer_load_dword v211, off, s[0:3], 0
	buffer_load_dword v212, off, s[0:3], 0 offset:4
	buffer_load_dword v190, off, s[0:3], 0
	buffer_load_dword v147, off, s[0:3], 0
	;; [unrolled: 1-line block ×4, first 2 shown]
	s_waitcnt vmcnt(37)
	v_mul_f32_e32 v41, v2, v53
	v_mul_f32_e32 v53, v1, v53
	s_waitcnt vmcnt(36)
	v_fma_f32 v41, v1, v89, -v41
	v_fmac_f32_e32 v53, v2, v89
	s_waitcnt vmcnt(35)
	v_sub_f32_e32 v57, v87, v41
	s_waitcnt vmcnt(34)
	v_sub_f32_e32 v53, v88, v53
	s_waitcnt vmcnt(33) lgkmcnt(1)
	v_mul_f32_e32 v76, v86, v90
	v_mul_f32_e32 v77, v85, v90
	buffer_load_dword v213, off, s[0:3], 0 offset:216
	buffer_load_dword v214, off, s[0:3], 0 offset:220
	;; [unrolled: 1-line block ×18, first 2 shown]
	s_waitcnt vmcnt(50)
	v_fma_f32 v76, v85, v63, -v76
	v_fmac_f32_e32 v77, v86, v63
	v_sub_f32_e32 v57, v57, v76
	v_sub_f32_e32 v63, v53, v77
	s_waitcnt vmcnt(48)
	v_mul_f32_e32 v76, v84, v114
	v_mul_f32_e32 v77, v83, v114
	buffer_load_dword v220, off, s[0:3], 0 offset:16
	buffer_load_dword v221, off, s[0:3], 0 offset:20
	;; [unrolled: 1-line block ×6, first 2 shown]
	v_fma_f32 v76, v83, v113, -v76
	v_fmac_f32_e32 v77, v84, v113
	ds_read2_b64 v[78:81], v170 offset0:187 offset1:188
	ds_read2_b64 v[83:86], v170 offset0:185 offset1:186
	v_sub_f32_e32 v76, v57, v76
	v_sub_f32_e32 v87, v63, v77
	buffer_load_dword v223, off, s[0:3], 0 offset:28
	buffer_load_dword v224, off, s[0:3], 0 offset:28
	;; [unrolled: 1-line block ×16, first 2 shown]
	s_waitcnt vmcnt(62) lgkmcnt(1)
	v_mul_f32_e32 v88, v81, v116
	s_waitcnt vmcnt(56)
	v_fma_f32 v88, v80, v118, -v88
	v_mul_f32_e32 v80, v80, v116
	v_fmac_f32_e32 v80, v81, v118
	v_sub_f32_e32 v81, v76, v88
	buffer_load_dword v228, off, s[0:3], 0 offset:32
	buffer_load_dword v229, off, s[0:3], 0 offset:36
	;; [unrolled: 1-line block ×7, first 2 shown]
	v_sub_f32_e32 v80, v87, v80
	s_waitcnt vmcnt(59)
	v_mul_f32_e32 v87, v79, v120
	v_fma_f32 v87, v78, v119, -v87
	v_mul_f32_e32 v78, v78, v120
	v_fmac_f32_e32 v78, v79, v119
	v_sub_f32_e32 v80, v80, v78
	buffer_load_dword v197, off, s[0:3], 0 offset:72
	buffer_load_dword v231, off, s[0:3], 0 offset:44
	;; [unrolled: 1-line block ×8, first 2 shown]
	s_waitcnt vmcnt(62) lgkmcnt(0)
	v_mul_f32_e32 v88, v86, v123
	v_sub_f32_e32 v87, v81, v87
	v_fma_f32 v88, v85, v122, -v88
	v_mul_f32_e32 v85, v85, v123
	v_fmac_f32_e32 v85, v86, v122
	v_sub_f32_e32 v86, v87, v88
	v_mul_f32_e32 v87, v84, v126
	v_fma_f32 v87, v83, v125, -v87
	v_mul_f32_e32 v83, v83, v126
	buffer_load_dword v233, off, s[0:3], 0 offset:40
	buffer_load_dword v234, off, s[0:3], 0 offset:36
	;; [unrolled: 1-line block ×7, first 2 shown]
	v_sub_f32_e32 v85, v80, v85
	buffer_load_dword v236, off, s[0:3], 0 offset:48
	buffer_load_dword v237, off, s[0:3], 0 offset:52
	;; [unrolled: 1-line block ×6, first 2 shown]
	v_fmac_f32_e32 v83, v84, v125
	v_sub_f32_e32 v125, v86, v87
	ds_read2_b64 v[87:90], v170 offset0:183 offset1:184
	ds_read2_b64 v[192:195], v170 offset0:181 offset1:182
	v_sub_f32_e32 v85, v85, v83
	buffer_load_dword v239, off, s[0:3], 0 offset:60
	buffer_load_dword v240, off, s[0:3], 0 offset:60
	buffer_load_dword v162, off, s[0:3], 0 offset:60
	buffer_load_dword v122, off, s[0:3], 0 offset:56
	buffer_load_dword v123, off, s[0:3], 0 offset:60
	buffer_load_dword v84, off, s[0:3], 0 offset:60
	buffer_load_dword v83, off, s[0:3], 0 offset:56
	buffer_load_dword v241, off, s[0:3], 0 offset:56
	buffer_load_dword v242, off, s[0:3], 0 offset:52
	buffer_load_dword v243, off, s[0:3], 0 offset:56
	buffer_load_dword v166, off, s[0:3], 0 offset:52
	buffer_load_dword v163, off, s[0:3], 0 offset:56
	buffer_load_dword v126, off, s[0:3], 0 offset:52
	buffer_load_dword v86, off, s[0:3], 0 offset:52
	s_waitcnt vmcnt(62) lgkmcnt(1)
	v_mul_f32_e32 v165, v90, v128
	v_fma_f32 v165, v89, v127, -v165
	v_mul_f32_e32 v89, v89, v128
	v_fmac_f32_e32 v89, v90, v127
	v_sub_f32_e32 v90, v125, v165
	v_sub_f32_e32 v89, v85, v89
	buffer_load_dword v244, off, s[0:3], 0 offset:64
	buffer_load_dword v245, off, s[0:3], 0 offset:68
	buffer_load_dword v246, off, s[0:3], 0 offset:64
	buffer_load_dword v165, off, s[0:3], 0 offset:64
	buffer_load_dword v125, off, s[0:3], 0 offset:64
	buffer_load_dword v85, off, s[0:3], 0 offset:64
	buffer_load_dword v247, off, s[0:3], 0 offset:140
	s_waitcnt vmcnt(50)
	v_mul_f32_e32 v127, v88, v129
	s_waitcnt vmcnt(49)
	v_fma_f32 v127, v87, v164, -v127
	v_mul_f32_e32 v87, v87, v129
	v_fmac_f32_e32 v87, v88, v164
	v_sub_f32_e32 v164, v90, v127
	v_sub_f32_e32 v89, v89, v87
	buffer_load_dword v248, off, s[0:3], 0 offset:136
	buffer_load_dword v249, off, s[0:3], 0 offset:76
	;; [unrolled: 1-line block ×15, first 2 shown]
	s_waitcnt vmcnt(57) lgkmcnt(0)
	v_mul_f32_e32 v198, v195, v196
	s_waitcnt vmcnt(56)
	v_fma_f32 v198, v194, v197, -v198
	v_mul_f32_e32 v196, v194, v196
	v_mul_f32_e32 v194, v193, v124
	;; [unrolled: 1-line block ×3, first 2 shown]
	v_fmac_f32_e32 v196, v195, v197
	v_fma_f32 v197, v192, v91, -v194
	v_fmac_f32_e32 v124, v193, v91
	ds_read2_b64 v[192:195], v170 offset0:179 offset1:180
	v_sub_f32_e32 v164, v164, v198
	v_sub_f32_e32 v89, v89, v196
	;; [unrolled: 1-line block ×3, first 2 shown]
	ds_read2_b64 v[196:199], v170 offset0:177 offset1:178
	v_sub_f32_e32 v89, v89, v124
	s_waitcnt lgkmcnt(1)
	v_mul_f32_e32 v124, v195, v130
	v_mul_f32_e32 v130, v194, v130
	v_fmac_f32_e32 v130, v195, v131
	v_fma_f32 v124, v194, v131, -v124
	v_sub_f32_e32 v89, v89, v130
	v_mul_f32_e32 v130, v193, v171
	v_mul_f32_e32 v131, v192, v171
	v_sub_f32_e32 v91, v91, v124
	v_fma_f32 v130, v192, v173, -v130
	v_fmac_f32_e32 v131, v193, v173
	buffer_load_dword v164, off, s[0:3], 0 offset:124
	buffer_load_dword v124, off, s[0:3], 0 offset:124
	v_sub_f32_e32 v91, v91, v130
	v_sub_f32_e32 v89, v89, v131
	s_waitcnt lgkmcnt(0)
	v_mul_f32_e32 v130, v199, v200
	v_mul_f32_e32 v131, v198, v200
	buffer_load_dword v200, off, s[0:3], 0 offset:204
	v_fma_f32 v130, v198, v201, -v130
	v_fmac_f32_e32 v131, v199, v201
	buffer_load_dword v201, off, s[0:3], 0 offset:200
	ds_read2_b64 v[192:195], v170 offset0:175 offset1:176
	v_sub_f32_e32 v91, v91, v130
	v_sub_f32_e32 v89, v89, v131
	v_mul_f32_e32 v130, v197, v203
	v_mul_f32_e32 v131, v196, v203
	v_fma_f32 v130, v196, v202, -v130
	v_fmac_f32_e32 v131, v197, v202
	v_sub_f32_e32 v91, v91, v130
	v_sub_f32_e32 v89, v89, v131
	ds_read2_b64 v[196:199], v170 offset0:173 offset1:174
	s_waitcnt lgkmcnt(1)
	v_mul_f32_e32 v130, v195, v204
	v_mul_f32_e32 v131, v194, v204
	v_fma_f32 v130, v194, v205, -v130
	v_fmac_f32_e32 v131, v195, v205
	v_sub_f32_e32 v91, v91, v130
	v_sub_f32_e32 v89, v89, v131
	v_mul_f32_e32 v130, v193, v206
	v_mul_f32_e32 v131, v192, v206
	v_fma_f32 v130, v192, v207, -v130
	v_fmac_f32_e32 v131, v193, v207
	v_sub_f32_e32 v192, v91, v130
	v_sub_f32_e32 v193, v89, v131
	buffer_load_dword v254, off, s[0:3], 0 offset:140
	buffer_load_dword v255, off, s[0:3], 0 offset:140
	;; [unrolled: 1-line block ×10, first 2 shown]
	s_waitcnt vmcnt(29) lgkmcnt(0)
	v_mul_f32_e32 v194, v199, v247
	v_mul_f32_e32 v195, v198, v247
	s_waitcnt vmcnt(28)
	v_fma_f32 v194, v198, v248, -v194
	v_fmac_f32_e32 v195, v199, v248
	v_sub_f32_e32 v198, v192, v194
	v_mul_f32_e32 v192, v197, v21
	v_sub_f32_e32 v199, v193, v195
	v_fma_f32 v202, v196, v22, -v192
	ds_read2_b64 v[192:195], v170 offset0:171 offset1:172
	v_mul_f32_e32 v21, v196, v21
	v_fmac_f32_e32 v21, v197, v22
	v_sub_f32_e32 v22, v198, v202
	v_sub_f32_e32 v21, v199, v21
	ds_read2_b64 v[196:199], v170 offset0:169 offset1:170
	s_waitcnt lgkmcnt(1)
	v_mul_f32_e32 v202, v195, v11
	v_mul_f32_e32 v11, v194, v11
	v_fmac_f32_e32 v11, v195, v14
	v_fma_f32 v202, v194, v14, -v202
	v_sub_f32_e32 v11, v21, v11
	v_mul_f32_e32 v21, v193, v10
	v_mul_f32_e32 v10, v192, v10
	v_sub_f32_e32 v14, v22, v202
	v_fma_f32 v21, v192, v49, -v21
	v_fmac_f32_e32 v10, v193, v49
	v_sub_f32_e32 v14, v14, v21
	v_sub_f32_e32 v10, v11, v10
	s_waitcnt lgkmcnt(0)
	v_mul_f32_e32 v11, v199, v38
	v_mul_f32_e32 v21, v198, v38
	ds_read2_b64 v[192:195], v170 offset0:167 offset1:168
	v_fma_f32 v11, v198, v40, -v11
	v_fmac_f32_e32 v21, v199, v40
	v_sub_f32_e32 v11, v14, v11
	v_sub_f32_e32 v10, v10, v21
	v_mul_f32_e32 v14, v197, v46
	v_mul_f32_e32 v21, v196, v46
	v_fma_f32 v14, v196, v82, -v14
	v_fmac_f32_e32 v21, v197, v82
	ds_read2_b64 v[196:199], v170 offset0:165 offset1:166
	v_sub_f32_e32 v10, v10, v21
	s_waitcnt lgkmcnt(1)
	v_mul_f32_e32 v21, v194, v115
	v_sub_f32_e32 v11, v11, v14
	v_mul_f32_e32 v14, v195, v115
	v_fmac_f32_e32 v21, v195, v176
	v_fma_f32 v14, v194, v176, -v14
	v_sub_f32_e32 v10, v10, v21
	v_mul_f32_e32 v21, v192, v208
	v_sub_f32_e32 v11, v11, v14
	v_mul_f32_e32 v14, v193, v208
	v_fmac_f32_e32 v21, v193, v209
	s_waitcnt vmcnt(11) lgkmcnt(0)
	v_mul_f32_e32 v176, v198, v200
	v_fma_f32 v14, v192, v209, -v14
	v_sub_f32_e32 v21, v10, v21
	v_mul_f32_e32 v40, v199, v200
	s_waitcnt vmcnt(10)
	v_fmac_f32_e32 v176, v199, v201
	v_sub_f32_e32 v14, v11, v14
	v_fma_f32 v40, v198, v201, -v40
	v_sub_f32_e32 v21, v21, v176
	buffer_load_dword v49, off, s[0:3], 0 offset:204
	buffer_load_dword v247, off, s[0:3], 0 offset:204
	;; [unrolled: 1-line block ×10, first 2 shown]
	v_sub_f32_e32 v14, v14, v40
	v_mul_f32_e32 v40, v197, v21
	ds_read_b128 v[192:195], v170 offset:1264
	v_fma_f32 v208, v196, v14, -v40
	v_mul_f32_e32 v209, v196, v21
	v_fmac_f32_e32 v209, v197, v14
	buffer_store_dword v208, off, s[0:3], 0 offset:208
	buffer_store_dword v209, off, s[0:3], 0 offset:212
	ds_read_b128 v[196:199], v170 offset:1248
	s_waitcnt lgkmcnt(1)
	v_mul_f32_e32 v14, v195, v212
	v_mul_f32_e32 v21, v194, v212
	v_fma_f32 v14, v194, v211, -v14
	v_fmac_f32_e32 v21, v195, v211
	v_mul_f32_e32 v40, v193, v216
	v_mul_f32_e32 v176, v192, v216
	v_sub_f32_e32 v14, v213, v14
	v_sub_f32_e32 v21, v214, v21
	v_fma_f32 v40, v192, v217, -v40
	v_fmac_f32_e32 v176, v193, v217
	ds_read_b128 v[192:195], v170 offset:1232
	v_sub_f32_e32 v14, v14, v40
	v_sub_f32_e32 v21, v21, v176
	s_waitcnt lgkmcnt(1)
	v_mul_f32_e32 v40, v199, v221
	v_mul_f32_e32 v176, v198, v221
	v_fma_f32 v40, v198, v220, -v40
	v_fmac_f32_e32 v176, v199, v220
	v_sub_f32_e32 v14, v14, v40
	v_sub_f32_e32 v21, v21, v176
	v_mul_f32_e32 v40, v197, v223
	v_mul_f32_e32 v176, v196, v223
	v_fma_f32 v40, v196, v225, -v40
	v_fmac_f32_e32 v176, v197, v225
	ds_read_b128 v[196:199], v170 offset:1216
	v_sub_f32_e32 v14, v14, v40
	v_sub_f32_e32 v21, v21, v176
	s_waitcnt lgkmcnt(1)
	v_mul_f32_e32 v40, v195, v229
	v_mul_f32_e32 v176, v194, v229
	v_fma_f32 v40, v194, v228, -v40
	v_fmac_f32_e32 v176, v195, v228
	v_sub_f32_e32 v14, v14, v40
	v_sub_f32_e32 v21, v21, v176
	v_mul_f32_e32 v40, v193, v231
	v_mul_f32_e32 v176, v192, v231
	buffer_load_dword v211, off, s[0:3], 0 offset:148
	buffer_load_dword v212, off, s[0:3], 0 offset:144
	v_fma_f32 v40, v192, v233, -v40
	v_fmac_f32_e32 v176, v193, v233
	ds_read_b128 v[192:195], v170 offset:1200
	v_sub_f32_e32 v14, v14, v40
	v_sub_f32_e32 v21, v21, v176
	s_waitcnt lgkmcnt(1)
	v_mul_f32_e32 v40, v199, v237
	v_mul_f32_e32 v176, v198, v237
	v_fma_f32 v40, v198, v236, -v40
	v_fmac_f32_e32 v176, v199, v236
	v_sub_f32_e32 v14, v14, v40
	v_sub_f32_e32 v21, v21, v176
	v_mul_f32_e32 v40, v197, v239
	v_mul_f32_e32 v176, v196, v239
	v_fma_f32 v40, v196, v241, -v40
	v_fmac_f32_e32 v176, v197, v241
	ds_read_b128 v[196:199], v170 offset:1184
	v_sub_f32_e32 v14, v14, v40
	v_sub_f32_e32 v21, v21, v176
	s_waitcnt lgkmcnt(1)
	v_mul_f32_e32 v40, v195, v245
	v_mul_f32_e32 v176, v194, v245
	v_fma_f32 v40, v194, v244, -v40
	v_fmac_f32_e32 v176, v195, v244
	v_sub_f32_e32 v14, v14, v40
	v_sub_f32_e32 v21, v21, v176
	v_mul_f32_e32 v40, v193, v249
	v_mul_f32_e32 v176, v192, v249
	v_fma_f32 v40, v192, v251, -v40
	v_fmac_f32_e32 v176, v193, v251
	ds_read_b128 v[192:195], v170 offset:1136
	ds_read_b128 v[200:203], v170 offset:1152
	;; [unrolled: 1-line block ×3, first 2 shown]
	v_sub_f32_e32 v14, v14, v40
	s_waitcnt lgkmcnt(3)
	v_mul_f32_e32 v40, v199, v178
	v_fma_f32 v40, v198, v174, -v40
	v_sub_f32_e32 v14, v14, v40
	v_mul_f32_e32 v40, v197, v175
	v_fma_f32 v40, v196, v177, -v40
	v_sub_f32_e32 v21, v21, v176
	v_mul_f32_e32 v176, v198, v178
	v_sub_f32_e32 v14, v14, v40
	s_waitcnt lgkmcnt(0)
	v_mul_f32_e32 v40, v207, v179
	v_fmac_f32_e32 v176, v199, v174
	v_mul_f32_e32 v174, v196, v175
	v_fma_f32 v40, v206, v180, -v40
	v_sub_f32_e32 v21, v21, v176
	v_fmac_f32_e32 v174, v197, v177
	v_sub_f32_e32 v14, v14, v40
	v_mul_f32_e32 v40, v205, v181
	v_sub_f32_e32 v21, v21, v174
	v_mul_f32_e32 v174, v206, v179
	v_fma_f32 v40, v204, v182, -v40
	v_fmac_f32_e32 v174, v207, v180
	v_sub_f32_e32 v14, v14, v40
	v_mul_f32_e32 v40, v203, v186
	v_sub_f32_e32 v21, v21, v174
	v_mul_f32_e32 v174, v204, v181
	v_fma_f32 v40, v202, v183, -v40
	v_fmac_f32_e32 v174, v205, v182
	v_sub_f32_e32 v14, v14, v40
	v_mul_f32_e32 v40, v201, v184
	v_sub_f32_e32 v21, v21, v174
	v_mul_f32_e32 v174, v202, v186
	v_fma_f32 v40, v200, v185, -v40
	buffer_load_dword v186, off, s[0:3], 0 offset:212
	v_sub_f32_e32 v14, v14, v40
	v_mul_f32_e32 v40, v195, v187
	v_mul_f32_e32 v178, v194, v187
	buffer_load_dword v187, off, s[0:3], 0 offset:208
	v_fmac_f32_e32 v174, v203, v183
	v_sub_f32_e32 v21, v21, v174
	v_mul_f32_e32 v174, v200, v184
	v_fmac_f32_e32 v174, v201, v185
	v_sub_f32_e32 v21, v21, v174
	v_fma_f32 v40, v194, v188, -v40
	v_fmac_f32_e32 v178, v195, v188
	v_sub_f32_e32 v14, v14, v40
	v_sub_f32_e32 v21, v21, v178
	s_waitcnt vmcnt(25)
	v_mul_f32_e32 v40, v193, v254
	v_mul_f32_e32 v178, v192, v254
	s_waitcnt vmcnt(20)
	v_fma_f32 v40, v192, v0, -v40
	v_fmac_f32_e32 v178, v193, v0
	ds_read_b128 v[174:177], v170 offset:1120
	v_sub_f32_e32 v179, v14, v40
	v_sub_f32_e32 v178, v21, v178
	buffer_load_dword v188, off, s[0:3], 0 offset:148
	buffer_load_dword v196, off, s[0:3], 0 offset:148
	;; [unrolled: 1-line block ×9, first 2 shown]
	s_waitcnt vmcnt(12) lgkmcnt(0)
	v_mul_f32_e32 v180, v177, v211
	s_waitcnt vmcnt(11)
	v_fma_f32 v180, v176, v212, -v180
	v_mul_f32_e32 v176, v176, v211
	v_fmac_f32_e32 v176, v177, v212
	v_sub_f32_e32 v183, v178, v176
	v_mul_f32_e32 v176, v175, v12
	v_mul_f32_e32 v12, v174, v12
	v_sub_f32_e32 v182, v179, v180
	v_fma_f32 v184, v174, v13, -v176
	v_fmac_f32_e32 v12, v175, v13
	ds_read_b128 v[174:177], v170 offset:1088
	ds_read_b128 v[178:181], v170 offset:1104
	v_sub_f32_e32 v12, v183, v12
	v_sub_f32_e32 v13, v182, v184
	ds_read_b128 v[182:185], v170 offset:1056
	ds_read_b128 v[192:195], v170 offset:1072
	s_waitcnt lgkmcnt(2)
	v_mul_f32_e32 v200, v181, v7
	v_mul_f32_e32 v7, v180, v7
	v_fmac_f32_e32 v7, v181, v48
	v_fma_f32 v200, v180, v48, -v200
	v_sub_f32_e32 v7, v12, v7
	v_mul_f32_e32 v12, v179, v36
	v_sub_f32_e32 v13, v13, v200
	v_fma_f32 v12, v178, v39, -v12
	v_mul_f32_e32 v36, v178, v36
	v_fmac_f32_e32 v36, v179, v39
	v_sub_f32_e32 v12, v13, v12
	v_mul_f32_e32 v13, v177, v29
	v_mul_f32_e32 v29, v176, v29
	v_sub_f32_e32 v7, v7, v36
	v_fma_f32 v13, v176, v61, -v13
	v_fmac_f32_e32 v29, v177, v61
	v_sub_f32_e32 v12, v12, v13
	v_sub_f32_e32 v7, v7, v29
	v_mul_f32_e32 v13, v175, v75
	v_mul_f32_e32 v29, v174, v75
	v_fma_f32 v13, v174, v135, -v13
	v_fmac_f32_e32 v29, v175, v135
	v_sub_f32_e32 v12, v12, v13
	v_sub_f32_e32 v7, v7, v29
	s_waitcnt lgkmcnt(0)
	v_mul_f32_e32 v13, v195, v189
	v_mul_f32_e32 v29, v194, v189
	v_fma_f32 v13, v194, v210, -v13
	v_fmac_f32_e32 v29, v195, v210
	v_sub_f32_e32 v12, v12, v13
	v_sub_f32_e32 v7, v7, v29
	v_mul_f32_e32 v13, v193, v49
	v_mul_f32_e32 v29, v192, v49
	v_fma_f32 v13, v192, v248, -v13
	v_fmac_f32_e32 v29, v193, v248
	v_sub_f32_e32 v13, v12, v13
	v_sub_f32_e32 v29, v7, v29
	buffer_load_dword v61, off, s[0:3], 0 offset:212
	buffer_load_dword v75, off, s[0:3], 0 offset:212
	;; [unrolled: 1-line block ×8, first 2 shown]
	ds_read2_b64 v[174:177], v170 offset0:63 offset1:127
	s_waitcnt vmcnt(18)
	v_mul_f32_e32 v39, v184, v186
	v_mul_f32_e32 v36, v185, v186
	s_waitcnt vmcnt(17)
	v_fmac_f32_e32 v39, v185, v187
	v_fma_f32 v36, v184, v187, -v36
	v_sub_f32_e32 v29, v29, v39
	v_sub_f32_e32 v13, v13, v36
	v_mul_f32_e32 v36, v183, v29
	v_fma_f32 v178, v182, v13, -v36
	v_mul_f32_e32 v179, v182, v29
	v_fmac_f32_e32 v179, v183, v13
	buffer_store_dword v178, off, s[0:3], 0 offset:216
	buffer_store_dword v179, off, s[0:3], 0 offset:220
	s_waitcnt lgkmcnt(0)
	v_mul_f32_e32 v13, v177, v218
	v_mul_f32_e32 v29, v176, v218
	ds_write2_b64 v169, v[178:179], v[208:209] offset0:128 offset1:160
	v_fma_f32 v13, v176, v190, -v13
	v_fmac_f32_e32 v29, v177, v190
	ds_read2_b64 v[176:179], v170 offset0:125 offset1:126
	buffer_load_dword v184, off, s[0:3], 0 offset:232
	buffer_load_dword v185, off, s[0:3], 0 offset:236
	;; [unrolled: 1-line block ×6, first 2 shown]
	ds_read2_b64 v[180:183], v170 offset0:123 offset1:124
	v_sub_f32_e32 v13, v2, v13
	buffer_load_dword v190, off, s[0:3], 0 offset:156
	s_waitcnt lgkmcnt(1)
	v_mul_f32_e32 v135, v179, v191
	v_fma_f32 v135, v178, v219, -v135
	v_mul_f32_e32 v178, v178, v191
	v_sub_f32_e32 v13, v13, v135
	v_mul_f32_e32 v135, v177, v226
	s_waitcnt vmcnt(17)
	v_sub_f32_e32 v29, v199, v29
	v_fmac_f32_e32 v178, v179, v219
	v_fma_f32 v135, v176, v222, -v135
	v_mul_f32_e32 v176, v176, v226
	v_sub_f32_e32 v29, v29, v178
	v_fmac_f32_e32 v176, v177, v222
	v_sub_f32_e32 v29, v29, v176
	s_waitcnt lgkmcnt(0)
	v_mul_f32_e32 v176, v182, v224
	v_fmac_f32_e32 v176, v183, v227
	v_sub_f32_e32 v13, v13, v135
	v_mul_f32_e32 v135, v183, v224
	v_sub_f32_e32 v29, v29, v176
	ds_read2_b64 v[176:179], v170 offset0:121 offset1:122
	v_fma_f32 v135, v182, v227, -v135
	v_sub_f32_e32 v13, v13, v135
	v_mul_f32_e32 v135, v181, v234
	v_fma_f32 v135, v180, v230, -v135
	v_mul_f32_e32 v180, v180, v234
	v_fmac_f32_e32 v180, v181, v230
	v_sub_f32_e32 v13, v13, v135
	v_sub_f32_e32 v29, v29, v180
	ds_read2_b64 v[180:183], v170 offset0:119 offset1:120
	s_waitcnt lgkmcnt(1)
	v_mul_f32_e32 v135, v179, v232
	v_fma_f32 v135, v178, v235, -v135
	v_mul_f32_e32 v178, v178, v232
	v_sub_f32_e32 v13, v13, v135
	v_mul_f32_e32 v135, v177, v242
	v_fmac_f32_e32 v178, v179, v235
	v_fma_f32 v135, v176, v238, -v135
	v_mul_f32_e32 v176, v176, v242
	v_sub_f32_e32 v29, v29, v178
	v_fmac_f32_e32 v176, v177, v238
	v_sub_f32_e32 v13, v13, v135
	v_sub_f32_e32 v29, v29, v176
	s_waitcnt lgkmcnt(0)
	v_mul_f32_e32 v135, v183, v240
	v_mul_f32_e32 v176, v182, v240
	v_fma_f32 v135, v182, v243, -v135
	v_fmac_f32_e32 v176, v183, v243
	v_sub_f32_e32 v13, v13, v135
	v_sub_f32_e32 v29, v29, v176
	v_mul_f32_e32 v135, v181, v252
	ds_read2_b64 v[176:179], v170 offset0:117 offset1:118
	v_fma_f32 v135, v180, v246, -v135
	v_mul_f32_e32 v180, v180, v252
	v_fmac_f32_e32 v180, v181, v246
	v_sub_f32_e32 v29, v29, v180
	ds_read2_b64 v[180:183], v170 offset0:115 offset1:116
	v_sub_f32_e32 v13, v13, v135
	s_waitcnt lgkmcnt(1)
	v_mul_f32_e32 v135, v179, v250
	v_fma_f32 v135, v178, v253, -v135
	v_mul_f32_e32 v178, v178, v250
	v_sub_f32_e32 v13, v13, v135
	v_mul_f32_e32 v135, v177, v136
	v_mul_f32_e32 v136, v176, v136
	v_fmac_f32_e32 v178, v179, v253
	v_fma_f32 v135, v176, v132, -v135
	v_fmac_f32_e32 v136, v177, v132
	s_waitcnt lgkmcnt(0)
	v_mul_f32_e32 v132, v183, v134
	v_sub_f32_e32 v29, v29, v178
	v_sub_f32_e32 v13, v13, v135
	v_fma_f32 v132, v182, v133, -v132
	v_mul_f32_e32 v134, v182, v134
	v_sub_f32_e32 v29, v29, v136
	v_fmac_f32_e32 v134, v183, v133
	v_sub_f32_e32 v13, v13, v132
	v_mul_f32_e32 v132, v181, v137
	v_sub_f32_e32 v29, v29, v134
	v_fma_f32 v136, v180, v138, -v132
	ds_read2_b64 v[132:135], v170 offset0:113 offset1:114
	ds_read2_b64 v[176:179], v170 offset0:111 offset1:112
	v_mul_f32_e32 v137, v180, v137
	v_sub_f32_e32 v13, v13, v136
	v_fmac_f32_e32 v137, v181, v138
	s_waitcnt lgkmcnt(1)
	v_mul_f32_e32 v136, v135, v139
	v_fma_f32 v136, v134, v140, -v136
	v_mul_f32_e32 v134, v134, v139
	v_sub_f32_e32 v29, v29, v137
	v_fmac_f32_e32 v134, v135, v140
	v_sub_f32_e32 v29, v29, v134
	v_mul_f32_e32 v134, v133, v144
	v_fma_f32 v134, v132, v141, -v134
	v_mul_f32_e32 v132, v132, v144
	v_fmac_f32_e32 v132, v133, v141
	v_sub_f32_e32 v13, v13, v136
	v_sub_f32_e32 v29, v29, v132
	s_waitcnt lgkmcnt(0)
	v_mul_f32_e32 v132, v179, v143
	v_sub_f32_e32 v13, v13, v134
	v_fma_f32 v132, v178, v142, -v132
	v_mul_f32_e32 v133, v178, v143
	v_fmac_f32_e32 v133, v179, v142
	v_sub_f32_e32 v13, v13, v132
	v_mul_f32_e32 v132, v177, v145
	v_sub_f32_e32 v29, v29, v133
	v_fma_f32 v136, v176, v146, -v132
	ds_read2_b64 v[132:135], v170 offset0:109 offset1:110
	v_mul_f32_e32 v137, v176, v145
	v_fmac_f32_e32 v137, v177, v146
	v_sub_f32_e32 v13, v13, v136
	v_sub_f32_e32 v29, v29, v137
	ds_read2_b64 v[136:139], v170 offset0:107 offset1:108
	s_waitcnt lgkmcnt(1)
	v_mul_f32_e32 v142, v135, v255
	v_fma_f32 v142, v134, v1, -v142
	v_mul_f32_e32 v134, v134, v255
	v_fmac_f32_e32 v134, v135, v1
	v_sub_f32_e32 v1, v13, v142
	v_sub_f32_e32 v13, v29, v134
	v_mul_f32_e32 v29, v133, v188
	v_fma_f32 v29, v132, v197, -v29
	v_mul_f32_e32 v132, v132, v188
	buffer_load_dword v140, off, s[0:3], 0 offset:220
	buffer_load_dword v141, off, s[0:3], 0 offset:216
	;; [unrolled: 1-line block ×3, first 2 shown]
	v_fmac_f32_e32 v132, v133, v197
	v_sub_f32_e32 v1, v1, v29
	v_sub_f32_e32 v132, v13, v132
	buffer_load_dword v178, off, s[0:3], 0 offset:156
	buffer_load_dword v179, off, s[0:3], 0 offset:156
	;; [unrolled: 1-line block ×6, first 2 shown]
	buffer_load_dword v2, off, s[0:3], 0 offset:256 ; 4-byte Folded Reload
	s_waitcnt vmcnt(10) lgkmcnt(0)
	v_mul_f32_e32 v134, v138, v190
	v_mul_f32_e32 v133, v139, v190
	s_waitcnt vmcnt(7)
	v_fmac_f32_e32 v134, v139, v191
	v_fma_f32 v133, v138, v191, -v133
	v_sub_f32_e32 v138, v132, v134
	v_sub_f32_e32 v1, v1, v133
	s_waitcnt vmcnt(0)
	v_mul_f32_e32 v132, v137, v2
	v_fma_f32 v139, v136, v8, -v132
	ds_read2_b64 v[132:135], v170 offset0:105 offset1:106
	v_mul_f32_e32 v136, v136, v2
	v_fmac_f32_e32 v136, v137, v8
	v_sub_f32_e32 v1, v1, v139
	v_sub_f32_e32 v8, v138, v136
	ds_read2_b64 v[136:139], v170 offset0:103 offset1:104
	s_waitcnt lgkmcnt(1)
	v_mul_f32_e32 v142, v135, v5
	v_mul_f32_e32 v5, v134, v5
	v_fmac_f32_e32 v5, v135, v37
	v_fma_f32 v142, v134, v37, -v142
	v_sub_f32_e32 v5, v8, v5
	v_mul_f32_e32 v8, v133, v26
	v_mul_f32_e32 v26, v132, v26
	v_sub_f32_e32 v1, v1, v142
	v_fma_f32 v8, v132, v32, -v8
	v_fmac_f32_e32 v26, v133, v32
	v_sub_f32_e32 v1, v1, v8
	v_sub_f32_e32 v5, v5, v26
	s_waitcnt lgkmcnt(0)
	v_mul_f32_e32 v8, v139, v58
	v_mul_f32_e32 v26, v138, v58
	ds_read2_b64 v[132:135], v170 offset0:101 offset1:102
	v_fma_f32 v8, v138, v94, -v8
	v_fmac_f32_e32 v26, v139, v94
	v_sub_f32_e32 v1, v1, v8
	v_sub_f32_e32 v5, v5, v26
	v_mul_f32_e32 v8, v137, v148
	v_mul_f32_e32 v26, v136, v148
	v_fma_f32 v8, v136, v150, -v8
	v_fmac_f32_e32 v26, v137, v150
	ds_read2_b64 v[136:139], v170 offset0:99 offset1:100
	v_sub_f32_e32 v5, v5, v26
	s_waitcnt lgkmcnt(1)
	v_mul_f32_e32 v26, v134, v247
	v_sub_f32_e32 v1, v1, v8
	v_mul_f32_e32 v8, v135, v247
	v_fmac_f32_e32 v26, v135, v46
	v_fma_f32 v8, v134, v46, -v8
	v_sub_f32_e32 v5, v5, v26
	v_mul_f32_e32 v26, v132, v61
	v_sub_f32_e32 v1, v1, v8
	v_mul_f32_e32 v8, v133, v61
	v_fmac_f32_e32 v26, v133, v189
	s_waitcnt lgkmcnt(0)
	v_mul_f32_e32 v61, v138, v140
	v_fma_f32 v8, v132, v189, -v8
	v_sub_f32_e32 v26, v5, v26
	v_mul_f32_e32 v46, v139, v140
	v_fmac_f32_e32 v61, v139, v141
	v_sub_f32_e32 v1, v1, v8
	v_fma_f32 v46, v138, v141, -v46
	v_sub_f32_e32 v26, v26, v61
	buffer_load_dword v32, off, s[0:3], 0 offset:220
	buffer_load_dword v37, off, s[0:3], 0 offset:220
	;; [unrolled: 1-line block ×6, first 2 shown]
	v_sub_f32_e32 v1, v1, v46
	v_mul_f32_e32 v46, v137, v26
	ds_read_b128 v[132:135], v170 offset:752
	v_fma_f32 v176, v136, v1, -v46
	v_mul_f32_e32 v177, v136, v26
	v_fmac_f32_e32 v177, v137, v1
	buffer_store_dword v176, off, s[0:3], 0 offset:224
	buffer_store_dword v177, off, s[0:3], 0 offset:228
	ds_read_b128 v[136:139], v170 offset:736
	s_waitcnt lgkmcnt(1)
	v_mul_f32_e32 v1, v135, v153
	v_mul_f32_e32 v26, v134, v153
	v_fma_f32 v1, v134, v147, -v1
	v_fmac_f32_e32 v26, v135, v147
	v_mul_f32_e32 v46, v133, v149
	v_mul_f32_e32 v61, v132, v149
	v_sub_f32_e32 v1, v184, v1
	v_sub_f32_e32 v26, v185, v26
	v_fma_f32 v46, v132, v151, -v46
	v_fmac_f32_e32 v61, v133, v151
	ds_read_b128 v[132:135], v170 offset:720
	v_sub_f32_e32 v1, v1, v46
	v_sub_f32_e32 v26, v26, v61
	s_waitcnt lgkmcnt(1)
	v_mul_f32_e32 v46, v139, v157
	v_mul_f32_e32 v61, v138, v157
	v_fma_f32 v46, v138, v152, -v46
	v_fmac_f32_e32 v61, v139, v152
	v_sub_f32_e32 v1, v1, v46
	v_sub_f32_e32 v26, v26, v61
	v_mul_f32_e32 v46, v137, v154
	v_mul_f32_e32 v61, v136, v154
	v_fma_f32 v46, v136, v155, -v46
	v_fmac_f32_e32 v61, v137, v155
	ds_read_b128 v[136:139], v170 offset:704
	v_sub_f32_e32 v1, v1, v46
	v_sub_f32_e32 v26, v26, v61
	s_waitcnt lgkmcnt(1)
	v_mul_f32_e32 v46, v135, v161
	v_mul_f32_e32 v61, v134, v161
	v_fma_f32 v46, v134, v156, -v46
	v_fmac_f32_e32 v61, v135, v156
	v_sub_f32_e32 v1, v1, v46
	v_sub_f32_e32 v26, v26, v61
	v_mul_f32_e32 v46, v133, v158
	v_mul_f32_e32 v61, v132, v158
	v_fma_f32 v46, v132, v159, -v46
	v_fmac_f32_e32 v61, v133, v159
	ds_read_b128 v[132:135], v170 offset:688
	v_sub_f32_e32 v1, v1, v46
	v_sub_f32_e32 v26, v26, v61
	s_waitcnt lgkmcnt(1)
	v_mul_f32_e32 v46, v139, v166
	v_mul_f32_e32 v61, v138, v166
	v_fma_f32 v46, v138, v160, -v46
	v_fmac_f32_e32 v61, v139, v160
	v_sub_f32_e32 v1, v1, v46
	v_sub_f32_e32 v26, v26, v61
	v_mul_f32_e32 v46, v137, v162
	v_mul_f32_e32 v61, v136, v162
	v_fma_f32 v46, v136, v163, -v46
	v_fmac_f32_e32 v61, v137, v163
	ds_read_b128 v[136:139], v170 offset:672
	v_sub_f32_e32 v26, v26, v61
	s_waitcnt lgkmcnt(1)
	v_mul_f32_e32 v61, v134, v172
	v_sub_f32_e32 v1, v1, v46
	v_mul_f32_e32 v46, v135, v172
	v_fmac_f32_e32 v61, v135, v165
	v_fma_f32 v46, v134, v165, -v46
	v_sub_f32_e32 v26, v26, v61
	v_mul_f32_e32 v61, v133, v167
	v_sub_f32_e32 v1, v1, v46
	v_fma_f32 v61, v132, v168, -v61
	v_mul_f32_e32 v94, v132, v167
	v_fmac_f32_e32 v94, v133, v168
	v_sub_f32_e32 v1, v1, v61
	s_waitcnt lgkmcnt(0)
	v_mul_f32_e32 v61, v139, v96
	v_sub_f32_e32 v26, v26, v94
	v_fma_f32 v61, v138, v92, -v61
	v_mul_f32_e32 v94, v138, v96
	buffer_load_dword v149, off, s[0:3], 0 offset:164
	buffer_load_dword v46, off, s[0:3], 0 offset:160
	v_fmac_f32_e32 v94, v139, v92
	v_sub_f32_e32 v1, v1, v61
	v_mul_f32_e32 v61, v137, v99
	v_mul_f32_e32 v92, v136, v99
	v_fma_f32 v61, v136, v93, -v61
	v_fmac_f32_e32 v92, v137, v93
	ds_read_b128 v[132:135], v170 offset:640
	ds_read_b128 v[136:139], v170 offset:656
	v_sub_f32_e32 v1, v1, v61
	v_sub_f32_e32 v26, v26, v94
	;; [unrolled: 1-line block ×3, first 2 shown]
	ds_read_b128 v[140:143], v170 offset:608
	ds_read_b128 v[144:147], v170 offset:624
	s_waitcnt lgkmcnt(2)
	v_mul_f32_e32 v61, v139, v95
	v_fma_f32 v61, v138, v97, -v61
	v_sub_f32_e32 v1, v1, v61
	v_mul_f32_e32 v61, v137, v98
	v_mul_f32_e32 v92, v138, v95
	v_fma_f32 v61, v136, v100, -v61
	v_fmac_f32_e32 v92, v139, v97
	v_sub_f32_e32 v1, v1, v61
	v_mul_f32_e32 v61, v135, v103
	v_sub_f32_e32 v26, v26, v92
	v_mul_f32_e32 v92, v136, v98
	v_fma_f32 v61, v134, v101, -v61
	v_fmac_f32_e32 v92, v137, v100
	v_sub_f32_e32 v1, v1, v61
	v_mul_f32_e32 v61, v133, v164
	v_sub_f32_e32 v26, v26, v92
	v_mul_f32_e32 v92, v134, v103
	v_fma_f32 v61, v132, v102, -v61
	v_fmac_f32_e32 v92, v135, v101
	v_sub_f32_e32 v1, v1, v61
	s_waitcnt lgkmcnt(0)
	v_mul_f32_e32 v61, v147, v104
	v_sub_f32_e32 v26, v26, v92
	v_mul_f32_e32 v92, v132, v164
	v_fma_f32 v61, v146, v105, -v61
	v_fmac_f32_e32 v92, v133, v102
	v_sub_f32_e32 v1, v1, v61
	buffer_load_dword v61, off, s[0:3], 0 offset:228
	v_sub_f32_e32 v26, v26, v92
	v_mul_f32_e32 v92, v146, v104
	buffer_load_dword v104, off, s[0:3], 0 offset:224
	v_fmac_f32_e32 v92, v147, v105
	v_sub_f32_e32 v26, v26, v92
	v_mul_f32_e32 v92, v145, v171
	v_fma_f32 v92, v144, v173, -v92
	v_mul_f32_e32 v93, v144, v171
	v_sub_f32_e32 v1, v1, v92
	v_mul_f32_e32 v92, v143, v196
	v_fmac_f32_e32 v93, v145, v173
	v_fma_f32 v92, v142, v198, -v92
	v_sub_f32_e32 v26, v26, v93
	v_mul_f32_e32 v93, v142, v196
	v_sub_f32_e32 v1, v1, v92
	v_mul_f32_e32 v92, v141, v178
	v_fmac_f32_e32 v93, v143, v198
	v_fma_f32 v92, v140, v180, -v92
	v_sub_f32_e32 v26, v26, v93
	v_sub_f32_e32 v1, v1, v92
	ds_read_b128 v[92:95], v170 offset:592
	v_mul_f32_e32 v96, v140, v178
	v_fmac_f32_e32 v96, v141, v180
	v_sub_f32_e32 v26, v26, v96
	ds_read_b128 v[96:99], v170 offset:576
	buffer_load_dword v105, off, s[0:3], 0 offset:164
	buffer_load_dword v136, off, s[0:3], 0 offset:164
	;; [unrolled: 1-line block ×4, first 2 shown]
	s_waitcnt vmcnt(7) lgkmcnt(1)
	v_mul_f32_e32 v100, v95, v149
	s_waitcnt vmcnt(6)
	v_fma_f32 v100, v94, v46, -v100
	v_mul_f32_e32 v94, v94, v149
	v_fmac_f32_e32 v94, v95, v46
	v_mul_f32_e32 v46, v93, v9
	v_mul_f32_e32 v9, v92, v9
	v_sub_f32_e32 v1, v1, v100
	v_sub_f32_e32 v26, v26, v94
	v_fma_f32 v46, v92, v35, -v46
	v_fmac_f32_e32 v9, v93, v35
	ds_read_b128 v[92:95], v170 offset:528
	ds_read_b128 v[100:103], v170 offset:544
	;; [unrolled: 1-line block ×3, first 2 shown]
	v_sub_f32_e32 v9, v26, v9
	s_waitcnt lgkmcnt(3)
	v_mul_f32_e32 v26, v99, v23
	v_sub_f32_e32 v1, v1, v46
	v_fma_f32 v26, v98, v27, -v26
	v_mul_f32_e32 v23, v98, v23
	v_fmac_f32_e32 v23, v99, v27
	v_sub_f32_e32 v1, v1, v26
	v_mul_f32_e32 v26, v96, v30
	v_sub_f32_e32 v9, v9, v23
	v_mul_f32_e32 v23, v97, v30
	v_fmac_f32_e32 v26, v97, v62
	v_fma_f32 v23, v96, v62, -v23
	v_sub_f32_e32 v9, v9, v26
	s_waitcnt lgkmcnt(0)
	v_mul_f32_e32 v26, v134, v107
	v_sub_f32_e32 v1, v1, v23
	v_mul_f32_e32 v23, v135, v107
	v_fmac_f32_e32 v26, v135, v110
	v_fma_f32 v23, v134, v110, -v23
	v_sub_f32_e32 v9, v9, v26
	v_mul_f32_e32 v26, v132, v82
	v_sub_f32_e32 v1, v1, v23
	v_mul_f32_e32 v23, v133, v82
	v_fmac_f32_e32 v26, v133, v115
	v_fma_f32 v23, v132, v115, -v23
	v_sub_f32_e32 v9, v9, v26
	;; [unrolled: 6-line block ×4, first 2 shown]
	s_waitcnt vmcnt(5)
	v_mul_f32_e32 v26, v94, v61
	v_sub_f32_e32 v1, v1, v23
	v_mul_f32_e32 v23, v95, v61
	s_waitcnt vmcnt(4)
	v_fmac_f32_e32 v26, v95, v104
	ds_read2_b64 v[96:99], v170 offset0:61 offset1:62
	v_fma_f32 v23, v94, v104, -v23
	v_sub_f32_e32 v9, v9, v26
	v_sub_f32_e32 v1, v1, v23
	v_mul_f32_e32 v23, v93, v9
	v_fma_f32 v26, v92, v1, -v23
	v_mul_f32_e32 v27, v92, v9
	buffer_load_dword v30, off, s[0:3], 0 offset:228
	buffer_load_dword v46, off, s[0:3], 0 offset:228
	;; [unrolled: 1-line block ×4, first 2 shown]
	v_fmac_f32_e32 v27, v93, v1
	buffer_store_dword v26, off, s[0:3], 0 offset:232
	buffer_store_dword v27, off, s[0:3], 0 offset:236
	v_mul_f32_e32 v1, v175, v112
	v_mul_f32_e32 v9, v174, v112
	ds_read2_b64 v[92:95], v170 offset0:59 offset1:60
	ds_write2_b64 v169, v[26:27], v[176:177] offset0:64 offset1:96
	v_fma_f32 v1, v174, v106, -v1
	v_fmac_f32_e32 v9, v175, v106
	s_waitcnt lgkmcnt(2)
	v_mul_f32_e32 v23, v99, v109
	v_mul_f32_e32 v26, v98, v109
	v_sub_f32_e32 v1, v186, v1
	v_sub_f32_e32 v9, v187, v9
	v_fma_f32 v23, v98, v108, -v23
	v_fmac_f32_e32 v26, v99, v108
	v_sub_f32_e32 v1, v1, v23
	v_sub_f32_e32 v9, v9, v26
	v_mul_f32_e32 v23, v97, v117
	v_mul_f32_e32 v26, v96, v117
	v_fma_f32 v23, v96, v111, -v23
	v_fmac_f32_e32 v26, v97, v111
	ds_read2_b64 v[96:99], v170 offset0:57 offset1:58
	v_sub_f32_e32 v1, v1, v23
	v_sub_f32_e32 v9, v9, v26
	s_waitcnt lgkmcnt(2)
	v_mul_f32_e32 v23, v95, v114
	v_mul_f32_e32 v26, v94, v114
	v_fma_f32 v23, v94, v113, -v23
	v_fmac_f32_e32 v26, v95, v113
	v_sub_f32_e32 v1, v1, v23
	v_sub_f32_e32 v9, v9, v26
	v_mul_f32_e32 v23, v93, v121
	v_mul_f32_e32 v26, v92, v121
	buffer_load_dword v27, off, s[0:3], 0 offset:172
	buffer_load_dword v35, off, s[0:3], 0 offset:168
	v_fma_f32 v23, v92, v116, -v23
	v_fmac_f32_e32 v26, v93, v116
	ds_read2_b64 v[92:95], v170 offset0:55 offset1:56
	v_sub_f32_e32 v1, v1, v23
	v_sub_f32_e32 v9, v9, v26
	s_waitcnt lgkmcnt(1)
	v_mul_f32_e32 v23, v99, v119
	v_mul_f32_e32 v26, v98, v119
	v_fma_f32 v23, v98, v118, -v23
	v_fmac_f32_e32 v26, v99, v118
	v_sub_f32_e32 v1, v1, v23
	v_sub_f32_e32 v9, v9, v26
	v_mul_f32_e32 v23, v97, v126
	v_mul_f32_e32 v26, v96, v126
	v_fma_f32 v23, v96, v120, -v23
	v_fmac_f32_e32 v26, v97, v120
	ds_read2_b64 v[96:99], v170 offset0:53 offset1:54
	v_sub_f32_e32 v1, v1, v23
	v_sub_f32_e32 v9, v9, v26
	s_waitcnt lgkmcnt(1)
	v_mul_f32_e32 v23, v95, v123
	v_mul_f32_e32 v26, v94, v123
	v_fma_f32 v23, v94, v122, -v23
	v_fmac_f32_e32 v26, v95, v122
	v_sub_f32_e32 v1, v1, v23
	v_sub_f32_e32 v9, v9, v26
	v_mul_f32_e32 v23, v93, v129
	v_mul_f32_e32 v26, v92, v129
	;; [unrolled: 14-line block ×4, first 2 shown]
	v_fma_f32 v23, v92, v64, -v23
	v_fmac_f32_e32 v26, v93, v64
	v_sub_f32_e32 v1, v1, v23
	v_sub_f32_e32 v9, v9, v26
	s_waitcnt lgkmcnt(0)
	v_mul_f32_e32 v23, v99, v67
	v_mul_f32_e32 v26, v98, v67
	buffer_load_dword v68, off, s[0:3], 0 offset:236
	v_fma_f32 v23, v98, v69, -v23
	v_fmac_f32_e32 v26, v99, v69
	buffer_load_dword v69, off, s[0:3], 0 offset:232
	ds_read2_b64 v[58:61], v170 offset0:47 offset1:48
	ds_read2_b64 v[64:67], v170 offset0:45 offset1:46
	v_sub_f32_e32 v1, v1, v23
	v_sub_f32_e32 v9, v9, v26
	v_mul_f32_e32 v23, v97, v72
	v_mul_f32_e32 v26, v96, v72
	v_fma_f32 v23, v96, v70, -v23
	v_fmac_f32_e32 v26, v97, v70
	v_sub_f32_e32 v1, v1, v23
	v_sub_f32_e32 v9, v9, v26
	s_waitcnt lgkmcnt(1)
	v_mul_f32_e32 v23, v61, v124
	v_mul_f32_e32 v26, v60, v124
	v_fma_f32 v23, v60, v71, -v23
	v_fmac_f32_e32 v26, v61, v71
	v_sub_f32_e32 v1, v1, v23
	v_sub_f32_e32 v9, v9, v26
	v_mul_f32_e32 v23, v59, v73
	v_mul_f32_e32 v26, v58, v73
	v_fma_f32 v23, v58, v74, -v23
	v_fmac_f32_e32 v26, v59, v74
	ds_read2_b64 v[58:61], v170 offset0:43 offset1:44
	v_sub_f32_e32 v1, v1, v23
	v_sub_f32_e32 v9, v9, v26
	s_waitcnt lgkmcnt(1)
	v_mul_f32_e32 v23, v67, v130
	v_mul_f32_e32 v26, v66, v130
	v_fma_f32 v23, v66, v131, -v23
	v_fmac_f32_e32 v26, v67, v131
	v_sub_f32_e32 v1, v1, v23
	v_sub_f32_e32 v9, v9, v26
	v_mul_f32_e32 v23, v65, v40
	v_mul_f32_e32 v26, v64, v40
	v_fma_f32 v23, v64, v0, -v23
	v_fmac_f32_e32 v26, v65, v0
	ds_read2_b64 v[64:67], v170 offset0:41 offset1:42
	v_sub_f32_e32 v0, v1, v23
	v_sub_f32_e32 v1, v9, v26
	s_waitcnt lgkmcnt(1)
	v_mul_f32_e32 v9, v61, v179
	v_mul_f32_e32 v23, v60, v179
	v_fma_f32 v9, v60, v181, -v9
	v_fmac_f32_e32 v23, v61, v181
	v_sub_f32_e32 v0, v0, v9
	v_sub_f32_e32 v1, v1, v23
	s_waitcnt vmcnt(13)
	v_mul_f32_e32 v9, v59, v105
	v_mul_f32_e32 v23, v58, v105
	s_waitcnt vmcnt(11)
	v_fma_f32 v9, v58, v137, -v9
	v_fmac_f32_e32 v23, v59, v137
	v_sub_f32_e32 v0, v0, v9
	v_sub_f32_e32 v1, v1, v23
	buffer_load_dword v9, off, s[0:3], 0 offset:172
	buffer_load_dword v70, off, s[0:3], 0 offset:168
	s_waitcnt vmcnt(5) lgkmcnt(0)
	v_mul_f32_e32 v23, v67, v27
	ds_read2_b64 v[58:61], v170 offset0:39 offset1:40
	s_waitcnt vmcnt(4)
	v_fma_f32 v23, v66, v35, -v23
	v_mul_f32_e32 v26, v66, v27
	v_fmac_f32_e32 v26, v67, v35
	v_sub_f32_e32 v0, v0, v23
	v_mul_f32_e32 v23, v65, v24
	v_mul_f32_e32 v24, v64, v24
	v_sub_f32_e32 v1, v1, v26
	v_fma_f32 v23, v64, v25, -v23
	v_fmac_f32_e32 v24, v65, v25
	v_sub_f32_e32 v0, v0, v23
	v_sub_f32_e32 v1, v1, v24
	ds_read2_b64 v[23:26], v170 offset0:37 offset1:38
	s_waitcnt lgkmcnt(1)
	v_mul_f32_e32 v27, v61, v6
	v_mul_f32_e32 v6, v60, v6
	v_fmac_f32_e32 v6, v61, v33
	v_fma_f32 v27, v60, v33, -v27
	v_sub_f32_e32 v1, v1, v6
	v_mul_f32_e32 v6, v59, v50
	v_sub_f32_e32 v0, v0, v27
	v_fma_f32 v6, v58, v52, -v6
	v_mul_f32_e32 v27, v58, v50
	v_fmac_f32_e32 v27, v59, v52
	v_sub_f32_e32 v0, v0, v6
	s_waitcnt lgkmcnt(0)
	v_mul_f32_e32 v6, v26, v22
	v_mul_f32_e32 v22, v25, v22
	ds_read2_b64 v[58:61], v170 offset0:35 offset1:36
	v_sub_f32_e32 v1, v1, v27
	v_fmac_f32_e32 v22, v26, v38
	v_fma_f32 v6, v25, v38, -v6
	v_sub_f32_e32 v1, v1, v22
	v_mul_f32_e32 v22, v23, v48
	v_sub_f32_e32 v0, v0, v6
	v_mul_f32_e32 v6, v24, v48
	v_fmac_f32_e32 v22, v24, v49
	v_fma_f32 v6, v23, v49, -v6
	v_sub_f32_e32 v1, v1, v22
	ds_read2_b64 v[22:25], v170 offset0:33 offset1:34
	s_waitcnt lgkmcnt(1)
	v_mul_f32_e32 v26, v60, v37
	v_fmac_f32_e32 v26, v61, v148
	v_sub_f32_e32 v1, v1, v26
	v_mul_f32_e32 v26, v58, v30
	v_sub_f32_e32 v0, v0, v6
	v_mul_f32_e32 v6, v61, v37
	v_fmac_f32_e32 v26, v59, v32
	v_fma_f32 v6, v60, v148, -v6
	v_sub_f32_e32 v1, v1, v26
	s_waitcnt vmcnt(3) lgkmcnt(0)
	v_mul_f32_e32 v26, v25, v68
	v_sub_f32_e32 v0, v0, v6
	v_mul_f32_e32 v6, v59, v30
	s_waitcnt vmcnt(2)
	v_fma_f32 v26, v24, v69, -v26
	v_mul_f32_e32 v24, v24, v68
	v_fma_f32 v6, v58, v32, -v6
	v_fmac_f32_e32 v24, v25, v69
	v_sub_f32_e32 v0, v0, v6
	v_sub_f32_e32 v1, v1, v24
	;; [unrolled: 1-line block ×3, first 2 shown]
	v_mul_f32_e32 v24, v23, v1
	v_fma_f32 v48, v22, v0, -v24
	ds_read_b128 v[24:27], v170 offset:240
	v_mul_f32_e32 v49, v22, v1
	buffer_load_dword v6, off, s[0:3], 0 offset:236
	buffer_load_dword v50, off, s[0:3], 0 offset:232
	v_fmac_f32_e32 v49, v23, v0
	buffer_store_dword v48, off, s[0:3], 0 offset:240
	buffer_store_dword v49, off, s[0:3], 0 offset:244
	ds_read_b128 v[58:61], v170 offset:224
	s_waitcnt lgkmcnt(1)
	v_mul_f32_e32 v0, v27, v56
	v_fma_f32 v0, v26, v31, -v0
	v_mul_f32_e32 v1, v26, v56
	v_mul_f32_e32 v22, v25, v41
	v_fmac_f32_e32 v1, v27, v31
	v_sub_f32_e32 v0, v36, v0
	v_fma_f32 v22, v24, v3, -v22
	v_mul_f32_e32 v23, v24, v41
	v_sub_f32_e32 v1, v39, v1
	v_fmac_f32_e32 v23, v25, v3
	v_sub_f32_e32 v0, v0, v22
	s_waitcnt lgkmcnt(0)
	v_mul_f32_e32 v22, v60, v77
	v_sub_f32_e32 v1, v1, v23
	v_fmac_f32_e32 v22, v61, v53
	v_sub_f32_e32 v1, v1, v22
	ds_read_b128 v[22:25], v170 offset:208
	ds_read_b128 v[30:33], v170 offset:192
	v_mul_f32_e32 v2, v61, v77
	v_fma_f32 v2, v60, v53, -v2
	v_sub_f32_e32 v0, v0, v2
	v_mul_f32_e32 v2, v59, v63
	v_fma_f32 v2, v58, v57, -v2
	v_sub_f32_e32 v0, v0, v2
	s_waitcnt lgkmcnt(1)
	v_mul_f32_e32 v2, v25, v81
	v_mul_f32_e32 v26, v58, v63
	v_fma_f32 v2, v24, v76, -v2
	v_fmac_f32_e32 v26, v59, v57
	v_mul_f32_e32 v24, v24, v81
	v_sub_f32_e32 v0, v0, v2
	v_mul_f32_e32 v2, v23, v79
	v_sub_f32_e32 v1, v1, v26
	v_fmac_f32_e32 v24, v25, v76
	v_fma_f32 v2, v22, v78, -v2
	v_mul_f32_e32 v22, v22, v79
	v_sub_f32_e32 v1, v1, v24
	v_fmac_f32_e32 v22, v23, v78
	v_sub_f32_e32 v0, v0, v2
	v_sub_f32_e32 v1, v1, v22
	s_waitcnt lgkmcnt(0)
	v_mul_f32_e32 v2, v33, v86
	v_mul_f32_e32 v22, v32, v86
	v_fma_f32 v2, v32, v80, -v2
	v_fmac_f32_e32 v22, v33, v80
	v_mul_f32_e32 v26, v30, v84
	v_sub_f32_e32 v0, v0, v2
	v_sub_f32_e32 v1, v1, v22
	v_mul_f32_e32 v2, v31, v84
	v_fmac_f32_e32 v26, v31, v83
	v_fma_f32 v2, v30, v83, -v2
	ds_read_b128 v[22:25], v170 offset:176
	ds_read_b128 v[30:33], v170 offset:160
	v_sub_f32_e32 v1, v1, v26
	buffer_load_dword v26, off, s[0:3], 0 offset:180
	buffer_load_dword v27, off, s[0:3], 0 offset:176
	v_sub_f32_e32 v0, v0, v2
	s_waitcnt lgkmcnt(1)
	v_mul_f32_e32 v2, v25, v90
	v_fma_f32 v2, v24, v85, -v2
	v_mul_f32_e32 v24, v24, v90
	v_sub_f32_e32 v0, v0, v2
	v_mul_f32_e32 v2, v23, v88
	v_fmac_f32_e32 v24, v25, v85
	v_fma_f32 v2, v22, v87, -v2
	v_mul_f32_e32 v22, v22, v88
	v_sub_f32_e32 v1, v1, v24
	v_fmac_f32_e32 v22, v23, v87
	v_sub_f32_e32 v1, v1, v22
	ds_read_b128 v[22:25], v170 offset:144
	v_sub_f32_e32 v0, v0, v2
	s_waitcnt lgkmcnt(1)
	v_mul_f32_e32 v2, v33, v20
	v_fma_f32 v2, v32, v15, -v2
	v_mul_f32_e32 v20, v32, v20
	v_fmac_f32_e32 v20, v33, v15
	v_sub_f32_e32 v0, v0, v2
	v_mul_f32_e32 v2, v31, v42
	v_mul_f32_e32 v15, v30, v42
	v_sub_f32_e32 v1, v1, v20
	v_fma_f32 v2, v30, v16, -v2
	v_fmac_f32_e32 v15, v31, v16
	ds_read_b128 v[30:33], v170 offset:128
	v_sub_f32_e32 v0, v0, v2
	v_sub_f32_e32 v1, v1, v15
	s_waitcnt lgkmcnt(1)
	v_mul_f32_e32 v2, v25, v45
	v_mul_f32_e32 v15, v24, v45
	v_fma_f32 v2, v24, v18, -v2
	v_fmac_f32_e32 v15, v25, v18
	v_sub_f32_e32 v0, v0, v2
	v_sub_f32_e32 v1, v1, v15
	v_mul_f32_e32 v2, v23, v34
	v_mul_f32_e32 v15, v22, v34
	v_fma_f32 v2, v22, v43, -v2
	v_fmac_f32_e32 v15, v23, v43
	ds_read_b128 v[22:25], v170 offset:80
	ds_read_b128 v[34:37], v170 offset:96
	;; [unrolled: 1-line block ×3, first 2 shown]
	v_sub_f32_e32 v0, v0, v2
	s_waitcnt lgkmcnt(3)
	v_mul_f32_e32 v2, v33, v51
	v_fma_f32 v2, v32, v44, -v2
	v_sub_f32_e32 v1, v1, v15
	v_mul_f32_e32 v15, v32, v51
	v_sub_f32_e32 v0, v0, v2
	v_mul_f32_e32 v2, v31, v4
	v_fmac_f32_e32 v15, v33, v44
	v_fma_f32 v2, v30, v47, -v2
	v_mul_f32_e32 v3, v30, v4
	v_sub_f32_e32 v1, v1, v15
	v_fmac_f32_e32 v3, v31, v47
	v_sub_f32_e32 v0, v0, v2
	s_waitcnt lgkmcnt(0)
	v_mul_f32_e32 v2, v41, v54
	v_sub_f32_e32 v1, v1, v3
	v_fma_f32 v2, v40, v55, -v2
	v_mul_f32_e32 v3, v40, v54
	v_fmac_f32_e32 v3, v41, v55
	v_sub_f32_e32 v0, v0, v2
	v_mul_f32_e32 v2, v39, v89
	v_sub_f32_e32 v1, v1, v3
	v_fma_f32 v2, v38, v91, -v2
	v_mul_f32_e32 v3, v38, v89
	v_fmac_f32_e32 v3, v39, v91
	v_sub_f32_e32 v0, v0, v2
	;; [unrolled: 6-line block ×3, first 2 shown]
	v_mul_f32_e32 v2, v35, v13
	buffer_load_dword v18, off, s[0:3], 0 offset:244
	buffer_load_dword v30, off, s[0:3], 0 offset:240
	v_sub_f32_e32 v1, v1, v3
	v_fma_f32 v2, v34, v29, -v2
	v_mul_f32_e32 v3, v34, v13
	ds_read_b128 v[13:16], v170 offset:64
	v_sub_f32_e32 v0, v0, v2
	v_mul_f32_e32 v2, v25, v136
	v_fma_f32 v2, v24, v138, -v2
	v_sub_f32_e32 v0, v0, v2
	s_waitcnt vmcnt(9)
	v_mul_f32_e32 v2, v23, v9
	s_waitcnt vmcnt(8)
	v_fma_f32 v2, v22, v70, -v2
	v_sub_f32_e32 v0, v0, v2
	s_waitcnt vmcnt(3) lgkmcnt(0)
	v_mul_f32_e32 v2, v16, v26
	s_waitcnt vmcnt(2)
	v_fma_f32 v2, v15, v27, -v2
	v_sub_f32_e32 v0, v0, v2
	buffer_load_dword v2, off, s[0:3], 0 offset:260 ; 4-byte Folded Reload
	v_fmac_f32_e32 v3, v35, v29
	v_sub_f32_e32 v1, v1, v3
	v_mul_f32_e32 v3, v24, v136
	v_fmac_f32_e32 v3, v25, v138
	v_sub_f32_e32 v1, v1, v3
	v_mul_f32_e32 v3, v22, v9
	;; [unrolled: 3-line block ×3, first 2 shown]
	v_fmac_f32_e32 v3, v16, v27
	v_sub_f32_e32 v9, v1, v3
	s_waitcnt vmcnt(0)
	v_mul_f32_e32 v1, v14, v2
	v_mul_f32_e32 v21, v13, v2
	v_fma_f32 v20, v13, v28, -v1
	v_fmac_f32_e32 v21, v14, v28
	ds_read_b128 v[1:4], v170 offset:32
	ds_read_b128 v[13:16], v170 offset:48
	v_sub_f32_e32 v9, v9, v21
	v_sub_f32_e32 v0, v0, v20
	ds_read_b128 v[20:23], v170
	ds_read_b128 v[24:27], v170 offset:16
	s_waitcnt lgkmcnt(2)
	v_mul_f32_e32 v28, v16, v17
	v_fma_f32 v28, v15, v19, -v28
	v_mul_f32_e32 v15, v15, v17
	v_fmac_f32_e32 v15, v16, v19
	v_sub_f32_e32 v9, v9, v15
	v_mul_f32_e32 v15, v14, v10
	v_mul_f32_e32 v10, v13, v10
	v_fmac_f32_e32 v10, v14, v11
	v_sub_f32_e32 v9, v9, v10
	v_mul_f32_e32 v10, v4, v7
	v_fma_f32 v10, v3, v12, -v10
	v_mul_f32_e32 v3, v3, v7
	v_fmac_f32_e32 v3, v4, v12
	v_mul_f32_e32 v4, v2, v5
	v_sub_f32_e32 v0, v0, v28
	v_fma_f32 v15, v13, v11, -v15
	v_fma_f32 v4, v1, v8, -v4
	v_mul_f32_e32 v1, v1, v5
	v_sub_f32_e32 v0, v0, v15
	v_sub_f32_e32 v3, v9, v3
	v_fmac_f32_e32 v1, v2, v8
	v_sub_f32_e32 v0, v0, v10
	v_sub_f32_e32 v1, v3, v1
	s_waitcnt lgkmcnt(0)
	v_mul_f32_e32 v2, v27, v46
	v_mul_f32_e32 v3, v26, v46
	v_sub_f32_e32 v0, v0, v4
	v_fma_f32 v2, v26, v62, -v2
	v_fmac_f32_e32 v3, v27, v62
	v_sub_f32_e32 v0, v0, v2
	v_sub_f32_e32 v1, v1, v3
	v_mul_f32_e32 v2, v25, v6
	v_mul_f32_e32 v3, v24, v6
	v_fma_f32 v2, v24, v50, -v2
	v_fmac_f32_e32 v3, v25, v50
	v_sub_f32_e32 v0, v0, v2
	v_sub_f32_e32 v1, v1, v3
	v_mul_f32_e32 v2, v23, v18
	v_mul_f32_e32 v3, v22, v18
	;; [unrolled: 6-line block ×3, first 2 shown]
	v_fma_f32 v1, v20, v0, -v1
	v_fmac_f32_e32 v2, v21, v0
	buffer_store_dword v1, off, s[0:3], 0 offset:248
	buffer_store_dword v2, off, s[0:3], 0 offset:252
	ds_write2_b64 v169, v[1:2], v[48:49] offset1:32
.LBB170_21:
	s_cmp_gt_i32 s14, -1
	s_cbranch_scc0 .LBB170_46
; %bb.22:
	s_cmp_lt_u32 s14, 27
	s_cbranch_scc1 .LBB170_30
; %bb.23:
	s_lshl_b32 s15, s14, 8
	v_add_u32_e32 v47, s15, v169
	v_add_u32_e32 v1, 0xffffff00, v47
	;; [unrolled: 1-line block ×3, first 2 shown]
	ds_read_b64 v[3:4], v47
	v_add_u32_e32 v9, 0xfffffd00, v47
	ds_read_b64 v[5:6], v1
	ds_read_b64 v[7:8], v2
	;; [unrolled: 1-line block ×3, first 2 shown]
	v_add_u32_e32 v10, 0xfffff900, v47
	s_waitcnt lgkmcnt(3)
	buffer_store_dword v4, off, s[0:3], 0 offset:4
	buffer_store_dword v3, off, s[0:3], 0
	s_waitcnt lgkmcnt(2)
	buffer_store_dword v6, off, s[0:3], 0 offset:12
	buffer_store_dword v5, off, s[0:3], 0 offset:8
	s_waitcnt lgkmcnt(1)
	buffer_store_dword v8, off, s[0:3], 0 offset:20
	buffer_store_dword v7, off, s[0:3], 0 offset:16
	;; [unrolled: 3-line block ×3, first 2 shown]
	v_add_u32_e32 v2, 0xfffffc00, v47
	v_add_u32_e32 v4, 0xfffffb00, v47
	;; [unrolled: 1-line block ×3, first 2 shown]
	ds_read_b64 v[2:3], v2
	ds_read_b64 v[8:9], v4
	;; [unrolled: 1-line block ×4, first 2 shown]
	s_waitcnt lgkmcnt(3)
	buffer_store_dword v3, off, s[0:3], 0 offset:36
	buffer_store_dword v2, off, s[0:3], 0 offset:32
	s_waitcnt lgkmcnt(2)
	buffer_store_dword v9, off, s[0:3], 0 offset:44
	buffer_store_dword v8, off, s[0:3], 0 offset:40
	;; [unrolled: 3-line block ×4, first 2 shown]
	v_add_u32_e32 v9, 0xfffff800, v47
	v_add_u32_e32 v11, 0xfffff700, v47
	;; [unrolled: 1-line block ×4, first 2 shown]
	ds_read_b64 v[9:10], v9
	ds_read_b64 v[15:16], v11
	;; [unrolled: 1-line block ×4, first 2 shown]
	s_waitcnt lgkmcnt(3)
	buffer_store_dword v10, off, s[0:3], 0 offset:68
	buffer_store_dword v9, off, s[0:3], 0 offset:64
	s_waitcnt lgkmcnt(2)
	buffer_store_dword v15, off, s[0:3], 0 offset:72
	buffer_store_dword v16, off, s[0:3], 0 offset:76
	s_waitcnt lgkmcnt(1)
	buffer_store_dword v11, off, s[0:3], 0 offset:80
	buffer_store_dword v12, off, s[0:3], 0 offset:84
	s_waitcnt lgkmcnt(0)
	buffer_store_dword v13, off, s[0:3], 0 offset:88
	buffer_store_dword v14, off, s[0:3], 0 offset:92
	v_add_u32_e32 v10, 0xfffff400, v47
	ds_read_b64 v[17:18], v10
	v_add_u32_e32 v10, 0xfffff300, v47
	v_add_u32_e32 v19, 0xfffff100, v47
	v_add_u32_e32 v14, 0xfffff200, v47
	ds_read_b64 v[21:22], v10
	ds_read_b64 v[23:24], v14
	ds_read_b64 v[19:20], v19
	s_waitcnt lgkmcnt(3)
	buffer_store_dword v17, off, s[0:3], 0 offset:96
	buffer_store_dword v18, off, s[0:3], 0 offset:100
	s_waitcnt lgkmcnt(2)
	buffer_store_dword v21, off, s[0:3], 0 offset:104
	buffer_store_dword v22, off, s[0:3], 0 offset:108
	s_waitcnt lgkmcnt(1)
	buffer_store_dword v24, off, s[0:3], 0 offset:116
	buffer_store_dword v23, off, s[0:3], 0 offset:112
	s_waitcnt lgkmcnt(0)
	buffer_store_dword v19, off, s[0:3], 0 offset:120
	buffer_store_dword v20, off, s[0:3], 0 offset:124
	v_add_u32_e32 v10, 0xfffff000, v47
	ds_read_b64 v[24:25], v10
	v_add_u32_e32 v10, 0xffffef00, v47
	v_add_u32_e32 v26, 0xffffed00, v47
	v_add_u32_e32 v14, 0xffffee00, v47
	ds_read_b64 v[30:31], v10
	ds_read_b64 v[28:29], v14
	ds_read_b64 v[26:27], v26
	;; [unrolled: 20-line block ×4, first 2 shown]
	s_cmp_gt_i32 s9, s14
	s_waitcnt lgkmcnt(3)
	buffer_store_dword v39, off, s[0:3], 0 offset:192
	buffer_store_dword v40, off, s[0:3], 0 offset:196
	s_waitcnt lgkmcnt(2)
	buffer_store_dword v44, off, s[0:3], 0 offset:204
	buffer_store_dword v43, off, s[0:3], 0 offset:200
	s_waitcnt lgkmcnt(1)
	buffer_store_dword v46, off, s[0:3], 0 offset:212
	buffer_store_dword v45, off, s[0:3], 0 offset:208
	s_waitcnt lgkmcnt(0)
	buffer_store_dword v41, off, s[0:3], 0 offset:216
	buffer_store_dword v42, off, s[0:3], 0 offset:220
	s_cbranch_scc1 .LBB170_25
; %bb.24:
	buffer_load_dword v46, off, s[0:3], 0
	buffer_load_dword v10, off, s[0:3], 0 offset:4
	buffer_load_dword v14, off, s[0:3], 0 offset:8
	;; [unrolled: 1-line block ×5, first 2 shown]
	s_cbranch_execz .LBB170_26
	s_branch .LBB170_29
.LBB170_25:
                                        ; implicit-def: $vgpr10
                                        ; implicit-def: $vgpr46
                                        ; implicit-def: $vgpr14
                                        ; implicit-def: $vgpr32
                                        ; implicit-def: $vgpr36
                                        ; implicit-def: $vgpr48
.LBB170_26:
	buffer_load_dword v46, off, s[0:3], 0
	buffer_load_dword v10, off, s[0:3], 0 offset:4
	buffer_load_dword v14, off, s[0:3], 0 offset:8
	;; [unrolled: 1-line block ×14, first 2 shown]
	v_lshlrev_b32_e32 v58, 3, v215
	s_lshl_b32 s12, s26, 3
	v_lshl_or_b32 v58, s26, 8, v58
	s_add_i32 s12, s15, s12
	v_add_u32_e32 v58, 0x1f00, v58
	s_addk_i32 s12, 0xe4f8
	s_mov_b32 s13, s9
.LBB170_27:                             ; =>This Inner Loop Header: Depth=1
	v_mov_b32_e32 v71, s12
	v_add_u32_e32 v79, 0x1800, v71
	v_add_u32_e32 v95, 0x1000, v71
	;; [unrolled: 1-line block ×3, first 2 shown]
	ds_read_b64 v[115:116], v58
	ds_read2_b64 v[59:62], v71 offset0:192 offset1:224
	ds_read2_b64 v[63:66], v71 offset0:128 offset1:160
	;; [unrolled: 1-line block ×3, first 2 shown]
	ds_read2_b64 v[71:74], v71 offset1:32
	ds_read2_b64 v[75:78], v79 offset0:64 offset1:96
	ds_read2_b64 v[79:82], v79 offset1:32
	ds_read2_b64 v[83:86], v95 offset0:192 offset1:224
	ds_read2_b64 v[87:90], v95 offset0:128 offset1:160
	;; [unrolled: 1-line block ×3, first 2 shown]
	ds_read2_b64 v[95:98], v95 offset1:32
	ds_read2_b64 v[99:102], v111 offset0:192 offset1:224
	ds_read2_b64 v[103:106], v111 offset0:128 offset1:160
	;; [unrolled: 1-line block ×3, first 2 shown]
	ds_read2_b64 v[111:114], v111 offset1:32
	s_add_i32 s13, s13, -1
	s_add_i32 s12, s12, -8
	s_waitcnt lgkmcnt(13)
	v_mul_f32_e32 v117, v62, v116
	v_mul_f32_e32 v62, v62, v115
	v_mul_f32_e32 v118, v60, v116
	v_mul_f32_e32 v60, v60, v115
	s_waitcnt lgkmcnt(12)
	v_mul_f32_e32 v119, v66, v116
	v_mul_f32_e32 v66, v66, v115
	v_mul_f32_e32 v120, v64, v116
	v_mul_f32_e32 v64, v64, v115
	;; [unrolled: 5-line block ×14, first 2 shown]
	v_fma_f32 v117, v61, v115, -v117
	v_fmac_f32_e32 v62, v61, v116
	v_fma_f32 v61, v59, v115, -v118
	v_fmac_f32_e32 v60, v59, v116
	;; [unrolled: 2-line block ×28, first 2 shown]
	v_add_u32_e32 v58, 0xffffff00, v58
	s_cmp_gt_i32 s13, s14
	v_sub_f32_e32 v31, v31, v117
	s_waitcnt vmcnt(2)
	v_sub_f32_e32 v51, v51, v62
	v_sub_f32_e32 v37, v37, v61
	v_sub_f32_e32 v38, v38, v60
	v_sub_f32_e32 v33, v33, v59
	v_sub_f32_e32 v34, v34, v66
	v_sub_f32_e32 v35, v35, v65
	s_waitcnt vmcnt(1)
	v_sub_f32_e32 v50, v50, v64
	v_sub_f32_e32 v39, v39, v63
	v_sub_f32_e32 v40, v40, v70
	v_sub_f32_e32 v43, v43, v69
	v_sub_f32_e32 v44, v44, v68
	;; [unrolled: 7-line block ×3, first 2 shown]
	v_sub_f32_e32 v14, v14, v77
	v_sub_f32_e32 v32, v32, v76
	v_sub_f32_e32 v36, v36, v75
	v_sub_f32_e32 v48, v48, v82
	v_sub_f32_e32 v1, v1, v81
	v_sub_f32_e32 v57, v57, v80
	v_sub_f32_e32 v2, v2, v79
	v_sub_f32_e32 v3, v3, v86
	v_sub_f32_e32 v8, v8, v85
	v_sub_f32_e32 v56, v56, v84
	v_sub_f32_e32 v6, v6, v83
	v_sub_f32_e32 v7, v7, v90
	v_sub_f32_e32 v4, v4, v89
	v_sub_f32_e32 v5, v5, v88
	v_sub_f32_e32 v9, v9, v87
	v_sub_f32_e32 v55, v55, v94
	v_sub_f32_e32 v15, v15, v93
	v_sub_f32_e32 v16, v16, v92
	v_sub_f32_e32 v11, v11, v91
	v_sub_f32_e32 v12, v12, v98
	v_sub_f32_e32 v13, v13, v97
	v_sub_f32_e32 v54, v54, v96
	v_sub_f32_e32 v17, v17, v95
	v_sub_f32_e32 v18, v18, v102
	v_sub_f32_e32 v21, v21, v101
	v_sub_f32_e32 v22, v22, v100
	v_sub_f32_e32 v23, v23, v99
	v_sub_f32_e32 v53, v53, v106
	v_sub_f32_e32 v19, v19, v105
	v_sub_f32_e32 v20, v20, v104
	v_sub_f32_e32 v24, v24, v103
	v_sub_f32_e32 v25, v25, v110
	v_sub_f32_e32 v30, v30, v109
	v_sub_f32_e32 v52, v52, v108
	v_sub_f32_e32 v28, v28, v107
	v_sub_f32_e32 v29, v29, v114
	v_sub_f32_e32 v26, v26, v113
	v_sub_f32_e32 v27, v27, v112
	s_cbranch_scc1 .LBB170_27
; %bb.28:
	buffer_store_dword v46, off, s[0:3], 0
	buffer_store_dword v10, off, s[0:3], 0 offset:4
	buffer_store_dword v14, off, s[0:3], 0 offset:8
	;; [unrolled: 1-line block ×55, first 2 shown]
.LBB170_29:
	buffer_load_dword v13, off, s[0:3], 0 offset:24
	buffer_load_dword v17, off, s[0:3], 0 offset:28
	s_add_i32 s20, s14, -1
	s_add_i32 s22, s14, -2
	s_lshl_b32 s13, s14, 3
	s_add_i32 s27, s14, -3
	s_lshl_b32 s21, s20, 8
	s_lshl_b32 s20, s20, 3
	;; [unrolled: 1-line block ×4, first 2 shown]
	s_mul_i32 s12, s14, 0x108
	s_lshl_b32 s25, s27, 8
	s_add_i32 s20, s21, s20
	s_add_i32 s28, s23, s13
	;; [unrolled: 1-line block ×3, first 2 shown]
	v_mov_b32_e32 v1, s12
	s_lshl_b32 s27, s27, 3
	s_add_i32 s29, s25, s13
	v_mov_b32_e32 v2, s20
	v_mov_b32_e32 v5, s28
	;; [unrolled: 1-line block ×3, first 2 shown]
	buffer_load_dword v33, off, s[0:3], 0 offset:32
	buffer_load_dword v34, off, s[0:3], 0 offset:36
	;; [unrolled: 1-line block ×6, first 2 shown]
	s_add_i32 s27, s25, s27
	s_add_i32 s20, s29, -8
	ds_read_b64 v[11:12], v1
	ds_read2_b64 v[1:4], v2 offset1:1
	ds_read_b64 v[15:16], v5
	ds_read2_b64 v[5:8], v6 offset1:1
	v_mov_b32_e32 v9, s27
	v_mov_b32_e32 v19, s20
	ds_read2_b64 v[19:22], v19 offset1:1
	ds_read2_b64 v[28:31], v9 offset1:1
	s_waitcnt vmcnt(12) lgkmcnt(5)
	v_mul_f32_e32 v9, v12, v10
	v_mul_f32_e32 v10, v11, v10
	v_fmac_f32_e32 v10, v12, v46
	v_fma_f32 v9, v11, v46, -v9
	s_waitcnt lgkmcnt(4)
	v_mul_f32_e32 v12, v3, v10
	v_mul_f32_e32 v11, v4, v10
	v_fmac_f32_e32 v12, v4, v9
	s_waitcnt lgkmcnt(3)
	v_mul_f32_e32 v24, v16, v10
	v_fma_f32 v3, v3, v9, -v11
	s_waitcnt lgkmcnt(1)
	v_mul_f32_e32 v11, v22, v10
	s_waitcnt vmcnt(10)
	v_sub_f32_e32 v12, v32, v12
	v_fma_f32 v4, v15, v9, -v24
	v_mul_f32_e32 v24, v21, v10
	v_sub_f32_e32 v3, v14, v3
	v_fma_f32 v21, v21, v9, -v11
	v_mul_f32_e32 v11, v2, v12
	v_mul_f32_e32 v12, v1, v12
	;; [unrolled: 1-line block ×3, first 2 shown]
	v_fmac_f32_e32 v12, v2, v3
	v_fmac_f32_e32 v25, v16, v9
	v_fma_f32 v11, v1, v3, -v11
	v_mul_f32_e32 v2, v7, v12
	s_waitcnt vmcnt(8)
	v_sub_f32_e32 v14, v48, v25
	v_mul_f32_e32 v1, v8, v12
	v_fmac_f32_e32 v2, v8, v11
	v_sub_f32_e32 v4, v36, v4
	v_fma_f32 v1, v7, v11, -v1
	v_sub_f32_e32 v2, v14, v2
	v_sub_f32_e32 v1, v4, v1
	v_mul_f32_e32 v16, v5, v2
	v_fmac_f32_e32 v24, v22, v9
	v_mul_f32_e32 v3, v20, v12
	v_mul_f32_e32 v22, v19, v12
	;; [unrolled: 1-line block ×3, first 2 shown]
	v_fmac_f32_e32 v16, v6, v1
	v_fma_f32 v3, v19, v11, -v3
	v_fmac_f32_e32 v22, v20, v11
	v_fma_f32 v15, v5, v1, -v4
	s_waitcnt lgkmcnt(0)
	v_mul_f32_e32 v2, v30, v16
	v_mul_f32_e32 v1, v31, v16
	v_fmac_f32_e32 v2, v31, v15
	v_fma_f32 v1, v30, v15, -v1
	s_add_i32 s22, s14, -4
	s_lshl_b32 s28, s22, 8
	s_add_i32 s20, s14, -5
	s_add_i32 s29, s28, s13
	s_lshl_b32 s27, s22, 3
	s_lshl_b32 s22, s20, 8
	s_add_i32 s30, s28, s27
	s_add_i32 s27, s22, s13
	s_lshl_b32 s34, s20, 3
	v_add_u32_e32 v79, s23, v169
	s_waitcnt vmcnt(7)
	v_sub_f32_e32 v4, v13, v21
	s_waitcnt vmcnt(6)
	v_sub_f32_e32 v5, v17, v24
	v_sub_f32_e32 v3, v4, v3
	;; [unrolled: 1-line block ×5, first 2 shown]
	v_mul_f32_e32 v3, v29, v2
	v_mul_f32_e32 v2, v28, v2
	v_fmac_f32_e32 v2, v29, v1
	v_fma_f32 v3, v28, v1, -v3
	buffer_store_dword v2, off, s[0:3], 0 offset:28
	buffer_load_dword v14, off, s[0:3], 0 offset:28
	v_mov_b32_e32 v1, s29
	buffer_store_dword v3, off, s[0:3], 0 offset:24
	buffer_load_dword v13, off, s[0:3], 0 offset:24
	ds_read_b64 v[24:25], v1
	s_add_i32 s29, s29, -16
	v_mov_b32_e32 v2, s30
	s_add_i32 s30, s27, -8
	v_mov_b32_e32 v1, s29
	v_mov_b32_e32 v3, s30
	ds_read2_b64 v[19:22], v1 offset1:1
	ds_read2_b64 v[5:8], v2 offset1:1
	;; [unrolled: 1-line block ×3, first 2 shown]
	s_waitcnt lgkmcnt(3)
	v_mul_f32_e32 v17, v25, v10
	v_mul_f32_e32 v28, v24, v10
	v_fma_f32 v17, v24, v9, -v17
	s_waitcnt lgkmcnt(2)
	v_mul_f32_e32 v24, v22, v12
	v_fmac_f32_e32 v28, v25, v9
	v_mul_f32_e32 v25, v21, v12
	v_fma_f32 v21, v21, v11, -v24
	v_mul_f32_e32 v24, v19, v16
	v_fmac_f32_e32 v25, v22, v11
	v_mul_f32_e32 v22, v20, v16
	v_fmac_f32_e32 v24, v20, v15
	s_waitcnt vmcnt(8)
	v_sub_f32_e32 v20, v34, v28
	v_sub_f32_e32 v17, v33, v17
	;; [unrolled: 1-line block ×3, first 2 shown]
	v_fma_f32 v19, v19, v15, -v22
	v_sub_f32_e32 v17, v17, v21
	v_sub_f32_e32 v30, v20, v24
	;; [unrolled: 1-line block ×3, first 2 shown]
	buffer_load_dword v29, off, s[0:3], 0 offset:24
	buffer_load_dword v33, off, s[0:3], 0 offset:24
	;; [unrolled: 1-line block ×14, first 2 shown]
	s_sub_i32 s27, s27, 24
	s_add_i32 s23, s22, s34
	s_add_i32 s29, s14, -6
	s_add_i32 s33, s14, -7
	;; [unrolled: 1-line block ×3, first 2 shown]
	s_lshl_b32 s30, s29, 8
	s_lshl_b32 s35, s29, 3
	;; [unrolled: 1-line block ×5, first 2 shown]
	v_add_u32_e32 v85, s25, v169
	s_add_i32 s25, s30, s13
	v_add_u32_e32 v75, s21, v169
	v_add_u32_e32 v86, s28, v169
	s_add_i32 s28, s30, s35
	s_add_i32 s34, s29, s13
	;; [unrolled: 1-line block ×4, first 2 shown]
	v_mov_b32_e32 v38, s21
	s_waitcnt vmcnt(16) lgkmcnt(1)
	v_mul_f32_e32 v32, v7, v14
	v_mul_f32_e32 v31, v8, v14
	s_waitcnt vmcnt(14)
	v_fmac_f32_e32 v32, v8, v13
	v_fma_f32 v7, v7, v13, -v31
	v_sub_f32_e32 v8, v30, v32
	v_sub_f32_e32 v7, v28, v7
	v_mul_f32_e32 v28, v6, v8
	v_mul_f32_e32 v8, v5, v8
	v_fmac_f32_e32 v8, v6, v7
	v_fma_f32 v5, v5, v7, -v28
	buffer_store_dword v8, off, s[0:3], 0 offset:36
	buffer_load_dword v53, off, s[0:3], 0 offset:36
	v_mov_b32_e32 v8, s27
	buffer_store_dword v5, off, s[0:3], 0 offset:32
	buffer_load_dword v52, off, s[0:3], 0 offset:32
	buffer_load_dword v35, off, s[0:3], 0 offset:56
	;; [unrolled: 1-line block ×9, first 2 shown]
	v_mov_b32_e32 v7, s23
	ds_read2_b64 v[43:46], v8 offset1:1
	ds_read2_b64 v[48:51], v7 offset1:1
	s_waitcnt lgkmcnt(2)
	v_mul_f32_e32 v7, v4, v10
	v_mul_f32_e32 v8, v3, v10
	v_fma_f32 v3, v3, v9, -v7
	v_fmac_f32_e32 v8, v4, v9
	v_mul_f32_e32 v4, v2, v12
	v_mul_f32_e32 v7, v1, v12
	v_fma_f32 v1, v1, v11, -v4
	v_fmac_f32_e32 v7, v2, v11
	s_waitcnt lgkmcnt(1)
	v_mul_f32_e32 v2, v46, v16
	v_mul_f32_e32 v4, v45, v16
	v_sub_f32_e32 v3, v23, v3
	v_sub_f32_e32 v8, v26, v8
	v_fma_f32 v2, v45, v15, -v2
	v_fmac_f32_e32 v4, v46, v15
	v_sub_f32_e32 v1, v3, v1
	v_sub_f32_e32 v3, v8, v7
	;; [unrolled: 1-line block ×4, first 2 shown]
	v_mul_f32_e32 v4, v43, v14
	v_mul_f32_e32 v3, v44, v14
	v_fmac_f32_e32 v4, v44, v13
	v_fma_f32 v3, v43, v13, -v3
	v_sub_f32_e32 v2, v2, v4
	v_sub_f32_e32 v1, v1, v3
	buffer_load_dword v90, off, s[0:3], 0 offset:32
	buffer_load_dword v77, off, s[0:3], 0 offset:32
	;; [unrolled: 1-line block ×14, first 2 shown]
	s_add_i32 s23, s25, -16
	v_mov_b32_e32 v30, s28
	s_add_i32 s27, s34, -8
	s_sub_i32 s28, s34, 24
	s_sub_i32 s34, s34, 40
	v_mov_b32_e32 v31, s33
	s_add_i32 s33, s21, -16
	v_mov_b32_e32 v43, s23
	v_mov_b32_e32 v45, s27
	;; [unrolled: 1-line block ×5, first 2 shown]
	s_sub_i32 s23, s21, 32
	s_sub_i32 s21, s21, 48
	s_waitcnt vmcnt(24) lgkmcnt(0)
	v_mul_f32_e32 v4, v50, v53
	v_mul_f32_e32 v3, v51, v53
	s_waitcnt vmcnt(22)
	v_fmac_f32_e32 v4, v51, v52
	v_fma_f32 v3, v50, v52, -v3
	v_sub_f32_e32 v2, v2, v4
	v_sub_f32_e32 v1, v1, v3
	v_mul_f32_e32 v3, v49, v2
	v_mul_f32_e32 v2, v48, v2
	v_fmac_f32_e32 v2, v49, v1
	v_fma_f32 v3, v48, v1, -v3
	buffer_store_dword v2, off, s[0:3], 0 offset:44
	buffer_load_dword v4, off, s[0:3], 0 offset:44
	v_mov_b32_e32 v1, s25
	buffer_store_dword v3, off, s[0:3], 0 offset:40
	buffer_load_dword v3, off, s[0:3], 0 offset:40
	s_sub_i32 s25, s25, 32
	v_mov_b32_e32 v44, s25
	ds_read_b64 v[1:2], v1
	ds_read2_b64 v[48:51], v43 offset1:1
	ds_read2_b64 v[58:61], v44 offset1:1
	;; [unrolled: 1-line block ×7, first 2 shown]
	ds_read_b64 v[43:44], v38
	ds_read2_b64 v[100:103], v69 offset1:1
	buffer_store_dword v9, off, s[0:3], 0
	buffer_store_dword v10, off, s[0:3], 0 offset:4
	ds_write_b64 v47, v[9:10]
	buffer_load_dword v89, off, s[0:3], 0
	buffer_load_dword v104, off, s[0:3], 0 offset:4
	s_waitcnt lgkmcnt(10)
	v_mul_f32_e32 v30, v2, v10
	v_mul_f32_e32 v31, v1, v10
	v_fma_f32 v1, v1, v9, -v30
	v_fmac_f32_e32 v31, v2, v9
	s_waitcnt lgkmcnt(6)
	v_mul_f32_e32 v2, v74, v10
	v_mul_f32_e32 v47, v73, v10
	;; [unrolled: 1-line block ×4, first 2 shown]
	v_fma_f32 v10, v50, v11, -v10
	v_fmac_f32_e32 v30, v51, v11
	v_mul_f32_e32 v38, v49, v16
	v_mul_f32_e32 v45, v48, v16
	v_sub_f32_e32 v1, v18, v1
	v_sub_f32_e32 v18, v27, v31
	v_fma_f32 v38, v48, v15, -v38
	v_fmac_f32_e32 v45, v49, v15
	v_sub_f32_e32 v1, v1, v10
	v_sub_f32_e32 v10, v18, v30
	v_mul_f32_e32 v18, v61, v14
	v_mul_f32_e32 v27, v60, v14
	v_sub_f32_e32 v1, v1, v38
	v_sub_f32_e32 v10, v10, v45
	v_fma_f32 v18, v60, v13, -v18
	v_fmac_f32_e32 v27, v61, v13
	v_sub_f32_e32 v1, v1, v18
	v_sub_f32_e32 v10, v10, v27
	v_mul_f32_e32 v18, v59, v53
	v_mul_f32_e32 v27, v58, v53
	v_fma_f32 v18, v58, v52, -v18
	v_fmac_f32_e32 v27, v59, v52
	v_sub_f32_e32 v1, v1, v18
	v_sub_f32_e32 v18, v10, v27
	buffer_load_dword v113, off, s[0:3], 0 offset:40
	buffer_load_dword v114, off, s[0:3], 0 offset:40
	buffer_load_dword v59, off, s[0:3], 0 offset:40
	buffer_load_dword v56, off, s[0:3], 0 offset:40
	buffer_load_dword v10, off, s[0:3], 0 offset:40
	buffer_load_dword v38, off, s[0:3], 0 offset:40
	buffer_load_dword v30, off, s[0:3], 0 offset:40
	buffer_load_dword v115, off, s[0:3], 0 offset:44
	buffer_load_dword v116, off, s[0:3], 0 offset:44
	buffer_load_dword v68, off, s[0:3], 0 offset:44
	buffer_load_dword v69, off, s[0:3], 0 offset:44
	buffer_load_dword v58, off, s[0:3], 0 offset:44
	buffer_load_dword v60, off, s[0:3], 0 offset:44
	buffer_load_dword v31, off, s[0:3], 0 offset:44
	v_fmac_f32_e32 v47, v74, v9
	s_waitcnt vmcnt(20)
	v_mul_f32_e32 v45, v66, v4
	v_mul_f32_e32 v27, v67, v4
	s_waitcnt vmcnt(18)
	v_fmac_f32_e32 v45, v67, v3
	v_fma_f32 v27, v66, v3, -v27
	v_sub_f32_e32 v18, v18, v45
	v_sub_f32_e32 v1, v1, v27
	v_mul_f32_e32 v27, v65, v18
	v_mul_f32_e32 v18, v64, v18
	v_fma_f32 v27, v64, v1, -v27
	v_fmac_f32_e32 v18, v65, v1
	buffer_store_dword v27, off, s[0:3], 0 offset:48
	buffer_store_dword v18, off, s[0:3], 0 offset:52
	buffer_load_dword v109, off, s[0:3], 0 offset:48
	buffer_load_dword v110, off, s[0:3], 0 offset:52
	buffer_load_dword v117, off, s[0:3], 0
	buffer_load_dword v76, off, s[0:3], 0
	;; [unrolled: 1-line block ×7, first 2 shown]
	buffer_load_dword v118, off, s[0:3], 0 offset:4
	buffer_load_dword v91, off, s[0:3], 0 offset:4
	;; [unrolled: 1-line block ×7, first 2 shown]
	v_fma_f32 v1, v73, v9, -v2
	buffer_store_dword v11, off, s[0:3], 0 offset:8
	buffer_store_dword v12, off, s[0:3], 0 offset:12
	v_mul_f32_e32 v2, v72, v12
	v_mul_f32_e32 v9, v71, v12
	ds_write_b64 v75, v[11:12]
	buffer_load_dword v51, off, s[0:3], 0 offset:12
	v_fma_f32 v2, v71, v11, -v2
	v_fmac_f32_e32 v9, v72, v11
	buffer_load_dword v72, off, s[0:3], 0 offset:8
	s_nop 0
	buffer_store_dword v15, off, s[0:3], 0 offset:16
	buffer_store_dword v16, off, s[0:3], 0 offset:20
	ds_write_b64 v79, v[15:16]
	s_waitcnt lgkmcnt(7)
	v_mul_f32_e32 v11, v84, v16
	v_mul_f32_e32 v12, v83, v16
	v_fma_f32 v11, v83, v15, -v11
	v_fmac_f32_e32 v12, v84, v15
	buffer_load_dword v15, off, s[0:3], 0 offset:16
	buffer_load_dword v74, off, s[0:3], 0 offset:20
	v_sub_f32_e32 v1, v35, v1
	v_sub_f32_e32 v1, v1, v2
	;; [unrolled: 1-line block ×4, first 2 shown]
	s_waitcnt vmcnt(40) lgkmcnt(4)
	v_mul_f32_e32 v11, v43, v104
	v_sub_f32_e32 v2, v16, v9
	v_mul_f32_e32 v9, v44, v104
	v_fmac_f32_e32 v11, v44, v89
	v_fma_f32 v9, v43, v89, -v9
	v_sub_f32_e32 v43, v62, v11
	v_mul_f32_e32 v11, v81, v14
	v_sub_f32_e32 v2, v2, v12
	v_sub_f32_e32 v41, v41, v9
	v_mul_f32_e32 v9, v82, v14
	v_fmac_f32_e32 v11, v82, v13
	v_fma_f32 v9, v81, v13, -v9
	v_sub_f32_e32 v2, v2, v11
	v_mul_f32_e32 v11, v94, v53
	v_sub_f32_e32 v1, v1, v9
	v_mul_f32_e32 v9, v95, v53
	v_fmac_f32_e32 v11, v95, v52
	v_fma_f32 v9, v94, v52, -v9
	v_sub_f32_e32 v2, v2, v11
	v_mul_f32_e32 v11, v92, v4
	v_sub_f32_e32 v1, v1, v9
	v_mul_f32_e32 v9, v93, v4
	v_fmac_f32_e32 v11, v93, v3
	v_fma_f32 v9, v92, v3, -v9
	v_sub_f32_e32 v2, v2, v11
	v_sub_f32_e32 v1, v1, v9
	ds_write_b64 v85, v[13:14]
	ds_write_b64 v86, v[52:53]
	buffer_load_dword v47, off, s[0:3], 0 offset:48
	buffer_load_dword v94, off, s[0:3], 0 offset:48
	;; [unrolled: 1-line block ×14, first 2 shown]
	s_waitcnt vmcnt(36)
	v_mul_f32_e32 v39, v98, v110
	v_mul_f32_e32 v35, v99, v110
	v_fmac_f32_e32 v39, v99, v109
	v_fma_f32 v35, v98, v109, -v35
	v_sub_f32_e32 v2, v2, v39
	v_sub_f32_e32 v1, v1, v35
	v_mul_f32_e32 v35, v97, v2
	v_mul_f32_e32 v2, v96, v2
	v_fma_f32 v35, v96, v1, -v35
	v_fmac_f32_e32 v2, v97, v1
	buffer_store_dword v35, off, s[0:3], 0 offset:56
	buffer_store_dword v2, off, s[0:3], 0 offset:60
	buffer_load_dword v111, off, s[0:3], 0 offset:56
	buffer_load_dword v112, off, s[0:3], 0 offset:60
	;; [unrolled: 1-line block ×16, first 2 shown]
	s_waitcnt vmcnt(37) lgkmcnt(5)
	v_mul_f32_e32 v1, v103, v51
	v_mul_f32_e32 v2, v102, v51
	s_waitcnt vmcnt(36)
	v_fma_f32 v1, v102, v72, -v1
	v_fmac_f32_e32 v2, v103, v72
	v_sub_f32_e32 v1, v41, v1
	v_sub_f32_e32 v2, v43, v2
	buffer_load_dword v122, off, s[0:3], 0 offset:20
	buffer_load_dword v123, off, s[0:3], 0 offset:20
	;; [unrolled: 1-line block ×14, first 2 shown]
	s_waitcnt vmcnt(46)
	v_mul_f32_e32 v44, v101, v74
	v_mul_f32_e32 v53, v100, v74
	v_fma_f32 v44, v100, v15, -v44
	v_fmac_f32_e32 v53, v101, v15
	v_mov_b32_e32 v15, s23
	ds_read2_b64 v[100:103], v15 offset1:1
	v_mov_b32_e32 v15, s21
	ds_read2_b64 v[104:107], v15 offset1:1
	v_sub_f32_e32 v1, v1, v44
	v_sub_f32_e32 v2, v2, v53
	s_waitcnt lgkmcnt(1)
	v_mul_f32_e32 v15, v103, v42
	v_fma_f32 v15, v102, v29, -v15
	v_sub_f32_e32 v1, v1, v15
	v_mul_f32_e32 v15, v101, v108
	v_fma_f32 v15, v100, v90, -v15
	v_mul_f32_e32 v42, v102, v42
	v_sub_f32_e32 v1, v1, v15
	s_waitcnt lgkmcnt(0)
	v_mul_f32_e32 v15, v107, v115
	v_fmac_f32_e32 v42, v103, v29
	v_mul_f32_e32 v29, v100, v108
	v_fma_f32 v15, v106, v113, -v15
	v_sub_f32_e32 v2, v2, v42
	v_fmac_f32_e32 v29, v101, v90
	v_sub_f32_e32 v1, v1, v15
	v_mul_f32_e32 v15, v105, v110
	s_lshl_b32 s21, s31, 3
	v_sub_f32_e32 v2, v2, v29
	v_mul_f32_e32 v29, v106, v115
	v_fma_f32 v15, v104, v109, -v15
	s_add_i32 s21, s20, s21
	s_add_i32 s23, s14, -9
	v_fmac_f32_e32 v29, v107, v113
	v_sub_f32_e32 v1, v1, v15
	v_mov_b32_e32 v15, s21
	s_lshl_b32 s21, s23, 8
	v_sub_f32_e32 v2, v2, v29
	v_mul_f32_e32 v29, v104, v110
	s_add_i32 s25, s21, s13
	v_fmac_f32_e32 v29, v105, v109
	s_add_i32 s27, s25, -8
	v_sub_f32_e32 v2, v2, v29
	v_mov_b32_e32 v29, s27
	ds_read2_b64 v[101:104], v15 offset1:1
	ds_read2_b64 v[105:108], v29 offset1:1
	buffer_load_dword v15, off, s[0:3], 0 offset:60
	buffer_load_dword v113, off, s[0:3], 0 offset:60
	;; [unrolled: 1-line block ×14, first 2 shown]
	s_waitcnt vmcnt(42) lgkmcnt(1)
	v_mul_f32_e32 v115, v104, v112
	v_fma_f32 v115, v103, v111, -v115
	v_mul_f32_e32 v103, v103, v112
	v_fmac_f32_e32 v103, v104, v111
	v_sub_f32_e32 v103, v2, v103
	v_add_u32_e32 v104, s22, v169
	v_sub_f32_e32 v1, v1, v115
	v_mul_f32_e32 v2, v101, v103
	ds_write_b64 v104, v[3:4]
	v_add_u32_e32 v3, s30, v169
	v_fmac_f32_e32 v2, v102, v1
	ds_write_b64 v3, v[109:110]
	v_mul_f32_e32 v3, v102, v103
	buffer_store_dword v2, off, s[0:3], 0 offset:68
	v_fma_f32 v1, v101, v1, -v3
	buffer_load_dword v2, off, s[0:3], 0 offset:68
	v_add_u32_e32 v3, s29, v169
	buffer_store_dword v1, off, s[0:3], 0 offset:64
	buffer_load_dword v1, off, s[0:3], 0 offset:64
	ds_write_b64 v3, v[111:112]
	s_waitcnt lgkmcnt(3)
	v_mul_f32_e32 v3, v108, v118
	v_fma_f32 v3, v107, v117, -v3
	v_sub_f32_e32 v3, v63, v3
	s_waitcnt vmcnt(45)
	v_mul_f32_e32 v63, v106, v92
	s_waitcnt vmcnt(38)
	v_fma_f32 v63, v105, v98, -v63
	s_sub_i32 s22, s25, 24
	buffer_store_dword v3, off, s[0:3], 0 offset:72
	v_sub_f32_e32 v3, v3, v63
	v_mov_b32_e32 v63, s22
	v_mul_f32_e32 v4, v107, v118
	ds_read2_b64 v[101:104], v63 offset1:1
	v_fmac_f32_e32 v4, v108, v117
	s_sub_i32 s22, s25, 40
	v_sub_f32_e32 v4, v70, v4
	v_mul_f32_e32 v70, v105, v92
	v_mov_b32_e32 v63, s22
	v_fmac_f32_e32 v70, v106, v98
	ds_read2_b64 v[105:108], v63 offset1:1
	s_waitcnt vmcnt(32) lgkmcnt(1)
	v_mul_f32_e32 v63, v104, v122
	s_waitcnt vmcnt(25)
	v_fma_f32 v63, v103, v124, -v63
	v_sub_f32_e32 v3, v3, v63
	v_mul_f32_e32 v63, v102, v54
	v_mul_f32_e32 v54, v101, v54
	v_fma_f32 v63, v101, v33, -v63
	v_fmac_f32_e32 v54, v102, v33
	s_waitcnt lgkmcnt(0)
	v_mul_f32_e32 v33, v108, v80
	v_sub_f32_e32 v3, v3, v63
	v_fma_f32 v33, v107, v77, -v33
	v_sub_f32_e32 v4, v4, v70
	v_mul_f32_e32 v70, v103, v122
	v_sub_f32_e32 v3, v3, v33
	v_mul_f32_e32 v33, v106, v116
	v_fmac_f32_e32 v70, v104, v124
	v_fma_f32 v33, v105, v114, -v33
	s_sub_i32 s22, s25, 56
	v_sub_f32_e32 v4, v4, v70
	v_sub_f32_e32 v3, v3, v33
	v_mov_b32_e32 v33, s22
	v_sub_f32_e32 v4, v4, v54
	v_mul_f32_e32 v54, v107, v80
	ds_read2_b64 v[101:104], v33 offset1:1
	s_lshl_b32 s22, s23, 3
	v_fmac_f32_e32 v54, v108, v77
	s_add_i32 s22, s21, s22
	v_sub_f32_e32 v4, v4, v54
	v_mul_f32_e32 v54, v105, v116
	v_mov_b32_e32 v33, s22
	v_fmac_f32_e32 v54, v106, v114
	ds_read2_b64 v[105:108], v33 offset1:1
	s_waitcnt lgkmcnt(1)
	v_mul_f32_e32 v33, v104, v82
	v_sub_f32_e32 v4, v4, v54
	v_fma_f32 v33, v103, v47, -v33
	v_mul_f32_e32 v54, v103, v82
	v_fmac_f32_e32 v54, v104, v47
	v_sub_f32_e32 v3, v3, v33
	s_waitcnt vmcnt(18)
	v_mul_f32_e32 v33, v102, v15
	v_mul_f32_e32 v15, v101, v15
	v_sub_f32_e32 v4, v4, v54
	s_waitcnt vmcnt(11)
	v_fmac_f32_e32 v15, v102, v126
	v_fma_f32 v33, v101, v126, -v33
	v_sub_f32_e32 v4, v4, v15
	s_add_i32 s23, s14, -10
	v_sub_f32_e32 v3, v3, v33
	s_lshl_b32 s22, s23, 8
	s_add_i32 s25, s22, s13
	s_add_i32 s27, s25, -16
	buffer_load_dword v80, off, s[0:3], 0 offset:68
	buffer_load_dword v104, off, s[0:3], 0 offset:68
	;; [unrolled: 1-line block ×14, first 2 shown]
	s_lshl_b32 s23, s23, 3
	s_add_i32 s23, s22, s23
	s_waitcnt vmcnt(17) lgkmcnt(0)
	v_mul_f32_e32 v102, v107, v2
	v_mul_f32_e32 v101, v108, v2
	s_waitcnt vmcnt(15)
	v_fmac_f32_e32 v102, v108, v1
	v_fma_f32 v101, v107, v1, -v101
	v_sub_f32_e32 v4, v4, v102
	v_sub_f32_e32 v3, v3, v101
	v_mul_f32_e32 v101, v106, v4
	v_mul_f32_e32 v4, v105, v4
	v_fma_f32 v101, v105, v3, -v101
	v_fmac_f32_e32 v4, v106, v3
	buffer_store_dword v101, off, s[0:3], 0 offset:72
	buffer_store_dword v4, off, s[0:3], 0 offset:76
	v_mov_b32_e32 v4, s25
	v_mov_b32_e32 v105, s27
	buffer_load_dword v3, off, s[0:3], 0 offset:72
	ds_read_b64 v[101:102], v4
	ds_read2_b64 v[105:108], v105 offset1:1
	buffer_load_dword v4, off, s[0:3], 0 offset:76
	s_sub_i32 s27, s25, 32
	s_waitcnt lgkmcnt(1)
	v_mul_f32_e32 v109, v102, v91
	v_mul_f32_e32 v91, v101, v91
	v_fma_f32 v109, v101, v76, -v109
	v_fmac_f32_e32 v91, v102, v76
	s_waitcnt lgkmcnt(0)
	v_mul_f32_e32 v76, v108, v120
	v_sub_f32_e32 v5, v5, v109
	v_fma_f32 v76, v107, v121, -v76
	v_sub_f32_e32 v6, v6, v91
	v_mul_f32_e32 v91, v107, v120
	v_sub_f32_e32 v5, v5, v76
	v_mul_f32_e32 v76, v106, v123
	v_fmac_f32_e32 v91, v108, v121
	v_fma_f32 v76, v105, v125, -v76
	buffer_store_dword v6, off, s[0:3], 0 offset:84
	v_sub_f32_e32 v6, v6, v91
	buffer_store_dword v5, off, s[0:3], 0 offset:80
	v_mul_f32_e32 v91, v105, v123
	v_sub_f32_e32 v5, v5, v76
	v_mov_b32_e32 v76, s27
	s_sub_i32 s27, s25, 48
	v_fmac_f32_e32 v91, v106, v125
	ds_read2_b64 v[105:108], v76 offset1:1
	v_mov_b32_e32 v76, s27
	ds_read2_b64 v[109:112], v76 offset1:1
	buffer_load_dword v115, off, s[0:3], 0 offset:88
	buffer_load_dword v116, off, s[0:3], 0 offset:92
	v_sub_f32_e32 v6, v6, v91
	s_waitcnt lgkmcnt(1)
	v_mul_f32_e32 v76, v108, v36
	v_mul_f32_e32 v36, v107, v36
	v_fma_f32 v76, v107, v17, -v76
	v_fmac_f32_e32 v36, v108, v17
	v_mul_f32_e32 v17, v106, v55
	v_sub_f32_e32 v5, v5, v76
	v_fma_f32 v17, v105, v37, -v17
	v_sub_f32_e32 v5, v5, v17
	s_waitcnt lgkmcnt(0)
	v_mul_f32_e32 v17, v112, v68
	v_fma_f32 v17, v111, v59, -v17
	v_sub_f32_e32 v5, v5, v17
	v_mul_f32_e32 v17, v110, v119
	v_sub_f32_e32 v6, v6, v36
	v_mul_f32_e32 v36, v105, v55
	v_fma_f32 v17, v109, v94, -v17
	s_sub_i32 s25, s25, 64
	v_fmac_f32_e32 v36, v106, v37
	v_sub_f32_e32 v5, v5, v17
	v_mov_b32_e32 v17, s25
	v_sub_f32_e32 v6, v6, v36
	v_mul_f32_e32 v36, v111, v68
	ds_read2_b64 v[105:108], v17 offset1:1
	v_fmac_f32_e32 v36, v112, v59
	v_sub_f32_e32 v6, v6, v36
	v_mul_f32_e32 v36, v109, v119
	v_mov_b32_e32 v17, s23
	v_fmac_f32_e32 v36, v110, v94
	ds_read2_b64 v[109:112], v17 offset1:1
	v_sub_f32_e32 v6, v6, v36
	s_waitcnt lgkmcnt(1)
	v_mul_f32_e32 v36, v107, v113
	v_mul_f32_e32 v17, v108, v113
	v_fmac_f32_e32 v36, v108, v127
	v_fma_f32 v17, v107, v127, -v17
	v_sub_f32_e32 v6, v6, v36
	s_waitcnt vmcnt(21)
	v_mul_f32_e32 v36, v105, v80
	v_sub_f32_e32 v5, v5, v17
	v_mul_f32_e32 v17, v106, v80
	s_waitcnt vmcnt(14)
	v_fmac_f32_e32 v36, v106, v103
	s_add_i32 s25, s14, -11
	v_fma_f32 v17, v105, v103, -v17
	v_sub_f32_e32 v6, v6, v36
	s_lshl_b32 s23, s25, 8
	v_sub_f32_e32 v5, v5, v17
	s_add_i32 s27, s23, s13
	s_add_i32 s28, s27, -8
	buffer_load_dword v113, off, s[0:3], 0 offset:76
	buffer_load_dword v103, off, s[0:3], 0 offset:76
	;; [unrolled: 1-line block ×14, first 2 shown]
	s_lshl_b32 s25, s25, 3
	s_add_i32 s25, s23, s25
	s_waitcnt vmcnt(18) lgkmcnt(0)
	v_mul_f32_e32 v102, v111, v4
	v_mul_f32_e32 v101, v112, v4
	v_fmac_f32_e32 v102, v112, v3
	v_fma_f32 v101, v111, v3, -v101
	v_sub_f32_e32 v6, v6, v102
	v_sub_f32_e32 v5, v5, v101
	v_mul_f32_e32 v101, v110, v6
	v_mul_f32_e32 v6, v109, v6
	v_fma_f32 v101, v109, v5, -v101
	v_fmac_f32_e32 v6, v110, v5
	v_mov_b32_e32 v5, s28
	s_sub_i32 s28, s27, 24
	buffer_store_dword v101, off, s[0:3], 0 offset:80
	buffer_store_dword v6, off, s[0:3], 0 offset:84
	v_mov_b32_e32 v101, s28
	ds_read2_b64 v[105:108], v5 offset1:1
	ds_read2_b64 v[109:112], v101 offset1:1
	buffer_load_dword v5, off, s[0:3], 0 offset:80
	s_sub_i32 s28, s27, 40
	s_waitcnt lgkmcnt(1)
	v_mul_f32_e32 v101, v108, v88
	v_fma_f32 v119, v107, v87, -v101
	v_mul_f32_e32 v107, v107, v88
	v_fmac_f32_e32 v107, v108, v87
	buffer_load_dword v120, off, s[0:3], 0 offset:96
	buffer_load_dword v121, off, s[0:3], 0 offset:100
	;; [unrolled: 1-line block ×6, first 2 shown]
	s_waitcnt vmcnt(24)
	v_sub_f32_e32 v108, v115, v119
	v_mul_f32_e32 v115, v106, v95
	v_mul_f32_e32 v95, v105, v95
	s_waitcnt vmcnt(23)
	v_sub_f32_e32 v107, v116, v107
	v_fma_f32 v115, v105, v96, -v115
	v_fmac_f32_e32 v95, v106, v96
	s_waitcnt lgkmcnt(0)
	v_mul_f32_e32 v105, v112, v97
	v_mul_f32_e32 v97, v111, v97
	v_sub_f32_e32 v95, v107, v95
	v_fmac_f32_e32 v97, v112, v99
	v_sub_f32_e32 v96, v108, v115
	buffer_store_dword v95, off, s[0:3], 0 offset:92
	v_fma_f32 v105, v111, v99, -v105
	v_sub_f32_e32 v95, v95, v97
	v_mul_f32_e32 v97, v110, v40
	v_sub_f32_e32 v96, v96, v105
	v_fma_f32 v97, v109, v25, -v97
	v_mul_f32_e32 v40, v109, v40
	buffer_store_dword v96, off, s[0:3], 0 offset:88
	v_fmac_f32_e32 v40, v110, v25
	v_sub_f32_e32 v25, v96, v97
	v_mov_b32_e32 v96, s28
	ds_read2_b64 v[105:108], v96 offset1:1
	s_sub_i32 s28, s27, 56
	v_sub_f32_e32 v40, v95, v40
	v_mov_b32_e32 v95, s28
	ds_read2_b64 v[109:112], v95 offset1:1
	s_waitcnt lgkmcnt(1)
	v_mul_f32_e32 v95, v108, v8
	v_fma_f32 v95, v107, v7, -v95
	v_mul_f32_e32 v8, v107, v8
	v_fmac_f32_e32 v8, v108, v7
	v_sub_f32_e32 v7, v25, v95
	v_mul_f32_e32 v25, v106, v69
	v_fma_f32 v25, v105, v56, -v25
	v_sub_f32_e32 v7, v7, v25
	s_waitcnt lgkmcnt(0)
	v_mul_f32_e32 v25, v112, v93
	v_fma_f32 v25, v111, v89, -v25
	v_sub_f32_e32 v7, v7, v25
	v_mul_f32_e32 v25, v110, v29
	v_fma_f32 v25, v109, v100, -v25
	s_addk_i32 s27, 0xffb8
	v_sub_f32_e32 v8, v40, v8
	v_mul_f32_e32 v40, v105, v69
	v_sub_f32_e32 v7, v7, v25
	v_mov_b32_e32 v25, s27
	v_fmac_f32_e32 v40, v106, v56
	ds_read2_b64 v[105:108], v25 offset1:1
	v_sub_f32_e32 v8, v8, v40
	v_mul_f32_e32 v40, v111, v93
	v_mul_f32_e32 v29, v109, v29
	v_mov_b32_e32 v25, s25
	v_fmac_f32_e32 v40, v112, v89
	v_fmac_f32_e32 v29, v110, v100
	ds_read2_b64 v[109:112], v25 offset1:1
	v_sub_f32_e32 v8, v8, v40
	v_sub_f32_e32 v8, v8, v29
	s_waitcnt lgkmcnt(1)
	v_mul_f32_e32 v29, v107, v104
	v_mul_f32_e32 v25, v108, v104
	v_fmac_f32_e32 v29, v108, v114
	v_fma_f32 v25, v107, v114, -v25
	v_sub_f32_e32 v8, v8, v29
	s_waitcnt vmcnt(24)
	v_mul_f32_e32 v29, v105, v113
	v_sub_f32_e32 v7, v7, v25
	v_mul_f32_e32 v25, v106, v113
	s_waitcnt vmcnt(17)
	v_fmac_f32_e32 v29, v106, v117
	s_waitcnt lgkmcnt(0)
	v_mul_f32_e32 v96, v111, v6
	v_fma_f32 v25, v105, v117, -v25
	v_sub_f32_e32 v8, v8, v29
	v_mul_f32_e32 v95, v112, v6
	s_add_i32 s27, s14, -12
	s_waitcnt vmcnt(8)
	v_fmac_f32_e32 v96, v112, v5
	v_sub_f32_e32 v7, v7, v25
	v_fma_f32 v95, v111, v5, -v95
	v_sub_f32_e32 v8, v8, v96
	s_lshl_b32 s25, s27, 8
	v_sub_f32_e32 v7, v7, v95
	v_mul_f32_e32 v95, v110, v8
	s_add_i32 s28, s25, s13
	v_fma_f32 v95, v109, v7, -v95
	v_mul_f32_e32 v8, v109, v8
	s_add_i32 s29, s28, -16
	buffer_load_dword v25, off, s[0:3], 0 offset:80
	buffer_load_dword v93, off, s[0:3], 0 offset:80
	;; [unrolled: 1-line block ×7, first 2 shown]
	v_fmac_f32_e32 v8, v110, v7
	buffer_store_dword v95, off, s[0:3], 0 offset:88
	buffer_store_dword v8, off, s[0:3], 0 offset:92
	v_mov_b32_e32 v7, s28
	v_mov_b32_e32 v97, s29
	ds_read_b64 v[95:96], v7
	ds_read2_b64 v[104:107], v97 offset1:1
	buffer_load_dword v7, off, s[0:3], 0 offset:88
	buffer_load_dword v99, off, s[0:3], 0 offset:84
	s_sub_i32 s29, s28, 32
	s_waitcnt lgkmcnt(1)
	v_mul_f32_e32 v97, v96, v78
	v_mul_f32_e32 v78, v95, v78
	v_fma_f32 v97, v95, v66, -v97
	v_fmac_f32_e32 v78, v96, v66
	s_waitcnt lgkmcnt(0)
	v_mul_f32_e32 v95, v107, v81
	v_mul_f32_e32 v81, v106, v81
	s_waitcnt vmcnt(17)
	v_sub_f32_e32 v78, v121, v78
	v_fmac_f32_e32 v81, v107, v83
	v_sub_f32_e32 v66, v120, v97
	v_fma_f32 v95, v106, v83, -v95
	v_sub_f32_e32 v78, v78, v81
	v_mul_f32_e32 v81, v105, v84
	v_sub_f32_e32 v66, v66, v95
	v_fma_f32 v81, v104, v85, -v81
	v_mul_f32_e32 v83, v104, v84
	v_sub_f32_e32 v66, v66, v81
	v_mov_b32_e32 v81, s29
	v_fmac_f32_e32 v83, v105, v85
	ds_read2_b64 v[104:107], v81 offset1:1
	s_sub_i32 s29, s28, 48
	v_mov_b32_e32 v81, s29
	ds_read2_b64 v[108:111], v81 offset1:1
	v_sub_f32_e32 v78, v78, v83
	s_waitcnt lgkmcnt(1)
	v_mul_f32_e32 v81, v107, v34
	v_fma_f32 v81, v106, v24, -v81
	v_mul_f32_e32 v34, v106, v34
	v_fmac_f32_e32 v34, v107, v24
	v_sub_f32_e32 v24, v66, v81
	v_mul_f32_e32 v66, v105, v57
	v_mul_f32_e32 v57, v104, v57
	v_sub_f32_e32 v34, v78, v34
	v_fmac_f32_e32 v57, v105, v46
	v_fma_f32 v66, v104, v46, -v66
	v_sub_f32_e32 v34, v34, v57
	s_waitcnt lgkmcnt(0)
	v_mul_f32_e32 v46, v111, v58
	v_mul_f32_e32 v57, v110, v58
	buffer_store_dword v24, off, s[0:3], 0 offset:96
	v_sub_f32_e32 v24, v24, v66
	v_fma_f32 v46, v110, v10, -v46
	v_fmac_f32_e32 v57, v111, v10
	v_sub_f32_e32 v10, v24, v46
	v_sub_f32_e32 v24, v34, v57
	v_mul_f32_e32 v34, v109, v79
	v_fma_f32 v34, v108, v9, -v34
	v_mul_f32_e32 v46, v108, v79
	s_sub_i32 s29, s28, 64
	v_fmac_f32_e32 v46, v109, v9
	v_sub_f32_e32 v9, v10, v34
	v_mov_b32_e32 v10, s29
	ds_read2_b64 v[104:107], v10 offset1:1
	s_addk_i32 s28, 0xffb0
	v_sub_f32_e32 v10, v24, v46
	v_mov_b32_e32 v24, s28
	ds_read2_b64 v[108:111], v24 offset1:1
	s_waitcnt lgkmcnt(1)
	v_mul_f32_e32 v24, v107, v86
	v_mul_f32_e32 v34, v106, v86
	v_fma_f32 v24, v106, v90, -v24
	v_fmac_f32_e32 v34, v107, v90
	v_sub_f32_e32 v9, v9, v24
	v_sub_f32_e32 v10, v10, v34
	v_mul_f32_e32 v24, v105, v92
	v_mul_f32_e32 v34, v104, v92
	v_fma_f32 v24, v104, v98, -v24
	v_fmac_f32_e32 v34, v105, v98
	s_lshl_b32 s27, s27, 3
	v_sub_f32_e32 v9, v9, v24
	v_sub_f32_e32 v10, v10, v34
	s_waitcnt lgkmcnt(0)
	v_mul_f32_e32 v24, v111, v103
	v_mul_f32_e32 v34, v110, v103
	s_add_i32 s27, s25, s27
	buffer_store_dword v78, off, s[0:3], 0 offset:100
	v_fma_f32 v24, v110, v118, -v24
	v_fmac_f32_e32 v34, v111, v118
	v_sub_f32_e32 v9, v9, v24
	v_sub_f32_e32 v10, v10, v34
	buffer_load_dword v84, off, s[0:3], 0 offset:84
	buffer_load_dword v83, off, s[0:3], 0 offset:84
	;; [unrolled: 1-line block ×7, first 2 shown]
	s_add_i32 s28, s14, -13
	s_waitcnt vmcnt(9)
	v_mul_f32_e32 v46, v109, v99
	v_mul_f32_e32 v58, v108, v99
	v_fma_f32 v46, v108, v25, -v46
	v_fmac_f32_e32 v58, v109, v25
	v_mov_b32_e32 v25, s27
	ds_read2_b64 v[95:98], v25 offset1:1
	s_lshl_b32 s27, s28, 8
	s_add_i32 s29, s27, s13
	s_add_i32 s30, s29, -8
	v_mov_b32_e32 v25, s30
	ds_read2_b64 v[103:106], v25 offset1:1
	s_waitcnt lgkmcnt(1)
	v_mul_f32_e32 v90, v97, v8
	v_sub_f32_e32 v10, v10, v58
	v_mul_f32_e32 v85, v98, v8
	v_fmac_f32_e32 v90, v98, v7
	v_sub_f32_e32 v9, v9, v46
	v_fma_f32 v85, v97, v7, -v85
	v_sub_f32_e32 v10, v10, v90
	v_sub_f32_e32 v9, v9, v85
	v_mul_f32_e32 v85, v96, v10
	v_fma_f32 v85, v95, v9, -v85
	v_mul_f32_e32 v10, v95, v10
	buffer_load_dword v86, off, s[0:3], 0 offset:88
	buffer_load_dword v92, off, s[0:3], 0 offset:88
	;; [unrolled: 1-line block ×7, first 2 shown]
	v_fmac_f32_e32 v10, v96, v9
	buffer_store_dword v85, off, s[0:3], 0 offset:96
	buffer_store_dword v10, off, s[0:3], 0 offset:100
	s_waitcnt lgkmcnt(0)
	v_mul_f32_e32 v85, v106, v64
	v_fma_f32 v85, v105, v61, -v85
	v_mul_f32_e32 v64, v105, v64
	v_fmac_f32_e32 v64, v106, v61
	v_sub_f32_e32 v61, v101, v85
	v_mul_f32_e32 v85, v104, v67
	v_mul_f32_e32 v67, v103, v67
	v_sub_f32_e32 v64, v102, v64
	v_fmac_f32_e32 v67, v104, v71
	s_sub_i32 s30, s29, 24
	v_sub_f32_e32 v64, v64, v67
	v_mov_b32_e32 v67, s30
	s_sub_i32 s30, s29, 40
	v_fma_f32 v85, v103, v71, -v85
	v_mov_b32_e32 v71, s30
	buffer_load_dword v9, off, s[0:3], 0 offset:96
	ds_read2_b64 v[95:98], v67 offset1:1
	ds_read2_b64 v[99:102], v71 offset1:1
	buffer_load_dword v67, off, s[0:3], 0 offset:92
	v_sub_f32_e32 v61, v61, v85
	s_sub_i32 s30, s29, 56
	s_waitcnt lgkmcnt(1)
	v_mul_f32_e32 v71, v98, v72
	v_fma_f32 v71, v97, v73, -v71
	v_sub_f32_e32 v61, v61, v71
	v_mul_f32_e32 v71, v96, v22
	v_fma_f32 v71, v95, v21, -v71
	v_mul_f32_e32 v22, v95, v22
	v_fmac_f32_e32 v22, v96, v21
	v_sub_f32_e32 v21, v61, v71
	s_waitcnt lgkmcnt(0)
	v_mul_f32_e32 v61, v102, v32
	v_mul_f32_e32 v32, v101, v32
	v_fma_f32 v61, v101, v26, -v61
	v_fmac_f32_e32 v32, v102, v26
	v_mul_f32_e32 v26, v100, v60
	v_sub_f32_e32 v21, v21, v61
	v_fma_f32 v26, v99, v38, -v26
	v_mul_f32_e32 v72, v97, v72
	buffer_store_dword v21, off, s[0:3], 0 offset:104
	v_sub_f32_e32 v21, v21, v26
	v_mov_b32_e32 v26, s30
	v_fmac_f32_e32 v72, v98, v73
	ds_read2_b64 v[95:98], v26 offset1:1
	v_sub_f32_e32 v64, v64, v72
	v_sub_f32_e32 v22, v64, v22
	s_add_i32 s30, s29, 0xffffffb8
	buffer_store_dword v22, off, s[0:3], 0 offset:108
	v_sub_f32_e32 v22, v22, v32
	v_mul_f32_e32 v32, v99, v60
	v_mov_b32_e32 v26, s30
	v_fmac_f32_e32 v32, v100, v38
	ds_read2_b64 v[99:102], v26 offset1:1
	v_sub_f32_e32 v22, v22, v32
	s_waitcnt lgkmcnt(1)
	v_mul_f32_e32 v26, v98, v65
	v_mul_f32_e32 v32, v97, v65
	v_fma_f32 v26, v97, v12, -v26
	v_fmac_f32_e32 v32, v98, v12
	v_sub_f32_e32 v12, v21, v26
	v_sub_f32_e32 v21, v22, v32
	v_mul_f32_e32 v22, v96, v74
	v_fma_f32 v22, v95, v75, -v22
	v_sub_f32_e32 v12, v12, v22
	s_waitcnt lgkmcnt(0)
	v_mul_f32_e32 v22, v102, v77
	v_fma_f32 v22, v101, v82, -v22
	v_mul_f32_e32 v26, v95, v74
	v_sub_f32_e32 v12, v12, v22
	v_mul_f32_e32 v22, v100, v91
	v_fmac_f32_e32 v26, v96, v75
	v_fma_f32 v22, v99, v94, -v22
	s_addk_i32 s29, 0xffa8
	v_sub_f32_e32 v21, v21, v26
	v_mul_f32_e32 v26, v101, v77
	v_sub_f32_e32 v12, v12, v22
	v_mov_b32_e32 v22, s29
	s_lshl_b32 s28, s28, 3
	v_fmac_f32_e32 v26, v102, v82
	ds_read2_b64 v[71:74], v22 offset1:1
	s_add_i32 s28, s27, s28
	v_sub_f32_e32 v21, v21, v26
	v_mul_f32_e32 v26, v99, v91
	v_mov_b32_e32 v22, s28
	v_fmac_f32_e32 v26, v100, v94
	ds_read2_b64 v[94:97], v22 offset1:1
	v_sub_f32_e32 v21, v21, v26
	s_waitcnt vmcnt(19) lgkmcnt(1)
	v_mul_f32_e32 v22, v74, v84
	v_mul_f32_e32 v26, v73, v84
	v_fma_f32 v22, v73, v93, -v22
	v_fmac_f32_e32 v26, v74, v93
	v_sub_f32_e32 v12, v12, v22
	v_sub_f32_e32 v22, v21, v26
	s_waitcnt lgkmcnt(0)
	v_mul_f32_e32 v73, v96, v10
	s_add_i32 s29, s14, -14
	s_lshl_b32 s28, s29, 8
	s_add_i32 s30, s28, s13
	buffer_load_dword v26, off, s[0:3], 0 offset:52
	buffer_load_dword v60, off, s[0:3], 0 offset:92
	;; [unrolled: 1-line block ×8, first 2 shown]
	s_add_i32 s31, s30, -16
	s_waitcnt vmcnt(11)
	v_fmac_f32_e32 v73, v97, v9
	s_lshl_b32 s29, s29, 3
	s_add_i32 s29, s28, s29
	s_waitcnt vmcnt(10)
	v_mul_f32_e32 v38, v72, v67
	v_mul_f32_e32 v65, v71, v67
	v_fma_f32 v38, v71, v86, -v38
	v_fmac_f32_e32 v65, v72, v86
	v_mul_f32_e32 v72, v97, v10
	v_sub_f32_e32 v12, v12, v38
	v_sub_f32_e32 v71, v22, v65
	v_fma_f32 v72, v96, v9, -v72
	v_sub_f32_e32 v72, v12, v72
	v_sub_f32_e32 v12, v71, v73
	v_mul_f32_e32 v71, v95, v12
	v_fma_f32 v71, v94, v72, -v71
	buffer_load_dword v82, off, s[0:3], 0 offset:96
	buffer_load_dword v77, off, s[0:3], 0 offset:96
	;; [unrolled: 1-line block ×7, first 2 shown]
	v_mul_f32_e32 v12, v94, v12
	buffer_store_dword v71, off, s[0:3], 0 offset:104
	v_mov_b32_e32 v71, s30
	ds_read_b64 v[85:86], v71
	v_mov_b32_e32 v71, s31
	v_fmac_f32_e32 v12, v95, v72
	ds_read2_b64 v[71:74], v71 offset1:1
	s_sub_i32 s31, s30, 32
	s_waitcnt lgkmcnt(1)
	v_mul_f32_e32 v91, v86, v48
	v_mul_f32_e32 v48, v85, v48
	v_fma_f32 v91, v85, v45, -v91
	v_fmac_f32_e32 v48, v86, v45
	s_waitcnt lgkmcnt(0)
	v_mul_f32_e32 v85, v74, v49
	v_mul_f32_e32 v49, v73, v49
	v_sub_f32_e32 v48, v88, v48
	v_fmac_f32_e32 v49, v74, v50
	v_sub_f32_e32 v45, v87, v91
	v_fma_f32 v85, v73, v50, -v85
	v_sub_f32_e32 v73, v48, v49
	v_mul_f32_e32 v48, v72, v51
	v_sub_f32_e32 v45, v45, v85
	v_fma_f32 v48, v71, v52, -v48
	v_sub_f32_e32 v45, v45, v48
	v_mov_b32_e32 v48, s31
	v_mul_f32_e32 v71, v71, v51
	ds_read2_b64 v[48:51], v48 offset1:1
	v_fmac_f32_e32 v71, v72, v52
	s_sub_i32 s31, s30, 48
	v_sub_f32_e32 v52, v73, v71
	v_mov_b32_e32 v71, s31
	ds_read2_b64 v[71:74], v71 offset1:1
	s_waitcnt lgkmcnt(1)
	v_mul_f32_e32 v85, v51, v20
	v_fma_f32 v85, v50, v19, -v85
	v_mul_f32_e32 v20, v50, v20
	v_fmac_f32_e32 v20, v51, v19
	v_sub_f32_e32 v19, v45, v85
	v_mul_f32_e32 v45, v49, v28
	v_mul_f32_e32 v28, v48, v28
	buffer_store_dword v12, off, s[0:3], 0 offset:108
	buffer_load_dword v91, off, s[0:3], 0 offset:100
	v_sub_f32_e32 v20, v52, v20
	v_fmac_f32_e32 v28, v49, v23
	v_sub_f32_e32 v20, v20, v28
	buffer_load_dword v28, off, s[0:3], 0 offset:108
	buffer_load_dword v52, off, s[0:3], 0 offset:104
	v_fma_f32 v45, v48, v23, -v45
	s_waitcnt lgkmcnt(0)
	v_mul_f32_e32 v23, v74, v31
	v_sub_f32_e32 v19, v19, v45
	v_fma_f32 v23, v73, v30, -v23
	v_sub_f32_e32 v19, v19, v23
	v_mul_f32_e32 v23, v72, v14
	v_fma_f32 v23, v71, v11, -v23
	v_mul_f32_e32 v14, v71, v14
	s_sub_i32 s31, s30, 64
	buffer_store_dword v19, off, s[0:3], 0 offset:112
	v_fmac_f32_e32 v14, v72, v11
	v_sub_f32_e32 v11, v19, v23
	v_mov_b32_e32 v19, s31
	ds_read2_b64 v[48:51], v19 offset1:1
	s_add_i32 s31, s30, 0xffffffb0
	v_mul_f32_e32 v31, v73, v31
	v_mov_b32_e32 v19, s31
	v_fmac_f32_e32 v31, v74, v30
	ds_read2_b64 v[71:74], v19 offset1:1
	s_waitcnt lgkmcnt(1)
	v_mul_f32_e32 v19, v51, v53
	v_fma_f32 v19, v50, v62, -v19
	v_sub_f32_e32 v11, v11, v19
	v_mul_f32_e32 v19, v49, v63
	v_fma_f32 v19, v48, v70, -v19
	v_sub_f32_e32 v11, v11, v19
	s_waitcnt lgkmcnt(0)
	v_mul_f32_e32 v19, v74, v76
	buffer_store_dword v20, off, s[0:3], 0 offset:116
	v_sub_f32_e32 v20, v20, v31
	v_fma_f32 v19, v73, v80, -v19
	v_sub_f32_e32 v14, v20, v14
	v_mul_f32_e32 v20, v50, v53
	v_sub_f32_e32 v11, v11, v19
	v_mul_f32_e32 v19, v72, v83
	v_fmac_f32_e32 v20, v51, v62
	v_fma_f32 v19, v71, v89, -v19
	s_addk_i32 s30, 0xffa0
	v_sub_f32_e32 v14, v14, v20
	v_mul_f32_e32 v20, v48, v63
	v_sub_f32_e32 v11, v11, v19
	v_mov_b32_e32 v19, s30
	v_fmac_f32_e32 v20, v49, v70
	buffer_load_dword v53, off, s[0:3], 0 offset:120
	buffer_load_dword v70, off, s[0:3], 0 offset:124
	ds_read2_b64 v[48:51], v19 offset1:1
	v_mov_b32_e32 v19, s29
	v_sub_f32_e32 v14, v14, v20
	v_mul_f32_e32 v20, v73, v76
	ds_read2_b64 v[85:88], v19 offset1:1
	s_waitcnt vmcnt(22) lgkmcnt(1)
	v_mul_f32_e32 v19, v51, v60
	v_fmac_f32_e32 v20, v74, v80
	v_fma_f32 v19, v50, v92, -v19
	v_sub_f32_e32 v14, v14, v20
	v_mul_f32_e32 v20, v71, v83
	v_sub_f32_e32 v11, v11, v19
	buffer_load_dword v76, off, s[0:3], 0 offset:28
	buffer_load_dword v80, off, s[0:3], 0 offset:100
	;; [unrolled: 1-line block ×9, first 2 shown]
	v_fmac_f32_e32 v20, v72, v89
	v_sub_f32_e32 v14, v14, v20
	v_mul_f32_e32 v20, v50, v60
	v_fmac_f32_e32 v20, v51, v92
	v_sub_f32_e32 v14, v14, v20
	s_add_i32 s30, s14, -15
	s_lshl_b32 s29, s30, 8
	s_add_i32 s31, s29, s13
	s_add_i32 s33, s31, -8
	s_lshl_b32 s30, s30, 3
	s_add_i32 s30, s29, s30
	s_waitcnt vmcnt(15)
	v_mul_f32_e32 v30, v48, v91
	v_mul_f32_e32 v20, v49, v91
	v_fmac_f32_e32 v30, v49, v82
	v_fma_f32 v20, v48, v82, -v20
	s_waitcnt vmcnt(14) lgkmcnt(0)
	v_mul_f32_e32 v49, v88, v28
	v_mul_f32_e32 v28, v87, v28
	v_sub_f32_e32 v14, v14, v30
	s_waitcnt vmcnt(13)
	v_fmac_f32_e32 v28, v88, v52
	v_sub_f32_e32 v48, v11, v20
	v_fma_f32 v49, v87, v52, -v49
	v_sub_f32_e32 v14, v14, v28
	v_sub_f32_e32 v48, v48, v49
	v_mul_f32_e32 v28, v86, v14
	buffer_load_dword v82, off, s[0:3], 0 offset:108
	buffer_load_dword v99, off, s[0:3], 0 offset:108
	;; [unrolled: 1-line block ×16, first 2 shown]
	v_fma_f32 v28, v85, v48, -v28
	buffer_load_dword v109, off, s[0:3], 0 offset:44
	v_mul_f32_e32 v14, v85, v14
	buffer_store_dword v28, off, s[0:3], 0 offset:112
	buffer_load_dword v28, off, s[0:3], 0 offset:40
	v_fmac_f32_e32 v14, v86, v48
	v_mov_b32_e32 v48, s33
	ds_read2_b64 v[48:51], v48 offset1:1
	s_sub_i32 s33, s31, 24
	v_mov_b32_e32 v52, s33
	ds_read2_b64 v[86:89], v52 offset1:1
	s_sub_i32 s33, s31, 40
	s_waitcnt lgkmcnt(1)
	v_mul_f32_e32 v52, v51, v27
	v_mul_f32_e32 v27, v50, v27
	v_fmac_f32_e32 v27, v51, v18
	v_mul_f32_e32 v51, v49, v35
	v_mul_f32_e32 v35, v48, v35
	v_fma_f32 v52, v50, v18, -v52
	v_fmac_f32_e32 v35, v49, v39
	v_fma_f32 v51, v48, v39, -v51
	buffer_store_dword v14, off, s[0:3], 0 offset:116
	buffer_load_dword v18, off, s[0:3], 0 offset:128
	buffer_load_dword v111, off, s[0:3], 0 offset:132
	;; [unrolled: 1-line block ×6, first 2 shown]
	s_waitcnt vmcnt(36)
	v_sub_f32_e32 v50, v53, v52
	s_waitcnt vmcnt(35)
	v_sub_f32_e32 v27, v70, v27
	v_sub_f32_e32 v27, v27, v35
	s_waitcnt lgkmcnt(0)
	v_mul_f32_e32 v35, v89, v41
	v_sub_f32_e32 v39, v50, v51
	v_fma_f32 v35, v88, v43, -v35
	v_mul_f32_e32 v41, v88, v41
	v_sub_f32_e32 v35, v39, v35
	s_waitcnt vmcnt(34)
	v_mul_f32_e32 v39, v87, v76
	v_fmac_f32_e32 v41, v89, v43
	v_mul_f32_e32 v43, v86, v76
	v_sub_f32_e32 v27, v27, v41
	buffer_load_dword v113, off, s[0:3], 0 offset:28
	buffer_load_dword v41, off, s[0:3], 0 offset:28
	;; [unrolled: 1-line block ×10, first 2 shown]
	s_waitcnt vmcnt(36)
	v_fma_f32 v39, v86, v94, -v39
	v_fmac_f32_e32 v43, v87, v94
	v_sub_f32_e32 v35, v35, v39
	v_mov_b32_e32 v39, s33
	s_sub_i32 s33, s31, 56
	v_sub_f32_e32 v27, v27, v43
	v_mov_b32_e32 v43, s33
	ds_read2_b64 v[103:106], v39 offset1:1
	ds_read2_b64 v[124:127], v43 offset1:1
	buffer_load_dword v121, off, s[0:3], 0 offset:36
	buffer_load_dword v115, off, s[0:3], 0 offset:36
	;; [unrolled: 1-line block ×22, first 2 shown]
	s_add_i32 s33, s31, 0xffffffb8
	s_waitcnt vmcnt(49) lgkmcnt(1)
	v_mul_f32_e32 v43, v105, v107
	v_fmac_f32_e32 v43, v106, v101
	v_sub_f32_e32 v27, v27, v43
	v_mul_f32_e32 v39, v106, v107
	v_fma_f32 v39, v105, v101, -v39
	v_sub_f32_e32 v35, v35, v39
	s_waitcnt vmcnt(41)
	v_mul_f32_e32 v43, v103, v109
	v_mul_f32_e32 v39, v104, v109
	buffer_load_dword v109, off, s[0:3], 0 offset:20
	s_waitcnt vmcnt(40)
	v_fmac_f32_e32 v43, v104, v28
	v_sub_f32_e32 v27, v27, v43
	buffer_load_dword v43, off, s[0:3], 0 offset:112
	v_fma_f32 v39, v103, v28, -v39
	v_sub_f32_e32 v28, v35, v39
	s_waitcnt lgkmcnt(0)
	v_mul_f32_e32 v35, v127, v16
	v_mul_f32_e32 v16, v126, v16
	v_fmac_f32_e32 v16, v127, v13
	buffer_store_dword v27, off, s[0:3], 0 offset:124
	v_fma_f32 v35, v126, v13, -v35
	v_sub_f32_e32 v16, v27, v16
	v_mul_f32_e32 v27, v125, v42
	v_sub_f32_e32 v13, v28, v35
	v_fma_f32 v27, v124, v44, -v27
	buffer_store_dword v13, off, s[0:3], 0 offset:120
	v_sub_f32_e32 v13, v13, v27
	v_mov_b32_e32 v27, s33
	ds_read2_b64 v[103:106], v27 offset1:1
	s_add_i32 s33, s31, 0xffffffa8
	v_mul_f32_e32 v28, v124, v42
	v_mov_b32_e32 v27, s33
	v_fmac_f32_e32 v28, v125, v44
	ds_read2_b64 v[124:127], v27 offset1:1
	v_sub_f32_e32 v16, v16, v28
	s_waitcnt lgkmcnt(1)
	v_mul_f32_e32 v27, v106, v47
	v_mul_f32_e32 v28, v105, v47
	v_fma_f32 v27, v105, v54, -v27
	v_fmac_f32_e32 v28, v106, v54
	v_sub_f32_e32 v13, v13, v27
	v_sub_f32_e32 v16, v16, v28
	v_mul_f32_e32 v27, v104, v59
	v_mul_f32_e32 v28, v103, v59
	v_fma_f32 v27, v103, v68, -v27
	v_fmac_f32_e32 v28, v104, v68
	buffer_load_dword v44, off, s[0:3], 0 offset:4
	buffer_load_dword v68, off, s[0:3], 0 offset:12
	v_sub_f32_e32 v13, v13, v27
	v_sub_f32_e32 v16, v16, v28
	s_waitcnt lgkmcnt(0)
	v_mul_f32_e32 v27, v127, v78
	v_mul_f32_e32 v28, v126, v78
	v_fma_f32 v27, v126, v69, -v27
	v_fmac_f32_e32 v28, v127, v69
	buffer_load_dword v69, off, s[0:3], 0 offset:8
	buffer_load_dword v47, off, s[0:3], 0
	v_sub_f32_e32 v13, v13, v27
	v_mul_f32_e32 v27, v125, v75
	v_fma_f32 v27, v124, v79, -v27
	s_addk_i32 s31, 0xff98
	v_sub_f32_e32 v13, v13, v27
	v_mov_b32_e32 v27, s31
	ds_read2_b64 v[103:106], v27 offset1:1
	v_sub_f32_e32 v16, v16, v28
	v_mul_f32_e32 v28, v124, v75
	v_mov_b32_e32 v27, s30
	v_fmac_f32_e32 v28, v125, v79
	ds_read2_b64 v[124:127], v27 offset1:1
	v_sub_f32_e32 v16, v16, v28
	s_waitcnt lgkmcnt(1)
	v_mul_f32_e32 v28, v105, v80
	v_mul_f32_e32 v27, v106, v80
	v_fmac_f32_e32 v28, v106, v77
	v_fma_f32 v27, v105, v77, -v27
	v_sub_f32_e32 v16, v16, v28
	v_mul_f32_e32 v28, v103, v82
	v_sub_f32_e32 v13, v13, v27
	v_mul_f32_e32 v27, v104, v82
	v_fmac_f32_e32 v28, v104, v108
	s_waitcnt vmcnt(9) lgkmcnt(0)
	v_mul_f32_e32 v75, v127, v76
	v_mul_f32_e32 v76, v126, v76
	v_fma_f32 v27, v103, v108, -v27
	v_sub_f32_e32 v16, v16, v28
	v_sub_f32_e32 v42, v13, v27
	buffer_load_dword v134, off, s[0:3], 0 offset:116
	buffer_load_dword v59, off, s[0:3], 0 offset:116
	;; [unrolled: 1-line block ×14, first 2 shown]
	s_add_i32 s31, s14, -16
	s_lshl_b32 s30, s31, 8
	s_add_i32 s33, s30, s13
	s_add_i32 s34, s33, -16
	s_lshl_b32 s31, s31, 3
	s_add_i32 s31, s30, s31
	s_waitcnt vmcnt(20)
	v_fmac_f32_e32 v76, v127, v43
	v_fma_f32 v75, v126, v43, -v75
	v_sub_f32_e32 v16, v16, v76
	v_sub_f32_e32 v42, v42, v75
	v_mul_f32_e32 v43, v125, v16
	v_fma_f32 v43, v124, v42, -v43
	v_mul_f32_e32 v16, v124, v16
	v_fmac_f32_e32 v16, v125, v42
	buffer_store_dword v43, off, s[0:3], 0 offset:120
	buffer_store_dword v16, off, s[0:3], 0 offset:124
	buffer_load_dword v145, off, s[0:3], 0 offset:52
	buffer_load_dword v146, off, s[0:3], 0 offset:48
	v_mov_b32_e32 v42, s33
	v_mov_b32_e32 v75, s34
	ds_read_b64 v[42:43], v42
	ds_read2_b64 v[136:139], v75 offset1:1
	buffer_load_dword v147, off, s[0:3], 0 offset:4
	buffer_load_dword v120, off, s[0:3], 0 offset:4
	;; [unrolled: 1-line block ×4, first 2 shown]
	buffer_load_dword v148, off, s[0:3], 0
	buffer_load_dword v124, off, s[0:3], 0
	;; [unrolled: 1-line block ×4, first 2 shown]
	s_sub_i32 s34, s33, 32
	s_waitcnt lgkmcnt(0)
	v_mul_f32_e32 v82, v136, v109
	v_fmac_f32_e32 v82, v137, v133
	s_waitcnt vmcnt(29)
	v_mul_f32_e32 v77, v43, v44
	s_waitcnt vmcnt(26)
	v_fma_f32 v77, v42, v47, -v77
	v_mul_f32_e32 v42, v42, v44
	v_fmac_f32_e32 v42, v43, v47
	buffer_load_dword v43, off, s[0:3], 0 offset:60
	v_sub_f32_e32 v18, v18, v77
	buffer_load_dword v44, off, s[0:3], 0 offset:56
	buffer_load_dword v149, off, s[0:3], 0 offset:12
	;; [unrolled: 1-line block ×5, first 2 shown]
	v_mul_f32_e32 v47, v139, v68
	v_fma_f32 v47, v138, v69, -v47
	v_sub_f32_e32 v18, v18, v47
	v_mul_f32_e32 v47, v137, v109
	v_mul_f32_e32 v68, v138, v68
	v_fma_f32 v47, v136, v133, -v47
	v_sub_f32_e32 v42, v111, v42
	v_fmac_f32_e32 v68, v139, v69
	v_sub_f32_e32 v18, v18, v47
	v_mov_b32_e32 v47, s34
	buffer_load_dword v150, off, s[0:3], 0 offset:8
	buffer_load_dword v126, off, s[0:3], 0 offset:8
	;; [unrolled: 1-line block ×4, first 2 shown]
	v_sub_f32_e32 v42, v42, v68
	buffer_load_dword v68, off, s[0:3], 0 offset:20
	buffer_load_dword v127, off, s[0:3], 0 offset:20
	;; [unrolled: 1-line block ×8, first 2 shown]
	ds_read2_b64 v[136:139], v47 offset1:1
	s_sub_i32 s34, s33, 48
	v_mov_b32_e32 v47, s34
	ds_read2_b64 v[140:143], v47 offset1:1
	v_sub_f32_e32 v42, v42, v82
	s_waitcnt lgkmcnt(1)
	v_mul_f32_e32 v47, v139, v113
	v_mul_f32_e32 v82, v138, v113
	v_fma_f32 v47, v138, v114, -v47
	v_fmac_f32_e32 v82, v139, v114
	v_sub_f32_e32 v18, v18, v47
	v_sub_f32_e32 v42, v42, v82
	v_mul_f32_e32 v47, v137, v121
	v_mul_f32_e32 v82, v136, v121
	v_fma_f32 v47, v136, v129, -v47
	v_fmac_f32_e32 v82, v137, v129
	v_sub_f32_e32 v18, v18, v47
	v_sub_f32_e32 v42, v42, v82
	s_waitcnt lgkmcnt(0)
	v_mul_f32_e32 v47, v143, v130
	v_mul_f32_e32 v82, v142, v130
	v_fma_f32 v47, v142, v132, -v47
	v_fmac_f32_e32 v82, v143, v132
	v_sub_f32_e32 v18, v18, v47
	v_sub_f32_e32 v42, v42, v82
	buffer_load_dword v151, off, s[0:3], 0 offset:52
	buffer_load_dword v129, off, s[0:3], 0 offset:52
	;; [unrolled: 1-line block ×7, first 2 shown]
	s_sub_i32 s34, s33, 64
	s_waitcnt vmcnt(34)
	v_mul_f32_e32 v47, v141, v145
	v_mul_f32_e32 v113, v140, v145
	buffer_load_dword v145, off, s[0:3], 0 offset:124
	s_waitcnt vmcnt(34)
	v_fma_f32 v47, v140, v146, -v47
	v_fmac_f32_e32 v113, v141, v146
	v_sub_f32_e32 v18, v18, v47
	v_sub_f32_e32 v42, v42, v113
	v_mov_b32_e32 v47, s34
	s_add_i32 s34, s33, 0xffffffb0
	buffer_store_dword v42, off, s[0:3], 0 offset:132
	v_mov_b32_e32 v113, s34
	ds_read2_b64 v[136:139], v47 offset1:1
	ds_read2_b64 v[140:143], v113 offset1:1
	buffer_load_dword v146, off, s[0:3], 0 offset:60
	buffer_load_dword v132, off, s[0:3], 0 offset:60
	;; [unrolled: 1-line block ×7, first 2 shown]
	s_add_i32 s34, s33, 0xffffffa0
	s_addk_i32 s33, 0xff90
	s_waitcnt vmcnt(33) lgkmcnt(1)
	v_mul_f32_e32 v47, v139, v43
	v_mul_f32_e32 v43, v138, v43
	s_waitcnt vmcnt(32)
	v_fmac_f32_e32 v43, v139, v44
	v_fma_f32 v47, v138, v44, -v47
	v_sub_f32_e32 v42, v42, v43
	v_mul_f32_e32 v43, v137, v15
	v_mul_f32_e32 v15, v136, v15
	v_sub_f32_e32 v18, v18, v47
	v_fma_f32 v43, v136, v33, -v43
	v_fmac_f32_e32 v15, v137, v33
	s_waitcnt lgkmcnt(0)
	v_mul_f32_e32 v33, v143, v37
	buffer_store_dword v18, off, s[0:3], 0 offset:128
	v_sub_f32_e32 v18, v18, v43
	v_fma_f32 v33, v142, v55, -v33
	v_sub_f32_e32 v18, v18, v33
	v_mul_f32_e32 v33, v141, v66
	v_fma_f32 v33, v140, v56, -v33
	v_sub_f32_e32 v18, v18, v33
	v_mov_b32_e32 v33, s34
	ds_read2_b64 v[136:139], v33 offset1:1
	v_mul_f32_e32 v37, v142, v37
	v_sub_f32_e32 v15, v42, v15
	v_fmac_f32_e32 v37, v143, v55
	v_sub_f32_e32 v15, v15, v37
	v_mul_f32_e32 v37, v140, v66
	v_mov_b32_e32 v33, s33
	v_fmac_f32_e32 v37, v141, v56
	ds_read2_b64 v[140:143], v33 offset1:1
	v_sub_f32_e32 v15, v15, v37
	s_waitcnt lgkmcnt(1)
	v_mul_f32_e32 v37, v138, v84
	v_fmac_f32_e32 v37, v139, v81
	v_sub_f32_e32 v15, v15, v37
	v_mul_f32_e32 v37, v136, v63
	v_mul_f32_e32 v33, v139, v84
	v_fmac_f32_e32 v37, v137, v90
	v_fma_f32 v33, v138, v81, -v33
	v_sub_f32_e32 v15, v15, v37
	s_waitcnt lgkmcnt(0)
	v_mul_f32_e32 v37, v142, v99
	v_sub_f32_e32 v18, v18, v33
	v_mul_f32_e32 v33, v137, v63
	v_fmac_f32_e32 v37, v143, v118
	v_fma_f32 v33, v136, v90, -v33
	v_sub_f32_e32 v15, v15, v37
	v_mul_f32_e32 v37, v140, v134
	v_sub_f32_e32 v18, v18, v33
	v_mul_f32_e32 v33, v143, v99
	v_fmac_f32_e32 v37, v141, v144
	s_sub_i32 s33, s14, 17
	v_fma_f32 v33, v142, v118, -v33
	v_sub_f32_e32 v42, v15, v37
	v_mov_b32_e32 v15, s31
	s_lshl_b32 s31, s33, 8
	v_sub_f32_e32 v18, v18, v33
	v_mul_f32_e32 v33, v141, v134
	s_add_i32 s34, s31, s13
	v_fma_f32 v33, v140, v144, -v33
	s_add_i32 s35, s34, -8
	v_sub_f32_e32 v18, v18, v33
	v_mov_b32_e32 v33, s35
	ds_read2_b64 v[136:139], v15 offset1:1
	ds_read2_b64 v[140:143], v33 offset1:1
	buffer_load_dword v81, off, s[0:3], 0 offset:124
	buffer_load_dword v121, off, s[0:3], 0 offset:124
	;; [unrolled: 1-line block ×15, first 2 shown]
	s_waitcnt vmcnt(24) lgkmcnt(1)
	v_mul_f32_e32 v44, v139, v145
	v_mul_f32_e32 v55, v138, v145
	s_waitcnt vmcnt(19)
	v_fma_f32 v44, v138, v153, -v44
	v_fmac_f32_e32 v55, v139, v153
	v_sub_f32_e32 v44, v18, v44
	v_sub_f32_e32 v18, v42, v55
	buffer_load_dword v145, off, s[0:3], 0 offset:64
	v_mul_f32_e32 v42, v137, v18
	v_fma_f32 v42, v136, v44, -v42
	buffer_store_dword v42, off, s[0:3], 0 offset:128
	s_waitcnt lgkmcnt(0)
	v_mul_f32_e32 v42, v143, v147
	v_fma_f32 v42, v142, v148, -v42
	v_mul_f32_e32 v55, v141, v149
	v_sub_f32_e32 v42, v100, v42
	v_fma_f32 v55, v140, v150, -v55
	s_sub_i32 s35, s34, 24
	v_mul_f32_e32 v18, v136, v18
	v_sub_f32_e32 v42, v42, v55
	v_mov_b32_e32 v55, s35
	v_fmac_f32_e32 v18, v137, v44
	ds_read2_b64 v[136:139], v55 offset1:1
	s_sub_i32 s35, s34, 40
	v_mul_f32_e32 v44, v142, v147
	v_mul_f32_e32 v56, v140, v149
	v_mov_b32_e32 v55, s35
	v_fmac_f32_e32 v44, v143, v148
	v_fmac_f32_e32 v56, v141, v150
	ds_read2_b64 v[140:143], v55 offset1:1
	v_sub_f32_e32 v44, v102, v44
	s_waitcnt lgkmcnt(1)
	v_mul_f32_e32 v55, v139, v68
	v_sub_f32_e32 v44, v44, v56
	v_fma_f32 v55, v138, v69, -v55
	v_mul_f32_e32 v56, v138, v68
	v_fmac_f32_e32 v56, v139, v69
	v_sub_f32_e32 v42, v42, v55
	v_mul_f32_e32 v55, v137, v41
	v_mul_f32_e32 v41, v136, v41
	v_sub_f32_e32 v44, v44, v56
	v_fmac_f32_e32 v41, v137, v112
	v_fma_f32 v55, v136, v112, -v55
	v_sub_f32_e32 v41, v44, v41
	s_waitcnt lgkmcnt(0)
	v_mul_f32_e32 v44, v143, v115
	v_sub_f32_e32 v42, v42, v55
	v_fma_f32 v44, v142, v122, -v44
	v_sub_f32_e32 v42, v42, v44
	v_mul_f32_e32 v44, v141, v123
	v_fma_f32 v44, v140, v131, -v44
	s_sub_i32 s35, s34, 56
	v_sub_f32_e32 v42, v42, v44
	v_mov_b32_e32 v44, s35
	ds_read2_b64 v[136:139], v44 offset1:1
	v_mul_f32_e32 v55, v142, v115
	v_fmac_f32_e32 v55, v143, v122
	v_sub_f32_e32 v41, v41, v55
	v_mul_f32_e32 v55, v140, v123
	v_fmac_f32_e32 v55, v141, v131
	v_sub_f32_e32 v41, v41, v55
	s_add_i32 s35, s34, 0xffffffb8
	s_waitcnt lgkmcnt(0)
	v_mul_f32_e32 v55, v138, v151
	v_mov_b32_e32 v44, s35
	v_fmac_f32_e32 v55, v139, v152
	ds_read2_b64 v[140:143], v44 offset1:1
	v_mul_f32_e32 v44, v139, v151
	v_sub_f32_e32 v41, v41, v55
	v_mul_f32_e32 v55, v136, v146
	v_fma_f32 v44, v138, v152, -v44
	s_waitcnt vmcnt(20)
	v_fmac_f32_e32 v55, v137, v154
	v_sub_f32_e32 v42, v42, v44
	v_mul_f32_e32 v44, v137, v146
	v_sub_f32_e32 v112, v41, v55
	buffer_store_dword v18, off, s[0:3], 0 offset:132
	v_fma_f32 v44, v136, v154, -v44
	buffer_store_dword v112, off, s[0:3], 0 offset:140
	v_sub_f32_e32 v102, v42, v44
	buffer_load_dword v146, off, s[0:3], 0 offset:132
	buffer_load_dword v147, off, s[0:3], 0 offset:68
	;; [unrolled: 1-line block ×16, first 2 shown]
	s_add_i32 s35, s34, 0xffffffa8
	s_lshl_b32 s33, s33, 3
	s_add_i32 s33, s31, s33
	s_waitcnt vmcnt(20) lgkmcnt(0)
	v_mul_f32_e32 v122, v143, v144
	v_mul_f32_e32 v131, v142, v144
	s_waitcnt vmcnt(19)
	v_fma_f32 v122, v142, v145, -v122
	v_sub_f32_e32 v102, v102, v122
	v_mul_f32_e32 v122, v141, v17
	v_fma_f32 v122, v140, v36, -v122
	v_mul_f32_e32 v17, v140, v17
	buffer_store_dword v102, off, s[0:3], 0 offset:136
	v_fmac_f32_e32 v17, v141, v36
	v_sub_f32_e32 v36, v102, v122
	v_mov_b32_e32 v102, s35
	ds_read2_b64 v[137:140], v102 offset1:1
	s_add_i32 s35, s34, 0xffffff98
	v_mov_b32_e32 v102, s35
	v_fmac_f32_e32 v131, v143, v145
	ds_read2_b64 v[141:144], v102 offset1:1
	s_waitcnt lgkmcnt(1)
	v_mul_f32_e32 v102, v140, v57
	v_mul_f32_e32 v57, v139, v57
	v_fma_f32 v102, v139, v40, -v102
	v_fmac_f32_e32 v57, v140, v40
	v_mul_f32_e32 v40, v138, v64
	v_sub_f32_e32 v36, v36, v102
	v_fma_f32 v40, v137, v58, -v40
	v_sub_f32_e32 v36, v36, v40
	s_waitcnt lgkmcnt(0)
	v_mul_f32_e32 v40, v144, v71
	v_sub_f32_e32 v112, v112, v131
	v_fma_f32 v40, v143, v67, -v40
	v_sub_f32_e32 v17, v112, v17
	v_sub_f32_e32 v36, v36, v40
	v_mul_f32_e32 v40, v142, v73
	v_sub_f32_e32 v17, v17, v57
	v_mul_f32_e32 v57, v137, v64
	v_fma_f32 v40, v141, v93, -v40
	s_addk_i32 s34, 0xff88
	v_fmac_f32_e32 v57, v138, v58
	v_sub_f32_e32 v36, v36, v40
	v_mov_b32_e32 v40, s34
	v_sub_f32_e32 v17, v17, v57
	v_mul_f32_e32 v57, v143, v71
	ds_read2_b64 v[137:140], v40 offset1:1
	v_fmac_f32_e32 v57, v144, v67
	v_sub_f32_e32 v17, v17, v57
	v_mul_f32_e32 v57, v141, v73
	v_mov_b32_e32 v40, s33
	v_fmac_f32_e32 v57, v142, v93
	ds_read2_b64 v[141:144], v40 offset1:1
	v_sub_f32_e32 v17, v17, v57
	s_waitcnt lgkmcnt(1)
	v_mul_f32_e32 v57, v139, v59
	v_mul_f32_e32 v40, v140, v59
	v_fmac_f32_e32 v57, v140, v135
	v_fma_f32 v40, v139, v135, -v40
	v_sub_f32_e32 v17, v17, v57
	v_mul_f32_e32 v57, v137, v81
	v_sub_f32_e32 v36, v36, v40
	v_mul_f32_e32 v40, v138, v81
	v_fmac_f32_e32 v57, v138, v155
	s_sub_i32 s34, s14, 18
	v_fma_f32 v40, v137, v155, -v40
	v_sub_f32_e32 v57, v17, v57
	s_lshl_b32 s33, s34, 8
	v_sub_f32_e32 v58, v36, v40
	s_add_i32 s35, s33, s13
	buffer_load_dword v135, off, s[0:3], 0 offset:132
	buffer_load_dword v122, off, s[0:3], 0 offset:132
	;; [unrolled: 1-line block ×7, first 2 shown]
	s_waitcnt vmcnt(23) lgkmcnt(0)
	v_mul_f32_e32 v71, v143, v146
	v_mul_f32_e32 v59, v144, v146
	s_waitcnt vmcnt(15)
	v_fmac_f32_e32 v71, v144, v148
	v_fma_f32 v59, v143, v148, -v59
	v_sub_f32_e32 v57, v57, v71
	v_sub_f32_e32 v58, v58, v59
	v_mul_f32_e32 v59, v142, v57
	v_mul_f32_e32 v143, v141, v57
	v_mov_b32_e32 v57, s35
	buffer_load_dword v17, off, s[0:3], 0 offset:128
	buffer_load_dword v145, off, s[0:3], 0 offset:128
	;; [unrolled: 1-line block ×7, first 2 shown]
	v_fma_f32 v59, v141, v58, -v59
	v_fmac_f32_e32 v143, v142, v58
	ds_read_b64 v[57:58], v57
	s_add_i32 s36, s35, -16
	buffer_store_dword v59, off, s[0:3], 0 offset:136
	v_mov_b32_e32 v59, s36
	buffer_load_dword v141, off, s[0:3], 0 offset:76
	buffer_load_dword v144, off, s[0:3], 0 offset:72
	ds_read2_b64 v[137:140], v59 offset1:1
	s_waitcnt lgkmcnt(1)
	v_mul_f32_e32 v59, v58, v120
	v_fma_f32 v59, v57, v124, -v59
	v_mul_f32_e32 v57, v57, v120
	v_fmac_f32_e32 v57, v58, v124
	v_sub_f32_e32 v58, v92, v59
	s_waitcnt lgkmcnt(0)
	v_mul_f32_e32 v59, v140, v125
	v_fma_f32 v59, v139, v126, -v59
	v_sub_f32_e32 v58, v58, v59
	v_mul_f32_e32 v59, v138, v127
	v_mul_f32_e32 v71, v139, v125
	v_fma_f32 v59, v137, v128, -v59
	s_sub_i32 s36, s35, 32
	v_sub_f32_e32 v57, v91, v57
	v_fmac_f32_e32 v71, v140, v126
	v_sub_f32_e32 v58, v58, v59
	v_mov_b32_e32 v59, s36
	v_sub_f32_e32 v57, v57, v71
	v_mul_f32_e32 v71, v137, v127
	ds_read2_b64 v[124:127], v59 offset1:1
	s_sub_i32 s36, s35, 48
	v_mov_b32_e32 v59, s36
	v_fmac_f32_e32 v71, v138, v128
	ds_read2_b64 v[137:140], v59 offset1:1
	s_waitcnt lgkmcnt(1)
	v_mul_f32_e32 v59, v127, v72
	v_fma_f32 v59, v126, v97, -v59
	v_sub_f32_e32 v58, v58, v59
	v_mul_f32_e32 v59, v125, v98
	v_fma_f32 v59, v124, v110, -v59
	v_sub_f32_e32 v58, v58, v59
	s_waitcnt lgkmcnt(0)
	v_mul_f32_e32 v59, v140, v116
	v_fma_f32 v59, v139, v117, -v59
	v_sub_f32_e32 v57, v57, v71
	v_mul_f32_e32 v71, v126, v72
	v_sub_f32_e32 v58, v58, v59
	v_mul_f32_e32 v59, v138, v129
	v_fmac_f32_e32 v71, v127, v97
	v_fma_f32 v59, v137, v130, -v59
	s_sub_i32 s36, s35, 64
	v_sub_f32_e32 v57, v57, v71
	v_mul_f32_e32 v71, v124, v98
	v_sub_f32_e32 v58, v58, v59
	v_mov_b32_e32 v59, s36
	v_fmac_f32_e32 v71, v125, v110
	ds_read2_b64 v[124:127], v59 offset1:1
	v_sub_f32_e32 v57, v57, v71
	v_mul_f32_e32 v71, v139, v116
	v_fmac_f32_e32 v71, v140, v117
	v_sub_f32_e32 v57, v57, v71
	v_mul_f32_e32 v71, v137, v129
	s_add_i32 s36, s35, 0xffffffb0
	v_fmac_f32_e32 v71, v138, v130
	v_mov_b32_e32 v59, s36
	v_sub_f32_e32 v57, v57, v71
	ds_read2_b64 v[137:140], v59 offset1:1
	s_waitcnt lgkmcnt(1)
	v_mul_f32_e32 v59, v127, v132
	v_mul_f32_e32 v71, v126, v132
	v_fma_f32 v59, v126, v133, -v59
	v_fmac_f32_e32 v71, v127, v133
	v_sub_f32_e32 v58, v58, v59
	v_sub_f32_e32 v57, v57, v71
	v_mul_f32_e32 v59, v125, v147
	v_mul_f32_e32 v71, v124, v147
	buffer_store_dword v143, off, s[0:3], 0 offset:140
	s_waitcnt vmcnt(25)
	v_fma_f32 v59, v124, v149, -v59
	v_fmac_f32_e32 v71, v125, v149
	v_sub_f32_e32 v116, v58, v59
	v_sub_f32_e32 v117, v57, v71
	buffer_load_dword v129, off, s[0:3], 0 offset:140
	buffer_load_dword v130, off, s[0:3], 0 offset:76
	;; [unrolled: 1-line block ×17, first 2 shown]
	s_add_i32 s36, s35, 0xffffffa0
	s_lshl_b32 s34, s34, 3
	s_add_i32 s34, s33, s34
	s_waitcnt vmcnt(19) lgkmcnt(0)
	v_mul_f32_e32 v125, v140, v141
	s_waitcnt vmcnt(18)
	v_fma_f32 v125, v139, v144, -v125
	v_sub_f32_e32 v116, v116, v125
	v_mul_f32_e32 v125, v138, v34
	v_mul_f32_e32 v126, v139, v141
	v_fma_f32 v125, v137, v29, -v125
	v_mul_f32_e32 v34, v137, v34
	v_fmac_f32_e32 v126, v140, v144
	buffer_store_dword v116, off, s[0:3], 0 offset:144
	v_fmac_f32_e32 v34, v138, v29
	v_sub_f32_e32 v29, v116, v125
	v_mov_b32_e32 v116, s36
	v_sub_f32_e32 v139, v117, v126
	ds_read2_b64 v[125:128], v116 offset1:1
	s_add_i32 s36, s35, 0xffffff90
	v_mov_b32_e32 v116, s36
	v_sub_f32_e32 v34, v139, v34
	ds_read2_b64 v[137:140], v116 offset1:1
	s_waitcnt lgkmcnt(1)
	v_mul_f32_e32 v116, v128, v61
	v_mul_f32_e32 v61, v127, v61
	v_fma_f32 v116, v127, v46, -v116
	v_fmac_f32_e32 v61, v128, v46
	v_mul_f32_e32 v46, v126, v74
	v_sub_f32_e32 v29, v29, v116
	v_fma_f32 v46, v125, v65, -v46
	v_sub_f32_e32 v29, v29, v46
	s_waitcnt lgkmcnt(0)
	v_mul_f32_e32 v46, v140, v95
	v_fma_f32 v46, v139, v96, -v46
	v_sub_f32_e32 v29, v29, v46
	v_mul_f32_e32 v46, v138, v101
	v_sub_f32_e32 v34, v34, v61
	v_mul_f32_e32 v61, v125, v74
	v_fma_f32 v46, v137, v119, -v46
	s_addk_i32 s35, 0xff80
	v_fmac_f32_e32 v61, v126, v65
	v_sub_f32_e32 v29, v29, v46
	v_mov_b32_e32 v46, s35
	v_sub_f32_e32 v34, v34, v61
	v_mul_f32_e32 v61, v139, v95
	ds_read2_b64 v[125:128], v46 offset1:1
	v_fmac_f32_e32 v61, v140, v96
	v_sub_f32_e32 v34, v34, v61
	v_mul_f32_e32 v61, v137, v101
	v_mov_b32_e32 v46, s34
	v_fmac_f32_e32 v61, v138, v119
	ds_read2_b64 v[137:140], v46 offset1:1
	v_sub_f32_e32 v34, v34, v61
	s_waitcnt lgkmcnt(1)
	v_mul_f32_e32 v46, v128, v121
	v_mul_f32_e32 v61, v127, v121
	v_fma_f32 v46, v127, v134, -v46
	v_fmac_f32_e32 v61, v128, v134
	v_sub_f32_e32 v29, v29, v46
	v_sub_f32_e32 v34, v34, v61
	v_mul_f32_e32 v46, v126, v135
	v_mul_f32_e32 v61, v125, v135
	v_fma_f32 v46, v125, v145, -v46
	v_fmac_f32_e32 v61, v126, v145
	v_sub_f32_e32 v96, v29, v46
	v_sub_f32_e32 v125, v34, v61
	buffer_load_dword v127, off, s[0:3], 0 offset:140
	buffer_load_dword v119, off, s[0:3], 0 offset:140
	;; [unrolled: 1-line block ×13, first 2 shown]
	v_add_u32_e32 v134, s20, v169
	s_sub_i32 s20, s14, 19
	s_waitcnt vmcnt(30) lgkmcnt(0)
	v_mul_f32_e32 v126, v140, v129
	v_mul_f32_e32 v129, v139, v129
	s_waitcnt vmcnt(21)
	v_fma_f32 v126, v139, v132, -v126
	v_fmac_f32_e32 v129, v140, v132
	v_sub_f32_e32 v96, v96, v126
	v_sub_f32_e32 v126, v125, v129
	v_mul_f32_e32 v125, v138, v126
	v_fma_f32 v125, v137, v96, -v125
	buffer_store_dword v125, off, s[0:3], 0 offset:144
	buffer_load_dword v125, off, s[0:3], 0 offset:144
	s_nop 0
	buffer_load_dword v129, off, s[0:3], 0 offset:152
	buffer_load_dword v132, off, s[0:3], 0 offset:156
	ds_write_b64 v134, v[1:2]
	v_add_u32_e32 v1, s21, v169
	ds_write_b64 v1, v[3:4]
	v_add_u32_e32 v1, s22, v169
	;; [unrolled: 2-line block ×7, first 2 shown]
	s_lshl_b32 s21, s20, 8
	ds_write_b64 v1, v[15:16]
	v_add_u32_e32 v1, s30, v169
	s_add_i32 s22, s21, s13
	ds_write_b64 v1, v[17:18]
	v_add_u32_e32 v1, s31, v169
	s_add_i32 s23, s22, -8
	ds_write_b64 v1, v[142:143]
	v_mov_b32_e32 v1, s23
	v_mul_f32_e32 v126, v137, v126
	ds_read2_b64 v[5:8], v1 offset1:1
	v_fmac_f32_e32 v126, v138, v96
	buffer_store_dword v117, off, s[0:3], 0 offset:148
	buffer_store_dword v126, off, s[0:3], 0 offset:148
	v_add_u32_e32 v2, s33, v169
	s_sub_i32 s23, s22, 24
	buffer_load_dword v10, off, s[0:3], 0 offset:144
	buffer_load_dword v14, off, s[0:3], 0 offset:144
	;; [unrolled: 1-line block ×7, first 2 shown]
	s_waitcnt lgkmcnt(0)
	v_mul_f32_e32 v3, v7, v103
	v_fmac_f32_e32 v3, v8, v104
	s_lshl_b32 s20, s20, 3
	s_add_i32 s20, s21, s20
	s_waitcnt vmcnt(11)
	ds_write_b64 v2, v[125:126]
	v_mov_b32_e32 v2, s23
	ds_read2_b64 v[15:18], v2 offset1:1
	v_mul_f32_e32 v2, v8, v103
	v_fma_f32 v2, v7, v104, -v2
	v_mul_f32_e32 v7, v6, v105
	v_fma_f32 v7, v5, v106, -v7
	v_mul_f32_e32 v5, v5, v105
	s_waitcnt vmcnt(9)
	v_sub_f32_e32 v3, v132, v3
	v_fmac_f32_e32 v5, v6, v106
	v_sub_f32_e32 v2, v129, v2
	v_sub_f32_e32 v3, v3, v5
	s_waitcnt lgkmcnt(0)
	v_mul_f32_e32 v5, v18, v107
	v_sub_f32_e32 v2, v2, v7
	v_fma_f32 v5, v17, v108, -v5
	v_sub_f32_e32 v2, v2, v5
	v_mul_f32_e32 v5, v16, v83
	v_mul_f32_e32 v6, v17, v107
	v_fma_f32 v5, v15, v85, -v5
	s_sub_i32 s23, s22, 40
	buffer_load_dword v9, off, s[0:3], 0 offset:80
	buffer_load_dword v103, off, s[0:3], 0 offset:160
	;; [unrolled: 1-line block ×3, first 2 shown]
	v_fmac_f32_e32 v6, v18, v108
	v_sub_f32_e32 v2, v2, v5
	v_mov_b32_e32 v5, s23
	v_sub_f32_e32 v3, v3, v6
	ds_read2_b64 v[5:8], v5 offset1:1
	v_mul_f32_e32 v11, v15, v83
	v_fmac_f32_e32 v11, v16, v85
	s_sub_i32 s23, s22, 56
	v_sub_f32_e32 v3, v3, v11
	v_mov_b32_e32 v11, s23
	ds_read2_b64 v[15:18], v11 offset1:1
	s_waitcnt lgkmcnt(1)
	v_mul_f32_e32 v11, v8, v86
	v_fma_f32 v11, v7, v87, -v11
	v_mul_f32_e32 v7, v7, v86
	v_fmac_f32_e32 v7, v8, v87
	v_sub_f32_e32 v3, v3, v7
	v_mul_f32_e32 v7, v6, v88
	v_fma_f32 v7, v5, v89, -v7
	v_mul_f32_e32 v5, v5, v88
	v_fmac_f32_e32 v5, v6, v89
	v_sub_f32_e32 v2, v2, v11
	v_sub_f32_e32 v3, v3, v5
	s_waitcnt lgkmcnt(0)
	v_mul_f32_e32 v5, v18, v109
	v_sub_f32_e32 v2, v2, v7
	v_fma_f32 v5, v17, v111, -v5
	v_sub_f32_e32 v2, v2, v5
	v_mul_f32_e32 v5, v16, v113
	v_mul_f32_e32 v6, v17, v109
	v_fma_f32 v5, v15, v114, -v5
	s_add_i32 s23, s22, 0xffffffb8
	v_fmac_f32_e32 v6, v18, v111
	v_sub_f32_e32 v2, v2, v5
	v_mov_b32_e32 v5, s23
	v_sub_f32_e32 v3, v3, v6
	ds_read2_b64 v[5:8], v5 offset1:1
	v_mul_f32_e32 v11, v15, v113
	v_fmac_f32_e32 v11, v16, v114
	s_add_i32 s23, s22, 0xffffffa8
	v_sub_f32_e32 v3, v3, v11
	v_mov_b32_e32 v11, s23
	ds_read2_b64 v[15:18], v11 offset1:1
	s_waitcnt lgkmcnt(1)
	v_mul_f32_e32 v11, v8, v123
	v_fma_f32 v11, v7, v136, -v11
	v_sub_f32_e32 v2, v2, v11
	buffer_load_dword v11, off, s[0:3], 0 offset:148
	v_mul_f32_e32 v7, v7, v123
	v_fmac_f32_e32 v7, v8, v136
	v_sub_f32_e32 v3, v3, v7
	v_mul_f32_e32 v7, v6, v130
	v_fma_f32 v7, v5, v133, -v7
	v_mul_f32_e32 v5, v5, v130
	v_fmac_f32_e32 v5, v6, v133
	v_sub_f32_e32 v6, v2, v7
	s_waitcnt lgkmcnt(0)
	v_mul_f32_e32 v7, v18, v24
	s_add_i32 s23, s22, 0xffffff98
	v_sub_f32_e32 v5, v3, v5
	buffer_load_dword v13, off, s[0:3], 0 offset:80
	buffer_load_dword v105, off, s[0:3], 0 offset:80
	;; [unrolled: 1-line block ×7, first 2 shown]
	s_waitcnt vmcnt(10)
	v_fma_f32 v7, v17, v9, -v7
	v_sub_f32_e32 v6, v6, v7
	v_mul_f32_e32 v7, v16, v32
	v_mul_f32_e32 v17, v17, v24
	v_fma_f32 v7, v15, v25, -v7
	v_fmac_f32_e32 v17, v18, v9
	v_mul_f32_e32 v9, v15, v32
	v_sub_f32_e32 v6, v6, v7
	v_mov_b32_e32 v7, s23
	v_sub_f32_e32 v5, v5, v17
	v_fmac_f32_e32 v9, v16, v25
	ds_read2_b64 v[15:18], v7 offset1:1
	s_add_i32 s23, s22, 0xffffff88
	v_mov_b32_e32 v7, s23
	ds_read2_b64 v[86:89], v7 offset1:1
	v_sub_f32_e32 v5, v5, v9
	s_waitcnt lgkmcnt(1)
	v_mul_f32_e32 v7, v18, v45
	v_fma_f32 v7, v17, v38, -v7
	v_sub_f32_e32 v6, v6, v7
	v_mul_f32_e32 v7, v16, v60
	v_fma_f32 v7, v15, v62, -v7
	v_sub_f32_e32 v6, v6, v7
	s_waitcnt lgkmcnt(0)
	v_mul_f32_e32 v7, v89, v70
	v_mul_f32_e32 v9, v17, v45
	v_fma_f32 v7, v88, v94, -v7
	v_fmac_f32_e32 v9, v18, v38
	v_sub_f32_e32 v6, v6, v7
	v_mul_f32_e32 v7, v87, v99
	v_sub_f32_e32 v5, v5, v9
	v_mul_f32_e32 v9, v15, v60
	v_fma_f32 v7, v86, v118, -v7
	s_addk_i32 s22, 0xff78
	v_fmac_f32_e32 v9, v16, v62
	v_sub_f32_e32 v6, v6, v7
	v_mov_b32_e32 v7, s22
	v_sub_f32_e32 v5, v5, v9
	v_mul_f32_e32 v9, v88, v70
	ds_read2_b64 v[15:18], v7 offset1:1
	v_fmac_f32_e32 v9, v89, v94
	v_sub_f32_e32 v5, v5, v9
	v_mul_f32_e32 v9, v86, v99
	v_mov_b32_e32 v7, s20
	v_fmac_f32_e32 v9, v87, v118
	ds_read2_b64 v[86:89], v7 offset1:1
	v_sub_f32_e32 v5, v5, v9
	s_waitcnt lgkmcnt(1)
	v_mul_f32_e32 v7, v18, v122
	v_mul_f32_e32 v9, v17, v122
	v_fma_f32 v7, v17, v131, -v7
	v_fmac_f32_e32 v9, v18, v131
	v_sub_f32_e32 v6, v6, v7
	v_sub_f32_e32 v5, v5, v9
	v_mul_f32_e32 v7, v16, v127
	v_mul_f32_e32 v9, v15, v127
	v_fma_f32 v7, v15, v128, -v7
	v_fmac_f32_e32 v9, v16, v128
	s_waitcnt vmcnt(7) lgkmcnt(0)
	v_mul_f32_e32 v16, v89, v11
	v_sub_f32_e32 v6, v6, v7
	v_sub_f32_e32 v7, v5, v9
	buffer_load_dword v15, off, s[0:3], 0 offset:148
	buffer_load_dword v126, off, s[0:3], 0 offset:148
	;; [unrolled: 1-line block ×7, first 2 shown]
	v_fma_f32 v16, v88, v10, -v16
	v_mul_f32_e32 v11, v88, v11
	buffer_load_dword v25, off, s[0:3], 0 offset:60
	v_fmac_f32_e32 v11, v89, v10
	v_sub_f32_e32 v10, v6, v16
	buffer_load_dword v16, off, s[0:3], 0 offset:56
	s_sub_i32 s22, s14, 20
	v_sub_f32_e32 v7, v7, v11
	s_lshl_b32 s20, s22, 8
	v_mul_f32_e32 v6, v87, v7
	v_mul_f32_e32 v7, v86, v7
	s_add_i32 s23, s20, s13
	v_fma_f32 v6, v86, v10, -v6
	v_fmac_f32_e32 v7, v87, v10
	v_mov_b32_e32 v10, s23
	ds_read_b64 v[10:11], v10
	buffer_store_dword v6, off, s[0:3], 0 offset:152
	buffer_store_dword v7, off, s[0:3], 0 offset:156
	buffer_load_dword v32, off, s[0:3], 0 offset:84
	buffer_load_dword v38, off, s[0:3], 0 offset:88
	v_add_u32_e32 v17, s21, v169
	ds_write_b64 v17, v[6:7]
	s_waitcnt lgkmcnt(1)
	v_mul_f32_e32 v6, v11, v75
	s_add_i32 s21, s23, -16
	v_fma_f32 v6, v10, v76, -v6
	v_mul_f32_e32 v7, v10, v75
	v_mov_b32_e32 v10, s21
	ds_read2_b64 v[86:89], v10 offset1:1
	s_sub_i32 s21, s23, 32
	v_mov_b32_e32 v10, s21
	ds_read2_b64 v[106:109], v10 offset1:1
	v_sub_f32_e32 v6, v103, v6
	s_waitcnt lgkmcnt(1)
	v_mul_f32_e32 v10, v89, v77
	v_fma_f32 v10, v88, v78, -v10
	v_sub_f32_e32 v6, v6, v10
	v_mul_f32_e32 v10, v87, v79
	v_fma_f32 v10, v86, v80, -v10
	v_sub_f32_e32 v6, v6, v10
	s_waitcnt lgkmcnt(0)
	v_mul_f32_e32 v10, v109, v48
	v_fma_f32 v10, v108, v49, -v10
	v_fmac_f32_e32 v7, v11, v76
	v_mul_f32_e32 v11, v88, v77
	v_sub_f32_e32 v6, v6, v10
	v_mul_f32_e32 v10, v107, v50
	v_sub_f32_e32 v7, v125, v7
	v_fmac_f32_e32 v11, v89, v78
	v_fma_f32 v10, v106, v52, -v10
	s_sub_i32 s21, s23, 48
	v_sub_f32_e32 v7, v7, v11
	v_mul_f32_e32 v11, v86, v79
	v_sub_f32_e32 v6, v6, v10
	v_mov_b32_e32 v10, s21
	v_fmac_f32_e32 v11, v87, v80
	ds_read2_b64 v[75:78], v10 offset1:1
	v_sub_f32_e32 v7, v7, v11
	v_mul_f32_e32 v11, v108, v48
	s_sub_i32 s21, s23, 64
	v_fmac_f32_e32 v11, v109, v49
	v_mov_b32_e32 v10, s21
	v_sub_f32_e32 v7, v7, v11
	v_mul_f32_e32 v11, v106, v50
	ds_read2_b64 v[127:130], v10 offset1:1
	v_fmac_f32_e32 v11, v107, v52
	v_sub_f32_e32 v7, v7, v11
	s_waitcnt lgkmcnt(1)
	v_mul_f32_e32 v11, v77, v51
	v_mul_f32_e32 v10, v78, v51
	v_fmac_f32_e32 v11, v78, v53
	v_fma_f32 v10, v77, v53, -v10
	v_sub_f32_e32 v7, v7, v11
	v_mul_f32_e32 v11, v75, v26
	v_sub_f32_e32 v6, v6, v10
	v_mul_f32_e32 v10, v76, v26
	v_fmac_f32_e32 v11, v76, v82
	v_fma_f32 v10, v75, v82, -v10
	v_sub_f32_e32 v11, v7, v11
	v_sub_f32_e32 v26, v6, v10
	s_add_i32 s21, s23, 0xffffffb0
	buffer_load_dword v62, off, s[0:3], 0 offset:60
	buffer_load_dword v135, off, s[0:3], 0 offset:60
	;; [unrolled: 1-line block ×14, first 2 shown]
	s_waitcnt vmcnt(19) lgkmcnt(0)
	v_mul_f32_e32 v45, v130, v25
	v_mul_f32_e32 v25, v129, v25
	s_waitcnt vmcnt(18)
	v_fmac_f32_e32 v25, v130, v16
	v_fma_f32 v45, v129, v16, -v45
	v_sub_f32_e32 v11, v11, v25
	v_mul_f32_e32 v25, v128, v100
	v_sub_f32_e32 v16, v26, v45
	v_fma_f32 v25, v127, v115, -v25
	v_sub_f32_e32 v16, v16, v25
	v_mov_b32_e32 v25, s21
	ds_read2_b64 v[50:53], v25 offset1:1
	s_add_i32 s21, s23, 0xffffffa0
	v_mov_b32_e32 v25, s21
	v_mul_f32_e32 v26, v127, v100
	ds_read2_b64 v[77:80], v25 offset1:1
	v_fmac_f32_e32 v26, v128, v115
	v_sub_f32_e32 v11, v11, v26
	s_waitcnt lgkmcnt(1)
	v_mul_f32_e32 v26, v52, v120
	v_mul_f32_e32 v25, v53, v120
	v_fmac_f32_e32 v26, v53, v124
	s_waitcnt vmcnt(15)
	v_mul_f32_e32 v45, v51, v32
	v_mul_f32_e32 v32, v50, v32
	v_fma_f32 v25, v52, v124, -v25
	v_sub_f32_e32 v26, v11, v26
	v_fmac_f32_e32 v32, v51, v13
	v_sub_f32_e32 v25, v16, v25
	v_fma_f32 v45, v50, v13, -v45
	v_sub_f32_e32 v26, v26, v32
	s_waitcnt lgkmcnt(0)
	v_mul_f32_e32 v32, v80, v21
	v_mul_f32_e32 v21, v79, v21
	buffer_load_dword v154, off, s[0:3], 0 offset:84
	buffer_load_dword v144, off, s[0:3], 0 offset:84
	;; [unrolled: 1-line block ×7, first 2 shown]
	v_sub_f32_e32 v45, v25, v45
	buffer_load_dword v82, off, s[0:3], 0 offset:156
	buffer_load_dword v156, off, s[0:3], 0 offset:88
	;; [unrolled: 1-line block ×8, first 2 shown]
	s_waitcnt vmcnt(29)
	v_fma_f32 v32, v79, v38, -v32
	v_fmac_f32_e32 v21, v80, v38
	buffer_load_dword v38, off, s[0:3], 0 offset:152
	v_sub_f32_e32 v21, v26, v21
	v_mul_f32_e32 v26, v78, v23
	v_sub_f32_e32 v32, v45, v32
	v_fma_f32 v26, v77, v22, -v26
	v_mul_f32_e32 v23, v77, v23
	s_add_i32 s21, s23, 0xffffff90
	v_fmac_f32_e32 v23, v78, v22
	v_sub_f32_e32 v22, v32, v26
	v_mov_b32_e32 v26, s21
	ds_read2_b64 v[50:53], v26 offset1:1
	s_add_i32 s21, s23, 0xffffff80
	v_sub_f32_e32 v21, v21, v23
	v_mov_b32_e32 v23, s21
	ds_read2_b64 v[77:80], v23 offset1:1
	s_waitcnt lgkmcnt(1)
	v_mul_f32_e32 v23, v53, v30
	v_fma_f32 v23, v52, v31, -v23
	v_sub_f32_e32 v22, v22, v23
	v_mul_f32_e32 v23, v51, v39
	v_fma_f32 v23, v50, v54, -v23
	v_mul_f32_e32 v26, v52, v30
	v_sub_f32_e32 v22, v22, v23
	s_waitcnt lgkmcnt(0)
	v_mul_f32_e32 v23, v80, v66
	v_fmac_f32_e32 v26, v53, v31
	v_fma_f32 v23, v79, v90, -v23
	v_sub_f32_e32 v21, v21, v26
	v_mul_f32_e32 v26, v50, v39
	v_sub_f32_e32 v22, v22, v23
	v_mul_f32_e32 v23, v78, v102
	v_fmac_f32_e32 v26, v51, v54
	v_fma_f32 v23, v77, v112, -v23
	s_add_i32 s21, s23, 0xffffff70
	v_sub_f32_e32 v21, v21, v26
	v_mul_f32_e32 v26, v79, v66
	v_sub_f32_e32 v22, v22, v23
	v_mov_b32_e32 v23, s21
	v_fmac_f32_e32 v26, v80, v90
	buffer_load_dword v30, off, s[0:3], 0 offset:4
	buffer_load_dword v31, off, s[0:3], 0
	ds_read2_b64 v[50:53], v23 offset1:1
	s_lshl_b32 s21, s22, 3
	v_sub_f32_e32 v21, v21, v26
	v_mul_f32_e32 v26, v77, v102
	s_add_i32 s21, s20, s21
	v_fmac_f32_e32 v26, v78, v112
	v_mov_b32_e32 v23, s21
	v_sub_f32_e32 v21, v21, v26
	buffer_load_dword v26, off, s[0:3], 0 offset:168
	buffer_load_dword v39, off, s[0:3], 0 offset:172
	ds_read2_b64 v[127:130], v23 offset1:1
	s_waitcnt lgkmcnt(1)
	v_mul_f32_e32 v23, v53, v119
	v_fma_f32 v23, v52, v121, -v23
	v_mul_f32_e32 v32, v52, v119
	v_fmac_f32_e32 v32, v53, v121
	v_sub_f32_e32 v22, v22, v23
	v_mul_f32_e32 v23, v51, v15
	v_mul_f32_e32 v15, v50, v15
	v_sub_f32_e32 v21, v21, v32
	v_fma_f32 v23, v50, v14, -v23
	v_fmac_f32_e32 v15, v51, v14
	v_sub_f32_e32 v22, v22, v23
	v_sub_f32_e32 v23, v21, v15
	buffer_load_dword v45, off, s[0:3], 0 offset:12
	buffer_load_dword v54, off, s[0:3], 0 offset:8
	;; [unrolled: 1-line block ×18, first 2 shown]
	s_sub_i32 s21, s14, 21
	s_waitcnt vmcnt(30) lgkmcnt(0)
	v_mul_f32_e32 v51, v129, v82
	v_mul_f32_e32 v50, v130, v82
	s_waitcnt vmcnt(22)
	v_fmac_f32_e32 v51, v130, v38
	v_fma_f32 v50, v129, v38, -v50
	v_sub_f32_e32 v23, v23, v51
	v_sub_f32_e32 v38, v22, v50
	v_mul_f32_e32 v22, v128, v23
	v_fma_f32 v22, v127, v38, -v22
	v_mul_f32_e32 v23, v127, v23
	v_fmac_f32_e32 v23, v128, v38
	buffer_store_dword v22, off, s[0:3], 0 offset:160
	buffer_store_dword v23, off, s[0:3], 0 offset:164
	buffer_load_dword v102, off, s[0:3], 0 offset:28
	v_add_u32_e32 v38, s20, v169
	ds_write_b64 v38, v[22:23]
	buffer_load_dword v103, off, s[0:3], 0 offset:24
	buffer_load_dword v106, off, s[0:3], 0 offset:32
	buffer_load_dword v107, off, s[0:3], 0 offset:36
	buffer_load_dword v108, off, s[0:3], 0 offset:40
	buffer_load_dword v151, off, s[0:3], 0 offset:44
	buffer_load_dword v157, off, s[0:3], 0 offset:48
	buffer_load_dword v165, off, s[0:3], 0 offset:52
	s_lshl_b32 s20, s21, 8
	s_add_i32 s22, s20, s13
	s_add_i32 s23, s22, -8
	v_mov_b32_e32 v22, s23
	s_sub_i32 s23, s22, 24
	v_mov_b32_e32 v23, s23
	ds_read2_b64 v[50:53], v22 offset1:1
	ds_read2_b64 v[127:130], v23 offset1:1
	s_sub_i32 s23, s22, 40
	buffer_load_dword v172, off, s[0:3], 0
	buffer_load_dword v173, off, s[0:3], 0
	;; [unrolled: 1-line block ×6, first 2 shown]
	s_lshl_b32 s21, s21, 3
	s_add_i32 s21, s20, s21
	s_waitcnt vmcnt(37) lgkmcnt(1)
	v_mul_f32_e32 v22, v53, v30
	v_mul_f32_e32 v30, v52, v30
	s_waitcnt vmcnt(36)
	v_fmac_f32_e32 v30, v53, v31
	v_fma_f32 v38, v52, v31, -v22
	buffer_load_dword v174, off, s[0:3], 0 offset:176
	buffer_load_dword v175, off, s[0:3], 0 offset:180
	;; [unrolled: 1-line block ×6, first 2 shown]
	s_waitcnt vmcnt(41)
	v_sub_f32_e32 v38, v26, v38
	s_waitcnt vmcnt(40)
	v_sub_f32_e32 v30, v39, v30
	buffer_load_dword v178, off, s[0:3], 0 offset:12
	buffer_load_dword v179, off, s[0:3], 0 offset:8
	buffer_load_dword v180, off, s[0:3], 0 offset:12
	buffer_load_dword v139, off, s[0:3], 0 offset:8
	buffer_load_dword v114, off, s[0:3], 0 offset:8
	buffer_load_dword v80, off, s[0:3], 0 offset:8
	buffer_load_dword v26, off, s[0:3], 0 offset:8
	buffer_load_dword v181, off, s[0:3], 0 offset:4
	buffer_load_dword v182, off, s[0:3], 0 offset:8
	buffer_load_dword v183, off, s[0:3], 0 offset:4
	buffer_load_dword v145, off, s[0:3], 0 offset:4
	buffer_load_dword v119, off, s[0:3], 0 offset:4
	buffer_load_dword v87, off, s[0:3], 0 offset:4
	buffer_load_dword v31, off, s[0:3], 0 offset:4
	s_waitcnt vmcnt(53)
	v_mul_f32_e32 v39, v51, v45
	v_mul_f32_e32 v45, v50, v45
	s_waitcnt vmcnt(52)
	v_fma_f32 v39, v50, v54, -v39
	v_fmac_f32_e32 v45, v51, v54
	s_waitcnt vmcnt(44) lgkmcnt(0)
	v_mul_f32_e32 v50, v130, v66
	v_mul_f32_e32 v51, v129, v66
	v_sub_f32_e32 v38, v38, v39
	v_sub_f32_e32 v39, v30, v45
	s_waitcnt vmcnt(36)
	v_fma_f32 v50, v129, v89, -v50
	v_fmac_f32_e32 v51, v130, v89
	v_sub_f32_e32 v52, v38, v50
	v_sub_f32_e32 v51, v39, v51
	buffer_load_dword v184, off, s[0:3], 0 offset:20
	buffer_load_dword v185, off, s[0:3], 0 offset:20
	;; [unrolled: 1-line block ×28, first 2 shown]
	s_waitcnt vmcnt(61)
	v_mul_f32_e32 v53, v128, v102
	v_mul_f32_e32 v54, v127, v102
	s_waitcnt vmcnt(60)
	v_fma_f32 v53, v127, v103, -v53
	v_fmac_f32_e32 v54, v128, v103
	v_sub_f32_e32 v52, v52, v53
	v_sub_f32_e32 v53, v51, v54
	v_mov_b32_e32 v51, s23
	s_sub_i32 s23, s22, 56
	v_mov_b32_e32 v54, s23
	ds_read2_b64 v[131:134], v51 offset1:1
	ds_read2_b64 v[161:164], v54 offset1:1
	buffer_load_dword v192, off, s[0:3], 0 offset:32
	buffer_load_dword v193, off, s[0:3], 0 offset:32
	;; [unrolled: 1-line block ×6, first 2 shown]
	s_add_i32 s23, s22, 0xffffffb8
	s_waitcnt vmcnt(62) lgkmcnt(1)
	v_mul_f32_e32 v54, v134, v107
	v_fma_f32 v54, v133, v106, -v54
	v_mul_f32_e32 v66, v133, v107
	buffer_load_dword v133, off, s[0:3], 0 offset:92
	v_fmac_f32_e32 v66, v134, v106
	v_sub_f32_e32 v106, v52, v54
	buffer_load_dword v194, off, s[0:3], 0 offset:44
	buffer_load_dword v195, off, s[0:3], 0 offset:40
	;; [unrolled: 1-line block ×15, first 2 shown]
	v_sub_f32_e32 v53, v53, v66
	v_mul_f32_e32 v66, v132, v151
	v_mul_f32_e32 v129, v131, v151
	v_fma_f32 v66, v131, v108, -v66
	v_fmac_f32_e32 v129, v132, v108
	s_waitcnt vmcnt(62) lgkmcnt(0)
	v_mul_f32_e32 v168, v164, v165
	v_sub_f32_e32 v166, v106, v66
	v_sub_f32_e32 v167, v53, v129
	buffer_load_dword v200, off, s[0:3], 0 offset:52
	buffer_load_dword v201, off, s[0:3], 0 offset:52
	;; [unrolled: 1-line block ×15, first 2 shown]
	v_fma_f32 v168, v163, v157, -v168
	v_mul_f32_e32 v163, v163, v165
	v_fmac_f32_e32 v163, v164, v157
	v_sub_f32_e32 v165, v167, v163
	v_mul_f32_e32 v163, v162, v62
	v_sub_f32_e32 v157, v166, v168
	v_fma_f32 v163, v161, v70, -v163
	v_mul_f32_e32 v62, v161, v62
	v_fmac_f32_e32 v62, v162, v70
	v_sub_f32_e32 v70, v157, v163
	v_mov_b32_e32 v157, s23
	ds_read2_b64 v[161:164], v157 offset1:1
	s_add_i32 s23, s22, 0xffffffa8
	v_mov_b32_e32 v157, s23
	v_sub_f32_e32 v62, v165, v62
	ds_read2_b64 v[165:168], v157 offset1:1
	s_waitcnt lgkmcnt(1)
	v_mul_f32_e32 v157, v164, v69
	v_mul_f32_e32 v69, v163, v69
	v_fmac_f32_e32 v69, v164, v84
	v_fma_f32 v157, v163, v84, -v157
	v_sub_f32_e32 v62, v62, v69
	v_mul_f32_e32 v69, v162, v97
	v_sub_f32_e32 v70, v70, v157
	v_fma_f32 v69, v161, v110, -v69
	v_mul_f32_e32 v84, v161, v97
	v_sub_f32_e32 v69, v70, v69
	s_waitcnt lgkmcnt(0)
	v_mul_f32_e32 v70, v168, v154
	v_fmac_f32_e32 v84, v162, v110
	v_fma_f32 v70, v167, v105, -v70
	v_sub_f32_e32 v62, v62, v84
	v_mul_f32_e32 v84, v167, v154
	v_sub_f32_e32 v69, v69, v70
	s_add_i32 s23, s22, 0xffffff98
	v_fmac_f32_e32 v84, v168, v105
	v_sub_f32_e32 v70, v62, v84
	buffer_load_dword v205, off, s[0:3], 0 offset:92
	buffer_load_dword v206, off, s[0:3], 0 offset:92
	;; [unrolled: 1-line block ×6, first 2 shown]
	s_waitcnt vmcnt(36)
	v_mul_f32_e32 v97, v166, v133
	v_fma_f32 v97, v165, v156, -v97
	v_sub_f32_e32 v157, v69, v97
	v_mov_b32_e32 v69, s23
	s_add_i32 s23, s22, 0xffffff88
	v_mul_f32_e32 v105, v165, v133
	ds_read2_b64 v[161:164], v69 offset1:1
	v_mov_b32_e32 v69, s23
	v_fmac_f32_e32 v105, v166, v156
	ds_read2_b64 v[165:168], v69 offset1:1
	buffer_load_dword v207, off, s[0:3], 0 offset:164
	buffer_load_dword v208, off, s[0:3], 0 offset:96
	;; [unrolled: 1-line block ×8, first 2 shown]
	v_sub_f32_e32 v70, v70, v105
	s_waitcnt lgkmcnt(1)
	v_mul_f32_e32 v105, v164, v19
	v_mul_f32_e32 v19, v163, v19
	s_waitcnt vmcnt(29)
	v_fmac_f32_e32 v19, v164, v134
	v_mul_f32_e32 v164, v162, v20
	v_mul_f32_e32 v20, v161, v20
	v_sub_f32_e32 v19, v70, v19
	s_waitcnt vmcnt(21)
	v_fmac_f32_e32 v20, v162, v202
	v_fma_f32 v105, v163, v134, -v105
	v_sub_f32_e32 v19, v19, v20
	s_waitcnt lgkmcnt(0)
	v_mul_f32_e32 v20, v168, v27
	v_mul_f32_e32 v27, v167, v27
	v_sub_f32_e32 v163, v157, v105
	v_fma_f32 v164, v161, v202, -v164
	v_fmac_f32_e32 v27, v168, v35
	v_sub_f32_e32 v161, v163, v164
	v_fma_f32 v20, v167, v35, -v20
	v_sub_f32_e32 v19, v19, v27
	v_mul_f32_e32 v27, v166, v43
	v_sub_f32_e32 v20, v161, v20
	v_fma_f32 v27, v165, v63, -v27
	s_add_i32 s23, s22, 0xffffff78
	v_sub_f32_e32 v20, v20, v27
	v_mov_b32_e32 v27, s23
	buffer_load_dword v211, off, s[0:3], 0 offset:104
	buffer_load_dword v212, off, s[0:3], 0 offset:104
	;; [unrolled: 1-line block ×6, first 2 shown]
	ds_read2_b64 v[161:164], v27 offset1:1
	s_addk_i32 s22, 0xff68
	v_mul_f32_e32 v35, v165, v43
	v_mov_b32_e32 v27, s22
	v_fmac_f32_e32 v35, v166, v63
	ds_read2_b64 v[165:168], v27 offset1:1
	v_sub_f32_e32 v19, v19, v35
	s_waitcnt lgkmcnt(1)
	v_mul_f32_e32 v35, v163, v81
	v_fmac_f32_e32 v35, v164, v93
	v_mul_f32_e32 v27, v164, v81
	v_sub_f32_e32 v19, v19, v35
	v_mul_f32_e32 v35, v161, v101
	v_fma_f32 v27, v163, v93, -v27
	v_fmac_f32_e32 v35, v162, v116
	v_sub_f32_e32 v20, v20, v27
	v_mul_f32_e32 v27, v162, v101
	v_sub_f32_e32 v19, v19, v35
	s_waitcnt lgkmcnt(0)
	v_mul_f32_e32 v35, v167, v126
	v_fma_f32 v27, v161, v116, -v27
	v_fmac_f32_e32 v35, v168, v117
	v_sub_f32_e32 v20, v20, v27
	v_mul_f32_e32 v27, v168, v126
	v_sub_f32_e32 v19, v19, v35
	v_mul_f32_e32 v35, v165, v158
	v_fma_f32 v27, v167, v117, -v27
	v_fmac_f32_e32 v35, v166, v170
	s_sub_i32 s22, s14, 22
	v_sub_f32_e32 v20, v20, v27
	v_mul_f32_e32 v27, v166, v158
	v_sub_f32_e32 v35, v19, v35
	v_mov_b32_e32 v19, s21
	s_lshl_b32 s21, s22, 8
	v_fma_f32 v27, v165, v170, -v27
	s_add_i32 s23, s21, s13
	v_sub_f32_e32 v27, v20, v27
	v_mov_b32_e32 v20, s23
	ds_read2_b64 v[161:164], v19 offset1:1
	ds_read_b64 v[116:117], v20
	buffer_load_dword v170, off, s[0:3], 0 offset:164
	buffer_load_dword v202, off, s[0:3], 0 offset:164
	;; [unrolled: 1-line block ×12, first 2 shown]
	s_sub_i32 s14, s14, 28
	s_waitcnt vmcnt(25) lgkmcnt(1)
	v_mul_f32_e32 v43, v164, v207
	s_waitcnt vmcnt(18)
	v_fma_f32 v43, v163, v210, -v43
	v_mul_f32_e32 v163, v163, v207
	v_fmac_f32_e32 v163, v164, v210
	v_sub_f32_e32 v35, v35, v163
	v_sub_f32_e32 v27, v27, v43
	v_mul_f32_e32 v43, v162, v35
	v_mul_f32_e32 v164, v161, v35
	v_fma_f32 v163, v161, v27, -v43
	v_fmac_f32_e32 v164, v162, v27
	v_add_u32_e32 v27, s20, v169
	s_add_i32 s20, s23, -16
	buffer_store_dword v163, off, s[0:3], 0 offset:168
	buffer_store_dword v164, off, s[0:3], 0 offset:172
	v_mov_b32_e32 v43, s20
	ds_write_b64 v27, v[163:164]
	ds_read2_b64 v[161:164], v43 offset1:1
	s_sub_i32 s20, s23, 32
	s_waitcnt lgkmcnt(2)
	v_mul_f32_e32 v27, v117, v181
	v_mov_b32_e32 v43, s20
	v_fma_f32 v27, v116, v172, -v27
	ds_read2_b64 v[165:168], v43 offset1:1
	s_waitcnt lgkmcnt(1)
	v_mul_f32_e32 v43, v164, v178
	v_sub_f32_e32 v27, v174, v27
	v_fma_f32 v43, v163, v182, -v43
	v_sub_f32_e32 v27, v27, v43
	buffer_load_dword v43, off, s[0:3], 0 offset:100
	buffer_load_dword v174, off, s[0:3], 0 offset:112
	v_mul_f32_e32 v35, v116, v181
	v_fmac_f32_e32 v35, v117, v172
	v_mul_f32_e32 v116, v163, v178
	v_sub_f32_e32 v35, v175, v35
	v_fmac_f32_e32 v116, v164, v182
	v_sub_f32_e32 v35, v35, v116
	v_mul_f32_e32 v116, v162, v184
	v_fma_f32 v116, v161, v186, -v116
	buffer_load_dword v172, off, s[0:3], 0 offset:108
	v_sub_f32_e32 v27, v27, v116
	s_waitcnt lgkmcnt(0)
	v_mul_f32_e32 v116, v168, v188
	v_fma_f32 v116, v167, v190, -v116
	v_sub_f32_e32 v27, v27, v116
	v_mul_f32_e32 v116, v166, v197
	v_fma_f32 v116, v165, v192, -v116
	s_sub_i32 s20, s23, 48
	v_mul_f32_e32 v117, v161, v184
	v_sub_f32_e32 v27, v27, v116
	v_mov_b32_e32 v116, s20
	v_fmac_f32_e32 v117, v162, v186
	ds_read2_b64 v[161:164], v116 offset1:1
	v_sub_f32_e32 v35, v35, v117
	v_mul_f32_e32 v117, v167, v188
	v_fmac_f32_e32 v117, v168, v190
	s_sub_i32 s20, s23, 64
	v_sub_f32_e32 v35, v35, v117
	v_mul_f32_e32 v117, v165, v197
	v_mov_b32_e32 v116, s20
	v_fmac_f32_e32 v117, v166, v192
	ds_read2_b64 v[165:168], v116 offset1:1
	s_waitcnt lgkmcnt(1)
	v_mul_f32_e32 v116, v164, v194
	v_fma_f32 v116, v163, v198, -v116
	v_sub_f32_e32 v27, v27, v116
	v_mul_f32_e32 v116, v162, v200
	v_fma_f32 v116, v161, v203, -v116
	v_sub_f32_e32 v35, v35, v117
	v_mul_f32_e32 v117, v163, v194
	v_sub_f32_e32 v27, v27, v116
	s_waitcnt lgkmcnt(0)
	v_mul_f32_e32 v116, v168, v135
	v_fmac_f32_e32 v117, v164, v198
	v_fma_f32 v116, v167, v142, -v116
	v_sub_f32_e32 v35, v35, v117
	v_mul_f32_e32 v117, v161, v200
	v_sub_f32_e32 v27, v27, v116
	v_mul_f32_e32 v116, v166, v56
	v_mul_f32_e32 v56, v165, v56
	s_add_i32 s20, s23, 0xffffffb0
	v_fmac_f32_e32 v117, v162, v203
	v_fma_f32 v116, v165, v68, -v116
	v_fmac_f32_e32 v56, v166, v68
	v_mov_b32_e32 v68, s20
	v_sub_f32_e32 v35, v35, v117
	v_mul_f32_e32 v117, v167, v135
	ds_read2_b64 v[161:164], v68 offset1:1
	v_fmac_f32_e32 v117, v168, v142
	v_sub_f32_e32 v35, v35, v117
	s_add_i32 s20, s23, 0xffffffa0
	v_sub_f32_e32 v35, v35, v56
	v_mov_b32_e32 v56, s20
	ds_read2_b64 v[165:168], v56 offset1:1
	s_waitcnt lgkmcnt(1)
	v_mul_f32_e32 v56, v164, v91
	v_mul_f32_e32 v68, v163, v91
	v_sub_f32_e32 v27, v27, v116
	v_fma_f32 v56, v163, v98, -v56
	v_fmac_f32_e32 v68, v164, v98
	v_sub_f32_e32 v27, v27, v56
	v_sub_f32_e32 v35, v35, v68
	v_mul_f32_e32 v56, v162, v144
	v_mul_f32_e32 v68, v161, v144
	v_fma_f32 v56, v161, v85, -v56
	v_fmac_f32_e32 v68, v162, v85
	v_sub_f32_e32 v27, v27, v56
	v_sub_f32_e32 v35, v35, v68
	s_waitcnt lgkmcnt(0)
	v_mul_f32_e32 v56, v168, v205
	v_mul_f32_e32 v68, v167, v205
	v_fma_f32 v56, v167, v159, -v56
	v_fmac_f32_e32 v68, v168, v159
	v_sub_f32_e32 v27, v27, v56
	s_waitcnt vmcnt(2)
	v_mul_f32_e32 v85, v166, v43
	v_mul_f32_e32 v43, v165, v43
	v_sub_f32_e32 v56, v35, v68
	v_fmac_f32_e32 v43, v166, v208
	s_add_i32 s20, s23, 0xffffff90
	v_fma_f32 v85, v165, v208, -v85
	v_sub_f32_e32 v43, v56, v43
	v_mov_b32_e32 v56, s20
	s_add_i32 s20, s23, 0xffffff80
	v_sub_f32_e32 v27, v27, v85
	v_mov_b32_e32 v85, s20
	buffer_load_dword v135, off, s[0:3], 0 offset:100
	buffer_load_dword v144, off, s[0:3], 0 offset:100
	;; [unrolled: 1-line block ×5, first 2 shown]
	ds_read2_b64 v[161:164], v56 offset1:1
	ds_read2_b64 v[165:168], v85 offset1:1
	buffer_load_dword v142, off, s[0:3], 0 offset:172
	buffer_load_dword v175, off, s[0:3], 0 offset:168
	;; [unrolled: 1-line block ×7, first 2 shown]
	s_add_i32 s20, s23, 0xffffff70
	s_waitcnt vmcnt(12) lgkmcnt(1)
	v_mul_f32_e32 v91, v164, v172
	v_mul_f32_e32 v117, v163, v172
	v_fma_f32 v91, v163, v211, -v91
	v_fmac_f32_e32 v117, v164, v211
	v_mul_f32_e32 v163, v162, v28
	v_mul_f32_e32 v28, v161, v28
	v_sub_f32_e32 v159, v43, v117
	v_fmac_f32_e32 v28, v162, v174
	v_sub_f32_e32 v28, v159, v28
	s_waitcnt lgkmcnt(0)
	v_mul_f32_e32 v159, v168, v33
	v_mul_f32_e32 v33, v167, v33
	v_sub_f32_e32 v27, v27, v91
	v_fma_f32 v163, v161, v174, -v163
	v_fmac_f32_e32 v33, v168, v47
	v_sub_f32_e32 v27, v27, v163
	v_fma_f32 v159, v167, v47, -v159
	v_sub_f32_e32 v28, v28, v33
	v_mul_f32_e32 v33, v166, v67
	v_sub_f32_e32 v27, v27, v159
	v_fma_f32 v33, v165, v73, -v33
	v_sub_f32_e32 v27, v27, v33
	v_mov_b32_e32 v33, s20
	buffer_load_dword v172, off, s[0:3], 0 offset:112
	buffer_load_dword v182, off, s[0:3], 0 offset:112
	;; [unrolled: 1-line block ×5, first 2 shown]
	ds_read2_b64 v[161:164], v33 offset1:1
	s_add_i32 s20, s23, 0xffffff60
	v_mul_f32_e32 v47, v165, v67
	v_mov_b32_e32 v33, s20
	v_fmac_f32_e32 v47, v166, v73
	ds_read2_b64 v[165:168], v33 offset1:1
	s_waitcnt lgkmcnt(1)
	v_mul_f32_e32 v33, v164, v74
	v_fma_f32 v33, v163, v95, -v33
	v_sub_f32_e32 v28, v28, v47
	v_mul_f32_e32 v47, v163, v74
	v_sub_f32_e32 v27, v27, v33
	v_mul_f32_e32 v33, v162, v104
	v_fmac_f32_e32 v47, v164, v95
	v_fma_f32 v33, v161, v96, -v33
	v_sub_f32_e32 v28, v28, v47
	v_mul_f32_e32 v47, v161, v104
	v_sub_f32_e32 v27, v27, v33
	s_waitcnt lgkmcnt(0)
	v_mul_f32_e32 v33, v168, v160
	v_fmac_f32_e32 v47, v162, v96
	v_fma_f32 v33, v167, v171, -v33
	v_sub_f32_e32 v28, v28, v47
	v_mul_f32_e32 v47, v167, v160
	v_sub_f32_e32 v27, v27, v33
	v_mul_f32_e32 v33, v166, v170
	s_lshl_b32 s20, s22, 3
	v_fmac_f32_e32 v47, v168, v171
	v_fma_f32 v33, v165, v213, -v33
	s_add_i32 s20, s21, s20
	s_add_i32 s22, s15, 0xffffe900
	v_sub_f32_e32 v28, v28, v47
	v_mul_f32_e32 v47, v165, v170
	v_sub_f32_e32 v33, v27, v33
	v_mov_b32_e32 v27, s20
	s_add_i32 s20, s22, s13
	v_fmac_f32_e32 v47, v166, v213
	s_add_i32 s23, s20, -8
	v_sub_f32_e32 v73, v28, v47
	v_mov_b32_e32 v28, s23
	ds_read2_b64 v[159:162], v27 offset1:1
	ds_read2_b64 v[163:166], v28 offset1:1
	buffer_load_dword v96, off, s[0:3], 0 offset:172
	buffer_load_dword v104, off, s[0:3], 0 offset:172
	;; [unrolled: 1-line block ×10, first 2 shown]
	s_waitcnt vmcnt(21) lgkmcnt(1)
	v_mul_f32_e32 v167, v162, v142
	v_mul_f32_e32 v142, v161, v142
	s_waitcnt vmcnt(20)
	v_fmac_f32_e32 v142, v162, v175
	v_fma_f32 v167, v161, v175, -v167
	v_sub_f32_e32 v73, v73, v142
	v_sub_f32_e32 v33, v33, v167
	v_mul_f32_e32 v142, v160, v73
	v_mul_f32_e32 v162, v159, v73
	v_fma_f32 v161, v159, v33, -v142
	v_fmac_f32_e32 v162, v160, v33
	v_add_u32_e32 v33, s21, v169
	buffer_store_dword v161, off, s[0:3], 0 offset:176
	buffer_store_dword v162, off, s[0:3], 0 offset:180
	ds_write_b64 v33, v[161:162]
	s_waitcnt lgkmcnt(1)
	v_mul_f32_e32 v33, v166, v183
	v_fma_f32 v33, v165, v173, -v33
	v_mul_f32_e32 v142, v164, v180
	v_sub_f32_e32 v33, v176, v33
	v_fma_f32 v142, v163, v179, -v142
	s_sub_i32 s21, s20, 24
	v_sub_f32_e32 v33, v33, v142
	v_mov_b32_e32 v142, s21
	ds_read2_b64 v[159:162], v142 offset1:1
	v_mul_f32_e32 v73, v165, v183
	v_fmac_f32_e32 v73, v166, v173
	v_mul_f32_e32 v163, v163, v180
	s_sub_i32 s21, s20, 40
	v_sub_f32_e32 v73, v177, v73
	v_fmac_f32_e32 v163, v164, v179
	v_mov_b32_e32 v142, s21
	v_sub_f32_e32 v73, v73, v163
	ds_read2_b64 v[163:166], v142 offset1:1
	s_waitcnt lgkmcnt(1)
	v_mul_f32_e32 v142, v162, v185
	v_fma_f32 v142, v161, v187, -v142
	v_sub_f32_e32 v33, v33, v142
	v_mul_f32_e32 v142, v160, v189
	v_fma_f32 v142, v159, v191, -v142
	v_sub_f32_e32 v33, v33, v142
	s_waitcnt lgkmcnt(0)
	v_mul_f32_e32 v142, v166, v199
	v_fma_f32 v142, v165, v193, -v142
	v_sub_f32_e32 v33, v33, v142
	buffer_load_dword v142, off, s[0:3], 0 offset:116
	buffer_load_dword v167, off, s[0:3], 0 offset:120
	v_mul_f32_e32 v161, v161, v185
	v_fmac_f32_e32 v161, v162, v187
	v_mul_f32_e32 v159, v159, v189
	v_sub_f32_e32 v73, v73, v161
	v_fmac_f32_e32 v159, v160, v191
	v_sub_f32_e32 v73, v73, v159
	v_mul_f32_e32 v159, v165, v199
	v_fmac_f32_e32 v159, v166, v193
	v_sub_f32_e32 v73, v73, v159
	v_mul_f32_e32 v159, v164, v196
	v_fma_f32 v159, v163, v195, -v159
	v_mul_f32_e32 v160, v163, v196
	s_sub_i32 s21, s20, 56
	v_fmac_f32_e32 v160, v164, v195
	v_sub_f32_e32 v33, v33, v159
	v_mov_b32_e32 v159, s21
	v_sub_f32_e32 v73, v73, v160
	ds_read2_b64 v[159:162], v159 offset1:1
	s_add_i32 s21, s20, 0xffffffb8
	v_mov_b32_e32 v163, s21
	ds_read2_b64 v[163:166], v163 offset1:1
	s_add_i32 s21, s20, 0xffffffa8
	s_waitcnt lgkmcnt(1)
	v_mul_f32_e32 v171, v162, v201
	v_fma_f32 v171, v161, v204, -v171
	v_mul_f32_e32 v161, v161, v201
	v_fmac_f32_e32 v161, v162, v204
	v_sub_f32_e32 v73, v73, v161
	v_mul_f32_e32 v161, v160, v109
	v_mul_f32_e32 v109, v159, v109
	v_fmac_f32_e32 v109, v160, v122
	v_sub_f32_e32 v33, v33, v171
	v_fma_f32 v161, v159, v122, -v161
	v_sub_f32_e32 v73, v73, v109
	s_waitcnt lgkmcnt(0)
	v_mul_f32_e32 v109, v166, v44
	v_mul_f32_e32 v44, v165, v44
	v_sub_f32_e32 v33, v33, v161
	v_fma_f32 v109, v165, v55, -v109
	v_fmac_f32_e32 v44, v166, v55
	v_mul_f32_e32 v55, v164, v72
	v_sub_f32_e32 v33, v33, v109
	v_fma_f32 v55, v163, v92, -v55
	v_sub_f32_e32 v33, v33, v55
	v_mov_b32_e32 v55, s21
	ds_read2_b64 v[159:162], v55 offset1:1
	s_add_i32 s21, s20, 0xffffff98
	v_mul_f32_e32 v72, v163, v72
	v_mov_b32_e32 v55, s21
	v_sub_f32_e32 v44, v73, v44
	v_fmac_f32_e32 v72, v164, v92
	ds_read2_b64 v[163:166], v55 offset1:1
	v_sub_f32_e32 v44, v44, v72
	s_waitcnt lgkmcnt(1)
	v_mul_f32_e32 v55, v162, v123
	v_mul_f32_e32 v72, v161, v123
	v_fma_f32 v55, v161, v83, -v55
	v_fmac_f32_e32 v72, v162, v83
	v_sub_f32_e32 v33, v33, v55
	v_sub_f32_e32 v44, v44, v72
	v_mul_f32_e32 v55, v160, v206
	v_mul_f32_e32 v72, v159, v206
	v_fma_f32 v55, v159, v136, -v55
	v_fmac_f32_e32 v72, v160, v136
	v_sub_f32_e32 v33, v33, v55
	v_sub_f32_e32 v44, v44, v72
	s_waitcnt lgkmcnt(0)
	v_mul_f32_e32 v55, v166, v135
	v_mul_f32_e32 v72, v165, v135
	v_fma_f32 v55, v165, v209, -v55
	v_fmac_f32_e32 v72, v166, v209
	v_sub_f32_e32 v33, v33, v55
	v_sub_f32_e32 v44, v44, v72
	s_waitcnt vmcnt(23)
	v_mul_f32_e32 v55, v164, v178
	v_mul_f32_e32 v72, v163, v178
	v_fma_f32 v55, v163, v212, -v55
	v_fmac_f32_e32 v72, v164, v212
	s_add_i32 s21, s20, 0xffffff88
	v_sub_f32_e32 v33, v33, v55
	v_sub_f32_e32 v55, v44, v72
	v_mov_b32_e32 v44, s21
	s_add_i32 s21, s20, 0xffffff78
	buffer_load_dword v83, off, s[0:3], 0 offset:180
	v_mov_b32_e32 v72, s21
	ds_read2_b64 v[159:162], v44 offset1:1
	ds_read2_b64 v[163:166], v72 offset1:1
	buffer_load_dword v92, off, s[0:3], 0 offset:176
	buffer_load_dword v109, off, s[0:3], 0 offset:116
	;; [unrolled: 1-line block ×5, first 2 shown]
	s_add_i32 s21, s20, 0xffffff68
	s_addk_i32 s20, 0xff58
	s_waitcnt vmcnt(7) lgkmcnt(1)
	v_mul_f32_e32 v73, v162, v142
	v_fma_f32 v73, v161, v172, -v73
	v_mul_f32_e32 v122, v161, v142
	v_fmac_f32_e32 v122, v162, v172
	v_sub_f32_e32 v123, v33, v73
	buffer_load_dword v172, off, s[0:3], 0 offset:120
	buffer_load_dword v173, off, s[0:3], 0 offset:120
	;; [unrolled: 1-line block ×6, first 2 shown]
	v_sub_f32_e32 v55, v55, v122
	v_mul_f32_e32 v122, v160, v37
	v_mul_f32_e32 v37, v159, v37
	s_waitcnt vmcnt(12)
	v_fmac_f32_e32 v37, v160, v167
	v_sub_f32_e32 v37, v55, v37
	s_waitcnt lgkmcnt(0)
	v_mul_f32_e32 v55, v166, v40
	v_mul_f32_e32 v40, v165, v40
	v_fma_f32 v122, v159, v167, -v122
	v_fmac_f32_e32 v40, v166, v64
	v_sub_f32_e32 v122, v123, v122
	v_fma_f32 v55, v165, v64, -v55
	v_sub_f32_e32 v37, v37, v40
	v_mul_f32_e32 v40, v164, v61
	v_sub_f32_e32 v55, v122, v55
	v_fma_f32 v40, v163, v65, -v40
	v_sub_f32_e32 v40, v55, v40
	v_mov_b32_e32 v55, s21
	ds_read2_b64 v[159:162], v55 offset1:1
	v_mul_f32_e32 v61, v163, v61
	v_mov_b32_e32 v55, s20
	v_fmac_f32_e32 v61, v164, v65
	ds_read2_b64 v[163:166], v55 offset1:1
	s_waitcnt lgkmcnt(1)
	v_mul_f32_e32 v55, v162, v60
	v_fma_f32 v55, v161, v12, -v55
	v_mul_f32_e32 v60, v161, v60
	v_fmac_f32_e32 v60, v162, v12
	v_sub_f32_e32 v12, v40, v55
	v_mul_f32_e32 v40, v160, v137
	v_fma_f32 v40, v159, v140, -v40
	v_sub_f32_e32 v37, v37, v61
	v_mul_f32_e32 v55, v159, v137
	v_sub_f32_e32 v12, v12, v40
	s_waitcnt lgkmcnt(0)
	v_mul_f32_e32 v40, v166, v202
	v_sub_f32_e32 v37, v37, v60
	v_fmac_f32_e32 v55, v160, v140
	v_fma_f32 v40, v165, v214, -v40
	v_sub_f32_e32 v37, v37, v55
	v_mul_f32_e32 v55, v165, v202
	v_sub_f32_e32 v12, v12, v40
	v_mul_f32_e32 v40, v164, v96
	v_fmac_f32_e32 v55, v166, v214
	v_fma_f32 v40, v163, v168, -v40
	s_add_i32 s20, s12, 0xffffe848
	v_sub_f32_e32 v37, v37, v55
	v_mul_f32_e32 v55, v163, v96
	v_sub_f32_e32 v40, v12, v40
	v_mov_b32_e32 v12, s20
	s_add_i32 s20, s15, 0xffffe800
	v_fmac_f32_e32 v55, v164, v168
	s_add_i32 s21, s20, s13
	v_sub_f32_e32 v55, v37, v55
	v_mov_b32_e32 v37, s21
	ds_read2_b64 v[159:162], v12 offset1:1
	ds_read_b64 v[64:65], v37
	buffer_load_dword v96, off, s[0:3], 0 offset:180
	buffer_load_dword v163, off, s[0:3], 0 offset:180
	;; [unrolled: 1-line block ×8, first 2 shown]
	s_waitcnt vmcnt(19) lgkmcnt(1)
	v_mul_f32_e32 v122, v162, v83
	v_mul_f32_e32 v83, v161, v83
	s_waitcnt vmcnt(18)
	v_fmac_f32_e32 v83, v162, v92
	v_fma_f32 v122, v161, v92, -v122
	v_sub_f32_e32 v55, v55, v83
	v_sub_f32_e32 v40, v40, v122
	v_mul_f32_e32 v83, v160, v55
	v_mul_f32_e32 v123, v159, v55
	v_fma_f32 v122, v159, v40, -v83
	v_fmac_f32_e32 v123, v160, v40
	v_add_u32_e32 v40, s22, v169
	buffer_store_dword v122, off, s[0:3], 0 offset:184
	buffer_store_dword v123, off, s[0:3], 0 offset:188
	ds_write_b64 v40, v[122:123]
	s_waitcnt lgkmcnt(1)
	v_mul_f32_e32 v40, v65, v145
	v_fma_f32 v83, v64, v138, -v40
	v_mul_f32_e32 v64, v64, v145
	s_add_i32 s22, s21, -16
	v_fmac_f32_e32 v64, v65, v138
	s_waitcnt vmcnt(11)
	v_sub_f32_e32 v65, v135, v83
	v_mov_b32_e32 v83, s22
	buffer_load_dword v92, off, s[0:3], 0 offset:200
	buffer_load_dword v122, off, s[0:3], 0 offset:204
	;; [unrolled: 1-line block ×6, first 2 shown]
	ds_read2_b64 v[135:138], v83 offset1:1
	s_sub_i32 s22, s21, 32
	v_mov_b32_e32 v83, s22
	ds_read2_b64 v[159:162], v83 offset1:1
	s_waitcnt vmcnt(16)
	v_sub_f32_e32 v64, v142, v64
	s_waitcnt lgkmcnt(1)
	v_mul_f32_e32 v83, v138, v146
	v_fma_f32 v83, v137, v139, -v83
	v_mul_f32_e32 v137, v137, v146
	v_sub_f32_e32 v65, v65, v83
	v_mul_f32_e32 v83, v136, v141
	v_fmac_f32_e32 v137, v138, v139
	v_fma_f32 v83, v135, v143, -v83
	v_mul_f32_e32 v135, v135, v141
	v_sub_f32_e32 v64, v64, v137
	v_fmac_f32_e32 v135, v136, v143
	v_sub_f32_e32 v65, v65, v83
	s_waitcnt lgkmcnt(0)
	v_mul_f32_e32 v83, v162, v147
	v_sub_f32_e32 v64, v64, v135
	v_fma_f32 v83, v161, v148, -v83
	v_mul_f32_e32 v135, v161, v147
	v_fmac_f32_e32 v135, v162, v148
	v_sub_f32_e32 v65, v65, v83
	v_mul_f32_e32 v83, v160, v152
	v_sub_f32_e32 v64, v64, v135
	v_fma_f32 v83, v159, v149, -v83
	v_mul_f32_e32 v135, v159, v152
	s_sub_i32 s22, s21, 48
	v_fmac_f32_e32 v135, v160, v149
	v_sub_f32_e32 v65, v65, v83
	v_mov_b32_e32 v83, s22
	v_sub_f32_e32 v64, v64, v135
	ds_read2_b64 v[135:138], v83 offset1:1
	s_sub_i32 s22, s21, 64
	v_mov_b32_e32 v83, s22
	ds_read2_b64 v[139:142], v83 offset1:1
	buffer_load_dword v143, off, s[0:3], 0 offset:124
	buffer_load_dword v146, off, s[0:3], 0 offset:128
	s_waitcnt lgkmcnt(1)
	v_mul_f32_e32 v83, v138, v155
	v_fma_f32 v83, v137, v150, -v83
	v_mul_f32_e32 v137, v137, v155
	v_sub_f32_e32 v65, v65, v83
	v_mul_f32_e32 v83, v136, v151
	v_fmac_f32_e32 v137, v138, v150
	v_fma_f32 v83, v135, v153, -v83
	v_mul_f32_e32 v135, v135, v151
	v_sub_f32_e32 v64, v64, v137
	v_fmac_f32_e32 v135, v136, v153
	v_sub_f32_e32 v65, v65, v83
	s_waitcnt lgkmcnt(0)
	v_mul_f32_e32 v83, v142, v75
	v_mul_f32_e32 v75, v141, v75
	v_sub_f32_e32 v64, v64, v135
	v_fmac_f32_e32 v75, v142, v88
	v_fma_f32 v83, v141, v88, -v83
	v_sub_f32_e32 v64, v64, v75
	v_mul_f32_e32 v75, v140, v41
	v_sub_f32_e32 v65, v65, v83
	v_fma_f32 v75, v139, v42, -v75
	v_mul_f32_e32 v41, v139, v41
	s_add_i32 s22, s21, 0xffffffb0
	v_fmac_f32_e32 v41, v140, v42
	v_sub_f32_e32 v42, v65, v75
	v_mov_b32_e32 v65, s22
	ds_read2_b64 v[135:138], v65 offset1:1
	s_add_i32 s22, s21, 0xffffffa0
	v_sub_f32_e32 v41, v64, v41
	v_mov_b32_e32 v64, s22
	ds_read2_b64 v[139:142], v64 offset1:1
	s_waitcnt lgkmcnt(1)
	v_mul_f32_e32 v64, v138, v59
	v_mul_f32_e32 v59, v137, v59
	v_fmac_f32_e32 v59, v138, v71
	v_fma_f32 v64, v137, v71, -v64
	v_sub_f32_e32 v41, v41, v59
	v_mul_f32_e32 v59, v136, v94
	v_sub_f32_e32 v42, v42, v64
	v_fma_f32 v59, v135, v8, -v59
	v_mul_f32_e32 v64, v135, v94
	v_fmac_f32_e32 v64, v136, v8
	v_sub_f32_e32 v8, v42, v59
	s_waitcnt lgkmcnt(0)
	v_mul_f32_e32 v42, v142, v154
	v_fma_f32 v42, v141, v111, -v42
	v_sub_f32_e32 v8, v8, v42
	v_mul_f32_e32 v42, v140, v144
	v_fma_f32 v42, v139, v156, -v42
	s_add_i32 s22, s21, 0xffffff90
	v_sub_f32_e32 v8, v8, v42
	v_mov_b32_e32 v42, s22
	ds_read2_b64 v[135:138], v42 offset1:1
	v_mul_f32_e32 v59, v141, v154
	v_sub_f32_e32 v41, v41, v64
	v_fmac_f32_e32 v59, v142, v111
	s_add_i32 s22, s21, 0xffffff80
	v_sub_f32_e32 v41, v41, v59
	v_mul_f32_e32 v59, v139, v144
	v_mov_b32_e32 v42, s22
	v_fmac_f32_e32 v59, v140, v156
	ds_read2_b64 v[139:142], v42 offset1:1
	s_waitcnt lgkmcnt(1)
	v_mul_f32_e32 v42, v138, v181
	v_fma_f32 v42, v137, v157, -v42
	buffer_load_dword v64, off, s[0:3], 0 offset:188
	v_sub_f32_e32 v8, v8, v42
	buffer_load_dword v42, off, s[0:3], 0 offset:184
	v_sub_f32_e32 v41, v41, v59
	v_mul_f32_e32 v59, v137, v181
	v_fmac_f32_e32 v59, v138, v157
	v_sub_f32_e32 v41, v41, v59
	v_mul_f32_e32 v59, v136, v109
	v_mul_f32_e32 v65, v135, v109
	v_fma_f32 v59, v135, v182, -v59
	v_fmac_f32_e32 v65, v136, v182
	v_sub_f32_e32 v8, v8, v59
	v_sub_f32_e32 v59, v41, v65
	s_add_i32 s22, s21, 0xffffff70
	buffer_load_dword v71, off, s[0:3], 0 offset:124
	buffer_load_dword v83, off, s[0:3], 0 offset:124
	;; [unrolled: 1-line block ×3, first 2 shown]
	s_waitcnt vmcnt(6) lgkmcnt(0)
	v_mul_f32_e32 v75, v141, v143
	v_mul_f32_e32 v65, v142, v143
	v_fmac_f32_e32 v75, v142, v172
	v_fma_f32 v65, v141, v172, -v65
	v_sub_f32_e32 v59, v59, v75
	v_mul_f32_e32 v75, v140, v36
	v_sub_f32_e32 v65, v8, v65
	s_waitcnt vmcnt(5)
	v_fma_f32 v75, v139, v146, -v75
	v_sub_f32_e32 v65, v65, v75
	v_mov_b32_e32 v75, s22
	buffer_load_dword v88, off, s[0:3], 0 offset:128
	buffer_load_dword v143, off, s[0:3], 0 offset:128
	;; [unrolled: 1-line block ×3, first 2 shown]
	ds_read2_b64 v[135:138], v75 offset1:1
	v_mul_f32_e32 v36, v139, v36
	v_fmac_f32_e32 v36, v140, v146
	s_add_i32 s22, s21, 0xffffff60
	v_sub_f32_e32 v36, v59, v36
	v_mov_b32_e32 v59, s22
	ds_read2_b64 v[139:142], v59 offset1:1
	s_waitcnt lgkmcnt(1)
	v_mul_f32_e32 v59, v138, v34
	v_mul_f32_e32 v34, v137, v34
	v_fmac_f32_e32 v34, v138, v46
	v_sub_f32_e32 v34, v36, v34
	v_mul_f32_e32 v36, v136, v18
	v_mul_f32_e32 v18, v135, v18
	v_fma_f32 v59, v137, v46, -v59
	v_fmac_f32_e32 v18, v136, v4
	v_sub_f32_e32 v46, v65, v59
	v_fma_f32 v36, v135, v4, -v36
	v_sub_f32_e32 v18, v34, v18
	s_waitcnt lgkmcnt(0)
	v_mul_f32_e32 v34, v142, v112
	v_sub_f32_e32 v4, v46, v36
	v_fma_f32 v34, v141, v115, -v34
	v_sub_f32_e32 v4, v4, v34
	v_mul_f32_e32 v34, v140, v126
	v_fma_f32 v34, v139, v158, -v34
	s_addk_i32 s21, 0xff50
	v_sub_f32_e32 v4, v4, v34
	v_mov_b32_e32 v34, s21
	v_mul_f32_e32 v36, v141, v112
	ds_read2_b64 v[135:138], v34 offset1:1
	v_fmac_f32_e32 v36, v142, v115
	s_add_i32 s21, s12, 0xffffe740
	v_sub_f32_e32 v18, v18, v36
	v_mul_f32_e32 v36, v139, v126
	v_mov_b32_e32 v34, s21
	v_fmac_f32_e32 v36, v140, v158
	ds_read2_b64 v[139:142], v34 offset1:1
	v_sub_f32_e32 v18, v18, v36
	s_waitcnt lgkmcnt(1)
	v_mul_f32_e32 v36, v137, v104
	v_mul_f32_e32 v34, v138, v104
	v_fmac_f32_e32 v36, v138, v170
	v_fma_f32 v34, v137, v170, -v34
	v_sub_f32_e32 v18, v18, v36
	v_mul_f32_e32 v36, v135, v96
	v_sub_f32_e32 v4, v4, v34
	v_mul_f32_e32 v34, v136, v96
	v_fmac_f32_e32 v36, v136, v164
	v_fma_f32 v34, v135, v164, -v34
	v_sub_f32_e32 v36, v18, v36
	v_sub_f32_e32 v34, v4, v34
	buffer_load_dword v46, off, s[0:3], 0 offset:188
	buffer_load_dword v59, off, s[0:3], 0 offset:188
	buffer_load_dword v4, off, s[0:3], 0 offset:188
	buffer_load_dword v75, off, s[0:3], 0 offset:184
	buffer_load_dword v96, off, s[0:3], 0 offset:184
	buffer_load_dword v18, off, s[0:3], 0 offset:184
	s_add_i32 s21, s15, 0xffffe700
	s_waitcnt vmcnt(13) lgkmcnt(0)
	v_mul_f32_e32 v65, v142, v64
	v_mul_f32_e32 v64, v141, v64
	s_waitcnt vmcnt(12)
	v_fmac_f32_e32 v64, v142, v42
	v_fma_f32 v65, v141, v42, -v65
	v_sub_f32_e32 v36, v36, v64
	v_sub_f32_e32 v34, v34, v65
	v_mul_f32_e32 v42, v140, v36
	v_fma_f32 v64, v139, v34, -v42
	buffer_load_dword v42, off, s[0:3], 0 offset:68
	v_mul_f32_e32 v65, v139, v36
	v_fmac_f32_e32 v65, v140, v34
	buffer_load_dword v34, off, s[0:3], 0 offset:64
	v_add_u32_e32 v36, s20, v169
	s_add_i32 s20, s21, s13
	s_add_i32 s22, s20, -8
	buffer_store_dword v64, off, s[0:3], 0 offset:192
	buffer_store_dword v65, off, s[0:3], 0 offset:196
	v_mov_b32_e32 v94, s22
	ds_read2_b64 v[135:138], v94 offset1:1
	s_sub_i32 s22, s20, 24
	ds_write_b64 v36, v[64:65]
	v_mov_b32_e32 v36, s22
	ds_read2_b64 v[139:142], v36 offset1:1
	s_waitcnt lgkmcnt(2)
	v_mul_f32_e32 v36, v138, v119
	v_fma_f32 v36, v137, v113, -v36
	v_mul_f32_e32 v65, v136, v124
	v_sub_f32_e32 v36, v92, v36
	v_fma_f32 v65, v135, v114, -v65
	v_sub_f32_e32 v36, v36, v65
	s_waitcnt lgkmcnt(0)
	v_mul_f32_e32 v65, v142, v120
	v_fma_f32 v65, v141, v118, -v65
	v_sub_f32_e32 v36, v36, v65
	v_mul_f32_e32 v65, v140, v121
	v_mul_f32_e32 v64, v137, v119
	v_fma_f32 v65, v139, v125, -v65
	s_sub_i32 s22, s20, 40
	v_fmac_f32_e32 v64, v138, v113
	v_mul_f32_e32 v92, v135, v124
	v_sub_f32_e32 v36, v36, v65
	v_mov_b32_e32 v65, s22
	v_sub_f32_e32 v64, v122, v64
	v_fmac_f32_e32 v92, v136, v114
	ds_read2_b64 v[111:114], v65 offset1:1
	v_sub_f32_e32 v64, v64, v92
	v_mul_f32_e32 v92, v141, v120
	v_fmac_f32_e32 v92, v142, v118
	s_sub_i32 s22, s20, 56
	v_sub_f32_e32 v64, v64, v92
	v_mul_f32_e32 v92, v139, v121
	v_mov_b32_e32 v65, s22
	v_fmac_f32_e32 v92, v140, v125
	ds_read2_b64 v[118:121], v65 offset1:1
	v_sub_f32_e32 v64, v64, v92
	s_waitcnt lgkmcnt(1)
	v_mul_f32_e32 v65, v114, v130
	v_mul_f32_e32 v92, v113, v130
	v_fma_f32 v65, v113, v127, -v65
	v_fmac_f32_e32 v92, v114, v127
	v_sub_f32_e32 v36, v36, v65
	v_sub_f32_e32 v64, v64, v92
	v_mul_f32_e32 v65, v112, v132
	v_mul_f32_e32 v92, v111, v132
	v_fma_f32 v65, v111, v128, -v65
	v_fmac_f32_e32 v92, v112, v128
	v_sub_f32_e32 v36, v36, v65
	v_sub_f32_e32 v64, v64, v92
	s_waitcnt lgkmcnt(0)
	v_mul_f32_e32 v65, v121, v131
	v_mul_f32_e32 v92, v120, v131
	v_fma_f32 v65, v120, v129, -v65
	v_fmac_f32_e32 v92, v121, v129
	v_sub_f32_e32 v36, v36, v65
	v_sub_f32_e32 v64, v64, v92
	v_mul_f32_e32 v65, v119, v24
	buffer_load_dword v92, off, s[0:3], 0 offset:132
	v_mul_f32_e32 v24, v118, v24
	s_add_i32 s22, s20, 0xffffffb8
	v_fma_f32 v65, v118, v48, -v65
	v_fmac_f32_e32 v24, v119, v48
	v_mov_b32_e32 v48, s22
	s_add_i32 s22, s20, 0xffffffa8
	v_sub_f32_e32 v24, v64, v24
	v_mov_b32_e32 v64, s22
	ds_read2_b64 v[111:114], v48 offset1:1
	ds_read2_b64 v[118:121], v64 offset1:1
	buffer_load_dword v48, off, s[0:3], 0 offset:136
	v_sub_f32_e32 v36, v36, v65
	s_add_i32 s22, s20, 0xffffff98
	buffer_load_dword v64, off, s[0:3], 0 offset:68
	buffer_load_dword v65, off, s[0:3], 0 offset:68
	;; [unrolled: 1-line block ×4, first 2 shown]
	s_waitcnt vmcnt(9) lgkmcnt(1)
	v_mul_f32_e32 v94, v114, v42
	v_mul_f32_e32 v42, v113, v42
	s_waitcnt vmcnt(8)
	v_fma_f32 v94, v113, v34, -v94
	v_fmac_f32_e32 v42, v114, v34
	v_sub_f32_e32 v34, v36, v94
	v_mul_f32_e32 v36, v112, v57
	v_sub_f32_e32 v24, v24, v42
	v_fma_f32 v36, v111, v58, -v36
	v_mul_f32_e32 v42, v111, v57
	v_fmac_f32_e32 v42, v112, v58
	v_sub_f32_e32 v34, v34, v36
	s_waitcnt lgkmcnt(0)
	v_mul_f32_e32 v36, v121, v49
	v_sub_f32_e32 v24, v24, v42
	v_fma_f32 v36, v120, v3, -v36
	v_mul_f32_e32 v42, v120, v49
	v_fmac_f32_e32 v42, v121, v3
	v_sub_f32_e32 v3, v34, v36
	v_mul_f32_e32 v34, v119, v110
	v_fma_f32 v34, v118, v76, -v34
	v_sub_f32_e32 v3, v3, v34
	v_mov_b32_e32 v34, s22
	v_mul_f32_e32 v36, v118, v110
	ds_read2_b64 v[109:112], v34 offset1:1
	s_add_i32 s22, s20, 0xffffff88
	v_mov_b32_e32 v34, s22
	v_sub_f32_e32 v24, v24, v42
	v_fmac_f32_e32 v36, v119, v76
	ds_read2_b64 v[118:121], v34 offset1:1
	v_sub_f32_e32 v24, v24, v36
	s_waitcnt lgkmcnt(1)
	v_mul_f32_e32 v36, v111, v98
	v_fmac_f32_e32 v36, v112, v133
	v_sub_f32_e32 v24, v24, v36
	v_mul_f32_e32 v36, v109, v116
	v_fmac_f32_e32 v36, v110, v134
	v_sub_f32_e32 v24, v24, v36
	s_waitcnt lgkmcnt(0)
	v_mul_f32_e32 v36, v120, v171
	v_fmac_f32_e32 v36, v121, v117
	v_sub_f32_e32 v24, v24, v36
	buffer_load_dword v36, off, s[0:3], 0 offset:196
	buffer_load_dword v57, off, s[0:3], 0 offset:192
	v_mul_f32_e32 v34, v112, v98
	v_fma_f32 v34, v111, v133, -v34
	v_sub_f32_e32 v3, v3, v34
	v_mul_f32_e32 v34, v110, v116
	v_fma_f32 v34, v109, v134, -v34
	v_sub_f32_e32 v3, v3, v34
	;; [unrolled: 3-line block ×3, first 2 shown]
	v_mul_f32_e32 v34, v119, v71
	v_fma_f32 v34, v118, v173, -v34
	s_add_i32 s22, s20, 0xffffff78
	v_sub_f32_e32 v3, v3, v34
	v_mov_b32_e32 v34, s22
	ds_read2_b64 v[109:112], v34 offset1:1
	s_add_i32 s22, s20, 0xffffff68
	v_mov_b32_e32 v34, s22
	ds_read2_b64 v[113:116], v34 offset1:1
	v_mul_f32_e32 v42, v118, v71
	v_fmac_f32_e32 v42, v119, v173
	v_sub_f32_e32 v24, v24, v42
	s_add_i32 s22, s20, 0xffffff58
	s_waitcnt vmcnt(7) lgkmcnt(1)
	v_mul_f32_e32 v49, v112, v92
	v_fma_f32 v49, v111, v88, -v49
	v_mul_f32_e32 v58, v111, v92
	v_fmac_f32_e32 v58, v112, v88
	v_sub_f32_e32 v3, v3, v49
	v_mul_f32_e32 v49, v110, v29
	v_mul_f32_e32 v29, v109, v29
	v_sub_f32_e32 v24, v24, v58
	buffer_load_dword v34, off, s[0:3], 0 offset:132
	buffer_load_dword v42, off, s[0:3], 0 offset:132
	buffer_load_dword v98, off, s[0:3], 0 offset:136
	buffer_load_dword v117, off, s[0:3], 0 offset:136
	s_addk_i32 s20, 0xff48
	s_waitcnt vmcnt(10)
	v_fmac_f32_e32 v29, v110, v48
	v_fma_f32 v49, v109, v48, -v49
	v_sub_f32_e32 v24, v24, v29
	s_waitcnt lgkmcnt(0)
	v_mul_f32_e32 v29, v116, v9
	v_mul_f32_e32 v9, v115, v9
	v_sub_f32_e32 v3, v3, v49
	v_fma_f32 v29, v115, v1, -v29
	v_fmac_f32_e32 v9, v116, v1
	v_sub_f32_e32 v1, v3, v29
	v_sub_f32_e32 v3, v24, v9
	v_mul_f32_e32 v9, v114, v77
	v_fma_f32 v9, v113, v86, -v9
	v_sub_f32_e32 v1, v1, v9
	v_mov_b32_e32 v9, s22
	ds_read2_b64 v[109:112], v9 offset1:1
	v_mul_f32_e32 v24, v113, v77
	v_mov_b32_e32 v9, s20
	v_fmac_f32_e32 v24, v114, v86
	ds_read2_b64 v[113:116], v9 offset1:1
	s_waitcnt lgkmcnt(1)
	v_mul_f32_e32 v9, v112, v93
	v_fma_f32 v9, v111, v101, -v9
	v_sub_f32_e32 v3, v3, v24
	v_mul_f32_e32 v24, v111, v93
	v_sub_f32_e32 v1, v1, v9
	v_mul_f32_e32 v9, v110, v74
	v_fmac_f32_e32 v24, v112, v101
	v_fma_f32 v9, v109, v95, -v9
	v_sub_f32_e32 v3, v3, v24
	v_mul_f32_e32 v24, v109, v74
	v_sub_f32_e32 v1, v1, v9
	s_waitcnt lgkmcnt(0)
	v_mul_f32_e32 v9, v116, v163
	v_fmac_f32_e32 v24, v110, v95
	v_fma_f32 v9, v115, v165, -v9
	v_sub_f32_e32 v3, v3, v24
	v_mul_f32_e32 v24, v115, v163
	v_sub_f32_e32 v1, v1, v9
	v_mul_f32_e32 v9, v114, v46
	v_fmac_f32_e32 v24, v116, v165
	v_fma_f32 v9, v113, v75, -v9
	s_add_i32 s20, s12, 0xffffe638
	v_sub_f32_e32 v3, v3, v24
	v_mul_f32_e32 v24, v113, v46
	v_sub_f32_e32 v1, v1, v9
	v_mov_b32_e32 v9, s20
	v_fmac_f32_e32 v24, v114, v75
	ds_read2_b64 v[74:77], v9 offset1:1
	v_sub_f32_e32 v3, v3, v24
	s_add_i32 s20, s15, 0xffffe600
	s_add_i32 s22, s20, s13
	v_mov_b32_e32 v9, s22
	s_waitcnt vmcnt(5) lgkmcnt(0)
	v_mul_f32_e32 v24, v77, v36
	v_mul_f32_e32 v36, v76, v36
	s_waitcnt vmcnt(4)
	v_fmac_f32_e32 v36, v77, v57
	v_fma_f32 v24, v76, v57, -v24
	v_sub_f32_e32 v3, v3, v36
	v_sub_f32_e32 v1, v1, v24
	v_mul_f32_e32 v24, v75, v3
	v_mul_f32_e32 v58, v74, v3
	ds_read_b64 v[48:49], v9
	buffer_load_dword v9, off, s[0:3], 0 offset:196
	buffer_load_dword v101, off, s[0:3], 0 offset:196
	;; [unrolled: 1-line block ×4, first 2 shown]
	v_fma_f32 v57, v74, v1, -v24
	v_fmac_f32_e32 v58, v75, v1
	buffer_load_dword v1, off, s[0:3], 0 offset:76
	buffer_load_dword v3, off, s[0:3], 0 offset:72
	v_add_u32_e32 v24, s21, v169
	s_add_i32 s21, s22, -16
	v_mov_b32_e32 v46, s21
	ds_read2_b64 v[74:77], v46 offset1:1
	s_sub_i32 s21, s22, 32
	v_mov_b32_e32 v46, s21
	ds_write_b64 v24, v[57:58]
	s_waitcnt lgkmcnt(2)
	v_mul_f32_e32 v24, v49, v87
	ds_read2_b64 v[92:95], v46 offset1:1
	v_fma_f32 v24, v48, v79, -v24
	s_waitcnt lgkmcnt(2)
	v_mul_f32_e32 v46, v77, v90
	v_sub_f32_e32 v24, v123, v24
	v_fma_f32 v46, v76, v80, -v46
	v_sub_f32_e32 v24, v24, v46
	v_mul_f32_e32 v46, v75, v100
	v_fma_f32 v46, v74, v82, -v46
	v_sub_f32_e32 v24, v24, v46
	s_waitcnt lgkmcnt(0)
	v_mul_f32_e32 v46, v95, v89
	v_mul_f32_e32 v36, v48, v87
	v_fma_f32 v46, v94, v99, -v46
	v_fmac_f32_e32 v36, v49, v79
	v_mul_f32_e32 v48, v76, v90
	v_sub_f32_e32 v24, v24, v46
	v_mul_f32_e32 v46, v93, v107
	v_sub_f32_e32 v36, v145, v36
	v_fmac_f32_e32 v48, v77, v80
	v_fma_f32 v46, v92, v102, -v46
	s_sub_i32 s21, s22, 48
	v_sub_f32_e32 v36, v36, v48
	v_mul_f32_e32 v48, v74, v100
	v_sub_f32_e32 v24, v24, v46
	v_mov_b32_e32 v46, s21
	v_fmac_f32_e32 v48, v75, v82
	ds_read2_b64 v[74:77], v46 offset1:1
	v_sub_f32_e32 v36, v36, v48
	v_mul_f32_e32 v48, v94, v89
	s_sub_i32 s21, s22, 64
	v_fmac_f32_e32 v48, v95, v99
	v_mov_b32_e32 v46, s21
	v_sub_f32_e32 v36, v36, v48
	v_mul_f32_e32 v48, v92, v107
	ds_read2_b64 v[86:89], v46 offset1:1
	v_fmac_f32_e32 v48, v93, v102
	s_waitcnt lgkmcnt(1)
	v_mul_f32_e32 v46, v77, v108
	v_sub_f32_e32 v36, v36, v48
	v_fma_f32 v46, v76, v103, -v46
	v_mul_f32_e32 v48, v76, v108
	v_fmac_f32_e32 v48, v77, v103
	v_sub_f32_e32 v24, v24, v46
	v_mul_f32_e32 v46, v75, v17
	v_mul_f32_e32 v17, v74, v17
	v_sub_f32_e32 v36, v36, v48
	v_fma_f32 v46, v74, v106, -v46
	v_fmac_f32_e32 v17, v75, v106
	v_sub_f32_e32 v24, v24, v46
	v_sub_f32_e32 v17, v36, v17
	s_waitcnt lgkmcnt(0)
	v_mul_f32_e32 v36, v89, v78
	v_mul_f32_e32 v46, v88, v78
	v_fma_f32 v36, v88, v10, -v36
	v_fmac_f32_e32 v46, v89, v10
	v_sub_f32_e32 v10, v24, v36
	buffer_load_dword v24, off, s[0:3], 0 offset:140
	v_sub_f32_e32 v17, v17, v46
	v_mul_f32_e32 v46, v86, v64
	v_mul_f32_e32 v36, v87, v64
	v_fmac_f32_e32 v46, v87, v104
	s_add_i32 s21, s22, 0xffffffb0
	v_fma_f32 v36, v86, v104, -v36
	v_sub_f32_e32 v17, v17, v46
	v_mov_b32_e32 v46, s21
	v_sub_f32_e32 v10, v10, v36
	buffer_load_dword v36, off, s[0:3], 0 offset:144
	buffer_load_dword v64, off, s[0:3], 0 offset:76
	;; [unrolled: 1-line block ×3, first 2 shown]
	ds_read2_b64 v[74:77], v46 offset1:1
	s_add_i32 s21, s22, 0xffffffa0
	v_mov_b32_e32 v46, s21
	ds_read2_b64 v[86:89], v46 offset1:1
	s_add_i32 s21, s22, 0xffffff90
	s_waitcnt vmcnt(5) lgkmcnt(1)
	v_mul_f32_e32 v46, v77, v1
	s_waitcnt vmcnt(4)
	v_fma_f32 v46, v76, v3, -v46
	v_mul_f32_e32 v1, v76, v1
	v_fmac_f32_e32 v1, v77, v3
	v_sub_f32_e32 v3, v10, v46
	v_mul_f32_e32 v10, v75, v16
	v_fma_f32 v10, v74, v2, -v10
	v_mul_f32_e32 v16, v74, v16
	v_fmac_f32_e32 v16, v75, v2
	v_sub_f32_e32 v2, v3, v10
	s_waitcnt lgkmcnt(0)
	v_mul_f32_e32 v3, v89, v84
	v_fma_f32 v3, v88, v25, -v3
	v_sub_f32_e32 v2, v2, v3
	v_mul_f32_e32 v3, v87, v68
	v_fma_f32 v3, v86, v97, -v3
	v_sub_f32_e32 v2, v2, v3
	v_mov_b32_e32 v3, s21
	ds_read2_b64 v[74:77], v3 offset1:1
	v_sub_f32_e32 v1, v17, v1
	v_mul_f32_e32 v10, v88, v84
	v_sub_f32_e32 v1, v1, v16
	v_fmac_f32_e32 v10, v89, v25
	s_add_i32 s21, s22, 0xffffff80
	v_sub_f32_e32 v1, v1, v10
	v_mul_f32_e32 v10, v86, v68
	v_mov_b32_e32 v3, s21
	v_fmac_f32_e32 v10, v87, v97
	ds_read2_b64 v[86:89], v3 offset1:1
	s_waitcnt lgkmcnt(1)
	v_mul_f32_e32 v3, v77, v85
	v_sub_f32_e32 v1, v1, v10
	v_fma_f32 v3, v76, v105, -v3
	v_mul_f32_e32 v10, v76, v85
	v_fmac_f32_e32 v10, v77, v105
	v_sub_f32_e32 v2, v2, v3
	v_mul_f32_e32 v3, v75, v72
	v_sub_f32_e32 v1, v1, v10
	v_fma_f32 v3, v74, v91, -v3
	v_mul_f32_e32 v10, v74, v72
	v_fmac_f32_e32 v10, v75, v91
	v_sub_f32_e32 v2, v2, v3
	s_waitcnt lgkmcnt(0)
	v_mul_f32_e32 v3, v89, v83
	buffer_store_dword v58, off, s[0:3], 0 offset:204
	v_sub_f32_e32 v1, v1, v10
	v_fma_f32 v3, v88, v73, -v3
	v_mul_f32_e32 v10, v88, v83
	buffer_store_dword v57, off, s[0:3], 0 offset:200
	v_fmac_f32_e32 v10, v89, v73
	v_sub_f32_e32 v2, v2, v3
	buffer_load_dword v3, off, s[0:3], 0 offset:204
	v_sub_f32_e32 v1, v1, v10
	buffer_load_dword v10, off, s[0:3], 0 offset:200
	v_mul_f32_e32 v16, v87, v34
	v_fma_f32 v16, v86, v143, -v16
	s_add_i32 s21, s22, 0xffffff70
	v_sub_f32_e32 v2, v2, v16
	v_mov_b32_e32 v16, s21
	ds_read2_b64 v[71:74], v16 offset1:1
	s_add_i32 s21, s22, 0xffffff60
	v_mul_f32_e32 v17, v86, v34
	v_mov_b32_e32 v16, s21
	v_fmac_f32_e32 v17, v87, v143
	ds_read2_b64 v[75:78], v16 offset1:1
	v_sub_f32_e32 v1, v1, v17
	s_waitcnt vmcnt(7) lgkmcnt(1)
	v_mul_f32_e32 v17, v74, v24
	v_fma_f32 v17, v73, v98, -v17
	v_mul_f32_e32 v24, v73, v24
	v_fmac_f32_e32 v24, v74, v98
	v_sub_f32_e32 v2, v2, v17
	v_mul_f32_e32 v17, v72, v5
	v_mul_f32_e32 v5, v71, v5
	v_sub_f32_e32 v1, v1, v24
	s_add_i32 s21, s22, 0xffffff50
	s_waitcnt vmcnt(6)
	v_fmac_f32_e32 v5, v72, v36
	v_fma_f32 v17, v71, v36, -v17
	v_sub_f32_e32 v1, v1, v5
	s_waitcnt lgkmcnt(0)
	v_mul_f32_e32 v5, v78, v21
	v_sub_f32_e32 v2, v2, v17
	v_fma_f32 v5, v77, v32, -v5
	v_sub_f32_e32 v2, v2, v5
	v_mul_f32_e32 v5, v76, v63
	v_fma_f32 v5, v75, v81, -v5
	v_sub_f32_e32 v2, v2, v5
	v_mov_b32_e32 v5, s21
	ds_read2_b64 v[71:74], v5 offset1:1
	v_mul_f32_e32 v17, v77, v21
	v_fmac_f32_e32 v17, v78, v32
	s_add_i32 s21, s22, 0xffffff40
	v_sub_f32_e32 v1, v1, v17
	v_mul_f32_e32 v17, v75, v63
	v_mov_b32_e32 v5, s21
	v_fmac_f32_e32 v17, v76, v81
	ds_read2_b64 v[75:78], v5 offset1:1
	s_waitcnt lgkmcnt(1)
	v_mul_f32_e32 v5, v74, v47
	v_fma_f32 v5, v73, v67, -v5
	v_sub_f32_e32 v2, v2, v5
	v_mul_f32_e32 v5, v72, v60
	v_fma_f32 v5, v71, v61, -v5
	v_sub_f32_e32 v2, v2, v5
	s_waitcnt lgkmcnt(0)
	v_mul_f32_e32 v5, v78, v59
	v_fma_f32 v5, v77, v96, -v5
	v_sub_f32_e32 v2, v2, v5
	v_mul_f32_e32 v5, v76, v9
	v_sub_f32_e32 v1, v1, v17
	v_mul_f32_e32 v17, v73, v47
	v_fma_f32 v5, v75, v29, -v5
	s_add_i32 s21, s12, 0xffffe530
	v_fmac_f32_e32 v17, v74, v67
	v_sub_f32_e32 v2, v2, v5
	v_mov_b32_e32 v5, s21
	v_sub_f32_e32 v1, v1, v17
	v_mul_f32_e32 v17, v71, v60
	ds_read2_b64 v[46:49], v5 offset1:1
	v_fmac_f32_e32 v17, v72, v61
	s_addk_i32 s15, 0xe500
	v_sub_f32_e32 v1, v1, v17
	v_mul_f32_e32 v17, v77, v59
	s_add_i32 s13, s15, s13
	v_fmac_f32_e32 v17, v78, v96
	v_mul_f32_e32 v9, v75, v9
	s_add_i32 s21, s13, -8
	v_sub_f32_e32 v1, v1, v17
	v_fmac_f32_e32 v9, v76, v29
	v_mov_b32_e32 v5, s21
	v_sub_f32_e32 v1, v1, v9
	ds_read2_b64 v[57:60], v5 offset1:1
	buffer_load_dword v9, off, s[0:3], 0 offset:204
	buffer_load_dword v17, off, s[0:3], 0 offset:200
	;; [unrolled: 1-line block ×4, first 2 shown]
	s_waitcnt vmcnt(5) lgkmcnt(1)
	v_mul_f32_e32 v5, v49, v3
	v_mul_f32_e32 v3, v48, v3
	s_waitcnt vmcnt(4)
	v_fma_f32 v5, v48, v10, -v5
	v_fmac_f32_e32 v3, v49, v10
	v_sub_f32_e32 v5, v2, v5
	v_sub_f32_e32 v2, v1, v3
	v_mul_f32_e32 v1, v47, v2
	v_fma_f32 v1, v46, v5, -v1
	v_mul_f32_e32 v2, v46, v2
	v_fmac_f32_e32 v2, v47, v5
	buffer_store_dword v1, off, s[0:3], 0 offset:208
	buffer_store_dword v2, off, s[0:3], 0 offset:212
	v_add_u32_e32 v3, s20, v169
	ds_write_b64 v3, v[1:2]
	buffer_load_dword v2, off, s[0:3], 0 offset:80
	s_waitcnt lgkmcnt(1)
	v_mul_f32_e32 v1, v60, v31
	v_fma_f32 v1, v59, v23, -v1
	v_mul_f32_e32 v5, v58, v45
	v_sub_f32_e32 v1, v40, v1
	v_fma_f32 v5, v57, v26, -v5
	s_sub_i32 s20, s13, 24
	v_mul_f32_e32 v3, v59, v31
	v_mul_f32_e32 v10, v57, v45
	v_sub_f32_e32 v1, v1, v5
	v_mov_b32_e32 v5, s20
	v_fmac_f32_e32 v3, v60, v23
	v_fmac_f32_e32 v10, v58, v26
	ds_read2_b64 v[23:26], v5 offset1:1
	s_sub_i32 s20, s13, 40
	v_mov_b32_e32 v5, s20
	ds_read2_b64 v[45:48], v5 offset1:1
	v_sub_f32_e32 v3, v55, v3
	s_waitcnt lgkmcnt(1)
	v_mul_f32_e32 v5, v26, v50
	v_fma_f32 v5, v25, v30, -v5
	v_sub_f32_e32 v3, v3, v10
	v_mul_f32_e32 v10, v25, v50
	v_sub_f32_e32 v1, v1, v5
	v_mul_f32_e32 v5, v24, v39
	v_fmac_f32_e32 v10, v26, v30
	v_fma_f32 v5, v23, v38, -v5
	v_sub_f32_e32 v3, v3, v10
	v_mul_f32_e32 v10, v23, v39
	v_sub_f32_e32 v1, v1, v5
	s_waitcnt lgkmcnt(0)
	v_mul_f32_e32 v5, v48, v54
	v_fmac_f32_e32 v10, v24, v38
	v_fma_f32 v5, v47, v51, -v5
	v_sub_f32_e32 v3, v3, v10
	v_mul_f32_e32 v10, v47, v54
	v_sub_f32_e32 v1, v1, v5
	v_mul_f32_e32 v5, v46, v66
	v_fmac_f32_e32 v10, v48, v51
	v_fma_f32 v5, v45, v52, -v5
	s_sub_i32 s20, s13, 56
	v_sub_f32_e32 v3, v3, v10
	v_mul_f32_e32 v10, v45, v66
	v_sub_f32_e32 v1, v1, v5
	v_mov_b32_e32 v5, s20
	v_fmac_f32_e32 v10, v46, v52
	ds_read2_b64 v[23:26], v5 offset1:1
	v_sub_f32_e32 v3, v3, v10
	buffer_load_dword v10, off, s[0:3], 0 offset:148
	s_add_i32 s20, s13, 0xffffffb8
	v_mov_b32_e32 v5, s20
	ds_read2_b64 v[29:32], v5 offset1:1
	s_waitcnt lgkmcnt(1)
	v_mul_f32_e32 v5, v26, v7
	v_fma_f32 v5, v25, v53, -v5
	v_sub_f32_e32 v1, v1, v5
	v_mul_f32_e32 v5, v24, v22
	v_fma_f32 v5, v23, v6, -v5
	v_sub_f32_e32 v1, v1, v5
	s_waitcnt lgkmcnt(0)
	v_mul_f32_e32 v5, v32, v65
	v_fma_f32 v5, v31, v122, -v5
	v_mul_f32_e32 v7, v25, v7
	v_sub_f32_e32 v1, v1, v5
	v_mul_f32_e32 v5, v30, v64
	v_fmac_f32_e32 v7, v26, v53
	v_fma_f32 v5, v29, v79, -v5
	s_add_i32 s20, s13, 0xffffffa8
	v_sub_f32_e32 v3, v3, v7
	v_mul_f32_e32 v7, v23, v22
	v_sub_f32_e32 v1, v1, v5
	v_mov_b32_e32 v5, s20
	v_fmac_f32_e32 v7, v24, v6
	ds_read2_b64 v[21:24], v5 offset1:1
	v_mul_f32_e32 v6, v31, v65
	v_sub_f32_e32 v3, v3, v7
	v_fmac_f32_e32 v6, v32, v122
	s_add_i32 s20, s13, 0xffffff98
	v_sub_f32_e32 v3, v3, v6
	v_mul_f32_e32 v6, v29, v64
	v_mov_b32_e32 v5, s20
	v_fmac_f32_e32 v6, v30, v79
	ds_read2_b64 v[29:32], v5 offset1:1
	v_sub_f32_e32 v3, v3, v6
	s_waitcnt lgkmcnt(1)
	v_mul_f32_e32 v6, v23, v11
	v_mul_f32_e32 v5, v24, v11
	s_waitcnt vmcnt(1)
	v_fmac_f32_e32 v6, v24, v2
	v_fma_f32 v5, v23, v2, -v5
	v_sub_f32_e32 v2, v3, v6
	v_mul_f32_e32 v3, v22, v62
	v_sub_f32_e32 v1, v1, v5
	v_fma_f32 v3, v21, v13, -v3
	v_sub_f32_e32 v1, v1, v3
	s_waitcnt lgkmcnt(0)
	v_mul_f32_e32 v3, v32, v35
	v_mul_f32_e32 v5, v21, v62
	v_fma_f32 v3, v31, v69, -v3
	v_fmac_f32_e32 v5, v22, v13
	v_sub_f32_e32 v1, v1, v3
	v_mul_f32_e32 v3, v30, v56
	v_sub_f32_e32 v2, v2, v5
	v_mul_f32_e32 v5, v31, v35
	v_fma_f32 v3, v29, v70, -v3
	s_add_i32 s20, s13, 0xffffff88
	v_fmac_f32_e32 v5, v32, v69
	v_sub_f32_e32 v1, v1, v3
	v_mov_b32_e32 v3, s20
	s_add_i32 s20, s13, 0xffffff78
	v_sub_f32_e32 v2, v2, v5
	v_mul_f32_e32 v5, v29, v56
	ds_read2_b64 v[21:24], v3 offset1:1
	v_mov_b32_e32 v3, s20
	v_fmac_f32_e32 v5, v30, v70
	ds_read2_b64 v[29:32], v3 offset1:1
	buffer_load_dword v11, off, s[0:3], 0 offset:212
	buffer_load_dword v25, off, s[0:3], 0 offset:208
	s_waitcnt lgkmcnt(1)
	v_mul_f32_e32 v3, v24, v44
	v_fma_f32 v3, v23, v43, -v3
	v_sub_f32_e32 v1, v1, v3
	v_mul_f32_e32 v3, v22, v41
	v_sub_f32_e32 v2, v2, v5
	v_mul_f32_e32 v5, v23, v44
	v_fma_f32 v3, v21, v33, -v3
	v_fmac_f32_e32 v5, v24, v43
	v_sub_f32_e32 v1, v1, v3
	s_waitcnt lgkmcnt(0)
	v_mul_f32_e32 v3, v32, v42
	v_sub_f32_e32 v2, v2, v5
	v_mul_f32_e32 v5, v21, v41
	v_fma_f32 v3, v31, v8, -v3
	v_fmac_f32_e32 v5, v22, v33
	v_sub_f32_e32 v1, v1, v3
	v_mul_f32_e32 v3, v30, v16
	v_sub_f32_e32 v2, v2, v5
	v_mul_f32_e32 v5, v31, v42
	v_fma_f32 v3, v29, v117, -v3
	s_add_i32 s20, s13, 0xffffff68
	v_fmac_f32_e32 v5, v32, v8
	v_sub_f32_e32 v1, v1, v3
	v_mov_b32_e32 v3, s20
	v_sub_f32_e32 v2, v2, v5
	ds_read2_b64 v[5:8], v3 offset1:1
	s_add_i32 s20, s13, 0xffffff58
	v_mov_b32_e32 v3, s20
	ds_read2_b64 v[21:24], v3 offset1:1
	v_mul_f32_e32 v13, v29, v16
	s_waitcnt vmcnt(2) lgkmcnt(1)
	v_mul_f32_e32 v3, v8, v10
	v_fma_f32 v3, v7, v34, -v3
	v_sub_f32_e32 v1, v1, v3
	v_mul_f32_e32 v3, v6, v14
	v_fma_f32 v3, v5, v15, -v3
	v_fmac_f32_e32 v13, v30, v117
	v_mul_f32_e32 v7, v7, v10
	v_sub_f32_e32 v1, v1, v3
	s_waitcnt lgkmcnt(0)
	v_mul_f32_e32 v3, v24, v19
	v_sub_f32_e32 v2, v2, v13
	v_fmac_f32_e32 v7, v8, v34
	v_mul_f32_e32 v5, v5, v14
	v_fma_f32 v3, v23, v20, -v3
	v_sub_f32_e32 v2, v2, v7
	v_fmac_f32_e32 v5, v6, v15
	v_sub_f32_e32 v1, v1, v3
	v_mul_f32_e32 v3, v22, v27
	v_sub_f32_e32 v2, v2, v5
	v_mul_f32_e32 v5, v23, v19
	v_fma_f32 v3, v21, v28, -v3
	s_add_i32 s20, s13, 0xffffff48
	v_fmac_f32_e32 v5, v24, v20
	v_sub_f32_e32 v1, v1, v3
	v_mov_b32_e32 v3, s20
	v_sub_f32_e32 v2, v2, v5
	ds_read2_b64 v[5:8], v3 offset1:1
	s_addk_i32 s13, 0xff38
	v_mov_b32_e32 v3, s13
	ds_read2_b64 v[13:16], v3 offset1:1
	v_mul_f32_e32 v10, v21, v27
	s_waitcnt lgkmcnt(1)
	v_mul_f32_e32 v3, v8, v12
	v_fma_f32 v3, v7, v37, -v3
	v_sub_f32_e32 v1, v1, v3
	v_mul_f32_e32 v3, v6, v4
	v_fmac_f32_e32 v10, v22, v28
	v_mul_f32_e32 v7, v7, v12
	v_fma_f32 v3, v5, v18, -v3
	v_sub_f32_e32 v2, v2, v10
	v_fmac_f32_e32 v7, v8, v37
	v_mul_f32_e32 v4, v5, v4
	v_sub_f32_e32 v1, v1, v3
	s_waitcnt lgkmcnt(0)
	v_mul_f32_e32 v3, v16, v101
	v_sub_f32_e32 v2, v2, v7
	v_fmac_f32_e32 v4, v6, v18
	v_fma_f32 v3, v15, v109, -v3
	v_sub_f32_e32 v2, v2, v4
	v_mul_f32_e32 v4, v15, v101
	v_sub_f32_e32 v5, v1, v3
	v_mul_f32_e32 v1, v14, v9
	s_addk_i32 s12, 0xe428
	v_fmac_f32_e32 v4, v16, v109
	v_fma_f32 v7, v13, v17, -v1
	v_mov_b32_e32 v1, s12
	v_sub_f32_e32 v6, v2, v4
	ds_read2_b64 v[1:4], v1 offset1:1
	v_mul_f32_e32 v8, v13, v9
	v_sub_f32_e32 v5, v5, v7
	v_fmac_f32_e32 v8, v14, v17
	v_sub_f32_e32 v6, v6, v8
	s_waitcnt vmcnt(1) lgkmcnt(0)
	v_mul_f32_e32 v7, v4, v11
	s_waitcnt vmcnt(0)
	v_fma_f32 v7, v3, v25, -v7
	v_mul_f32_e32 v3, v3, v11
	v_fmac_f32_e32 v3, v4, v25
	v_sub_f32_e32 v4, v6, v3
	v_sub_f32_e32 v5, v5, v7
	v_mul_f32_e32 v3, v2, v4
	v_mul_f32_e32 v4, v1, v4
	v_fma_f32 v3, v1, v5, -v3
	v_fmac_f32_e32 v4, v2, v5
	v_add_u32_e32 v1, s15, v169
	buffer_store_dword v3, off, s[0:3], 0 offset:216
	buffer_store_dword v4, off, s[0:3], 0 offset:220
	ds_write_b64 v1, v[3:4]
.LBB170_30:
	s_cmp_lt_i32 s14, 0
	s_cbranch_scc1 .LBB170_46
; %bb.31:
	s_bitcmp1_b32 s14, 0
	s_cselect_b64 s[12:13], -1, 0
	s_and_b64 vcc, exec, s[12:13]
	s_mov_b32 s12, s14
	s_cbranch_vccnz .LBB170_37
; %bb.32:
	s_lshl_b32 s12, s14, 8
	v_add_u32_e32 v3, s12, v169
	ds_read_b64 v[1:2], v3
	s_cmp_le_i32 s9, s14
	s_waitcnt lgkmcnt(0)
	buffer_store_dword v2, off, s[0:3], 0 offset:4
	buffer_store_dword v1, off, s[0:3], 0
	s_cbranch_scc1 .LBB170_36
; %bb.33:
	s_lshl_b32 s13, s26, 3
	v_lshlrev_b32_e32 v4, 3, v215
	s_add_i32 s12, s12, s13
	v_lshl_or_b32 v4, s26, 8, v4
	s_add_i32 s12, s12, -8
	v_add_u32_e32 v4, 0x1f00, v4
	s_mov_b32 s13, s9
.LBB170_34:                             ; =>This Inner Loop Header: Depth=1
	v_mov_b32_e32 v7, s12
	ds_read_b64 v[5:6], v4
	ds_read_b64 v[7:8], v7
	s_add_i32 s13, s13, -1
	s_add_i32 s12, s12, -8
	v_add_u32_e32 v4, 0xffffff00, v4
	s_cmp_gt_i32 s13, s14
	s_waitcnt lgkmcnt(0)
	v_mul_f32_e32 v9, v8, v6
	v_mul_f32_e32 v8, v8, v5
	v_fma_f32 v5, v7, v5, -v9
	v_fmac_f32_e32 v8, v7, v6
	v_sub_f32_e32 v1, v1, v5
	v_sub_f32_e32 v2, v2, v8
	s_cbranch_scc1 .LBB170_34
; %bb.35:
	buffer_store_dword v1, off, s[0:3], 0
	buffer_store_dword v2, off, s[0:3], 0 offset:4
.LBB170_36:
	s_mul_i32 s12, s14, 0x108
	v_mov_b32_e32 v4, s12
	ds_read_b64 v[4:5], v4
	s_add_i32 s12, s14, -1
	s_waitcnt lgkmcnt(0)
	v_mul_f32_e32 v6, v5, v2
	v_mul_f32_e32 v7, v4, v2
	v_fma_f32 v6, v4, v1, -v6
	v_fmac_f32_e32 v7, v5, v1
	buffer_store_dword v6, off, s[0:3], 0
	buffer_store_dword v7, off, s[0:3], 0 offset:4
	ds_write_b64 v3, v[6:7]
.LBB170_37:
	s_cmp_eq_u32 s14, 0
	s_cbranch_scc1 .LBB170_46
; %bb.38:
	s_lshl_b32 s13, s12, 8
	s_lshl_b32 s14, s26, 3
	v_lshlrev_b32_e32 v1, 3, v215
	s_add_i32 s14, s13, s14
	v_lshl_or_b32 v1, s26, 8, v1
	s_add_i32 s13, s14, -8
	v_add_u32_e32 v5, 0x1f00, v1
	s_addk_i32 s14, 0xfef8
	s_branch .LBB170_40
.LBB170_39:                             ;   in Loop: Header=BB170_40 Depth=1
	s_addk_i32 s15, 0xfef8
	v_mov_b32_e32 v1, s15
	ds_read_b64 v[1:2], v1
	s_add_i32 s15, s12, -2
	s_addk_i32 s13, 0xfe00
	s_addk_i32 s14, 0xfe00
	s_cmp_lt_i32 s12, 2
	s_waitcnt lgkmcnt(0)
	v_mul_f32_e32 v6, v2, v4
	v_mul_f32_e32 v9, v1, v4
	v_fma_f32 v8, v1, v3, -v6
	v_fmac_f32_e32 v9, v2, v3
	s_mov_b32 s12, s15
	buffer_store_dword v8, off, s[0:3], 0
	buffer_store_dword v9, off, s[0:3], 0 offset:4
	ds_write_b64 v7, v[8:9]
	s_cbranch_scc1 .LBB170_46
.LBB170_40:                             ; =>This Loop Header: Depth=1
                                        ;     Child Loop BB170_41 Depth 2
                                        ;     Child Loop BB170_44 Depth 2
	s_lshl_b32 s20, s12, 8
	v_add_u32_e32 v6, s20, v169
	ds_read_b64 v[1:2], v6
	v_mov_b32_e32 v3, v5
	s_mov_b32 s15, s13
	s_cmp_le_i32 s9, s12
	s_mov_b32 s21, s9
	s_waitcnt lgkmcnt(0)
	buffer_store_dword v2, off, s[0:3], 0 offset:4
	buffer_store_dword v1, off, s[0:3], 0
	s_cbranch_scc1 .LBB170_43
.LBB170_41:                             ;   Parent Loop BB170_40 Depth=1
                                        ; =>  This Inner Loop Header: Depth=2
	v_mov_b32_e32 v4, s15
	ds_read_b64 v[7:8], v3
	ds_read_b64 v[9:10], v4
	s_add_i32 s21, s21, -1
	s_add_i32 s15, s15, -8
	v_add_u32_e32 v3, 0xffffff00, v3
	s_cmp_gt_i32 s21, s12
	s_waitcnt lgkmcnt(0)
	v_mul_f32_e32 v4, v10, v8
	v_mul_f32_e32 v10, v10, v7
	v_fma_f32 v4, v9, v7, -v4
	v_fmac_f32_e32 v10, v9, v8
	v_sub_f32_e32 v1, v1, v4
	v_sub_f32_e32 v2, v2, v10
	s_cbranch_scc1 .LBB170_41
; %bb.42:                               ;   in Loop: Header=BB170_40 Depth=1
	buffer_store_dword v1, off, s[0:3], 0
	buffer_store_dword v2, off, s[0:3], 0 offset:4
.LBB170_43:                             ;   in Loop: Header=BB170_40 Depth=1
	s_mul_i32 s15, s12, 0x108
	v_mov_b32_e32 v3, s15
	ds_read_b64 v[8:9], v3
	s_addk_i32 s20, 0xff00
	v_add_u32_e32 v7, s20, v169
	ds_read_b64 v[3:4], v7
	s_cmp_le_i32 s26, s12
	s_waitcnt lgkmcnt(1)
	v_mul_f32_e32 v10, v9, v2
	v_mul_f32_e32 v11, v8, v2
	v_fma_f32 v10, v8, v1, -v10
	v_fmac_f32_e32 v11, v9, v1
	v_mov_b32_e32 v1, v5
	s_mov_b32 s20, s14
	s_mov_b32 s21, s26
	ds_write_b64 v6, v[10:11]
	s_waitcnt lgkmcnt(1)
	buffer_store_dword v3, off, s[0:3], 0
	buffer_store_dword v4, off, s[0:3], 0 offset:4
	s_cbranch_scc1 .LBB170_39
.LBB170_44:                             ;   Parent Loop BB170_40 Depth=1
                                        ; =>  This Inner Loop Header: Depth=2
	v_mov_b32_e32 v2, s20
	ds_read_b64 v[8:9], v1
	ds_read_b64 v[10:11], v2
	s_add_i32 s21, s21, -1
	s_add_i32 s20, s20, -8
	v_add_u32_e32 v1, 0xffffff00, v1
	s_cmp_gt_i32 s21, s12
	s_waitcnt lgkmcnt(0)
	v_mul_f32_e32 v2, v11, v9
	v_mul_f32_e32 v6, v11, v8
	v_fma_f32 v2, v10, v8, -v2
	v_fmac_f32_e32 v6, v10, v9
	v_sub_f32_e32 v3, v3, v2
	v_sub_f32_e32 v4, v4, v6
	s_cbranch_scc1 .LBB170_44
; %bb.45:                               ;   in Loop: Header=BB170_40 Depth=1
	buffer_store_dword v3, off, s[0:3], 0
	buffer_store_dword v4, off, s[0:3], 0 offset:4
	s_branch .LBB170_39
.LBB170_46:
	s_mov_b64 s[12:13], 0
.LBB170_47:
	s_and_b64 vcc, exec, s[12:13]
	s_cbranch_vccz .LBB170_68
; %bb.48:
	v_mov_b32_e32 v1, 0x2000
	s_mov_b32 s13, 0
	v_lshl_or_b32 v3, v215, 3, v1
	s_mov_b32 s12, s13
	s_mov_b32 s9, s13
	s_branch .LBB170_50
.LBB170_49:                             ;   in Loop: Header=BB170_50 Depth=1
	s_cmp_ge_i32 s9, s26
	s_cselect_b64 s[14:15], -1, 0
	s_add_i32 s12, s12, 1
	s_cmp_eq_u32 s12, 3
	s_cselect_b64 s[20:21], -1, 0
	s_or_b64 s[14:15], s[14:15], s[20:21]
	s_and_b64 vcc, exec, s[14:15]
	s_cbranch_vccnz .LBB170_68
.LBB170_50:                             ; =>This Loop Header: Depth=1
                                        ;     Child Loop BB170_53 Depth 2
                                        ;       Child Loop BB170_54 Depth 3
                                        ;       Child Loop BB170_57 Depth 3
                                        ;         Child Loop BB170_58 Depth 4
                                        ;       Child Loop BB170_62 Depth 3
                                        ;         Child Loop BB170_64 Depth 4
	s_lshl_b64 s[14:15], s[12:13], 2
	s_getpc_b64 s[20:21]
	s_add_u32 s20, s20, __const._ZL38rocblas_trsm_small_left_device_sharedBILi32ELi32ELb1E19rocblas_complex_numIfES1_PKS1_PS1_Ev13rocblas_fill_18rocblas_operation_17rocblas_diagonal_iiT3_T4_lilT5_lili.step_sizes@rel32@lo+4
	s_addc_u32 s21, s21, __const._ZL38rocblas_trsm_small_left_device_sharedBILi32ELi32ELb1E19rocblas_complex_numIfES1_PKS1_PS1_Ev13rocblas_fill_18rocblas_operation_17rocblas_diagonal_iiT3_T4_lilT5_lili.step_sizes@rel32@hi+12
	s_add_u32 s14, s20, s14
	s_addc_u32 s15, s21, s15
	s_load_dword s20, s[14:15], 0x0
	s_waitcnt lgkmcnt(0)
	s_add_i32 s21, s20, -1
	s_add_i32 s14, s21, s9
	s_cmp_ge_i32 s14, s26
	s_cbranch_scc1 .LBB170_49
; %bb.51:                               ;   in Loop: Header=BB170_50 Depth=1
	s_max_i32 s22, s20, 1
	v_lshl_add_u32 v4, s9, 8, v3
	s_lshl_b32 s23, s20, 8
	s_lshl_b32 s25, s9, 3
	;; [unrolled: 1-line block ×3, first 2 shown]
	s_mul_i32 s28, s9, 0x108
	s_mul_i32 s29, s20, 0x108
	s_branch .LBB170_53
.LBB170_52:                             ;   in Loop: Header=BB170_53 Depth=2
	s_add_i32 s9, s9, s20
	s_add_i32 s14, s21, s9
	;; [unrolled: 1-line block ×4, first 2 shown]
	s_cmp_ge_i32 s14, s26
	v_add_u32_e32 v4, s23, v4
	s_cbranch_scc1 .LBB170_49
.LBB170_53:                             ;   Parent Loop BB170_50 Depth=1
                                        ; =>  This Loop Header: Depth=2
                                        ;       Child Loop BB170_54 Depth 3
                                        ;       Child Loop BB170_57 Depth 3
                                        ;         Child Loop BB170_58 Depth 4
                                        ;       Child Loop BB170_62 Depth 3
                                        ;         Child Loop BB170_64 Depth 4
	s_mov_b32 s14, 0
	v_mov_b32_e32 v1, v4
	s_mov_b32 s15, s22
.LBB170_54:                             ;   Parent Loop BB170_50 Depth=1
                                        ;     Parent Loop BB170_53 Depth=2
                                        ; =>    This Inner Loop Header: Depth=3
	ds_read_b64 v[5:6], v1
	v_mov_b32_e32 v2, s14
	s_add_i32 s15, s15, -1
	s_add_i32 s14, s14, 8
	v_add_u32_e32 v1, 0x100, v1
	s_cmp_eq_u32 s15, 0
	s_waitcnt lgkmcnt(0)
	buffer_store_dword v6, v2, s[0:3], 0 offen offset:4
	buffer_store_dword v5, v2, s[0:3], 0 offen
	s_cbranch_scc0 .LBB170_54
; %bb.55:                               ;   in Loop: Header=BB170_53 Depth=2
	s_cmp_lt_i32 s9, 1
	s_cbranch_scc1 .LBB170_60
; %bb.56:                               ;   in Loop: Header=BB170_53 Depth=2
	s_mov_b32 s14, 0
	s_mov_b32 s15, s25
.LBB170_57:                             ;   Parent Loop BB170_50 Depth=1
                                        ;     Parent Loop BB170_53 Depth=2
                                        ; =>    This Loop Header: Depth=3
                                        ;         Child Loop BB170_58 Depth 4
	v_lshl_add_u32 v1, s14, 8, v169
	ds_read_b64 v[1:2], v1
	s_mov_b32 s30, 0
	s_mov_b32 s31, s15
	;; [unrolled: 1-line block ×3, first 2 shown]
.LBB170_58:                             ;   Parent Loop BB170_50 Depth=1
                                        ;     Parent Loop BB170_53 Depth=2
                                        ;       Parent Loop BB170_57 Depth=3
                                        ; =>      This Inner Loop Header: Depth=4
	v_mov_b32_e32 v7, s30
	buffer_load_dword v8, v7, s[0:3], 0 offen
	buffer_load_dword v9, v7, s[0:3], 0 offen offset:4
	v_mov_b32_e32 v5, s31
	ds_read_b64 v[5:6], v5
	s_add_i32 s33, s33, -1
	s_add_i32 s31, s31, 8
	s_add_i32 s30, s30, 8
	s_cmp_eq_u32 s33, 0
	s_waitcnt lgkmcnt(0)
	v_mul_f32_e32 v10, v6, v2
	v_mul_f32_e32 v6, v6, v1
	v_fma_f32 v10, v5, v1, -v10
	v_fmac_f32_e32 v6, v5, v2
	s_waitcnt vmcnt(1)
	v_sub_f32_e32 v5, v8, v10
	s_waitcnt vmcnt(0)
	v_sub_f32_e32 v6, v9, v6
	buffer_store_dword v5, v7, s[0:3], 0 offen
	buffer_store_dword v6, v7, s[0:3], 0 offen offset:4
	s_cbranch_scc0 .LBB170_58
; %bb.59:                               ;   in Loop: Header=BB170_57 Depth=3
	s_add_i32 s14, s14, 1
	s_addk_i32 s15, 0x100
	s_cmp_eq_u32 s14, s9
	s_cbranch_scc0 .LBB170_57
.LBB170_60:                             ;   in Loop: Header=BB170_53 Depth=2
	s_mov_b32 s30, 0
	s_mov_b32 s31, s28
	s_branch .LBB170_62
.LBB170_61:                             ;   in Loop: Header=BB170_62 Depth=3
	s_add_i32 s14, s30, s9
	s_mul_i32 s15, s14, 0x108
	v_mov_b32_e32 v5, s15
	ds_read_b64 v[5:6], v5
	s_lshl_b32 s15, s30, 3
	s_add_i32 s30, s30, 1
	s_add_i32 s31, s31, 8
	v_mov_b32_e32 v9, s15
	s_waitcnt vmcnt(0) lgkmcnt(0)
	v_mul_f32_e32 v7, v6, v2
	v_mul_f32_e32 v8, v5, v2
	v_fma_f32 v7, v5, v1, -v7
	v_fmac_f32_e32 v8, v6, v1
	v_lshl_add_u32 v1, s14, 8, v169
	s_cmp_eq_u32 s30, s22
	buffer_store_dword v7, v9, s[0:3], 0 offen
	buffer_store_dword v8, v9, s[0:3], 0 offen offset:4
	ds_write_b64 v1, v[7:8]
	s_cbranch_scc1 .LBB170_52
.LBB170_62:                             ;   Parent Loop BB170_50 Depth=1
                                        ;     Parent Loop BB170_53 Depth=2
                                        ; =>    This Loop Header: Depth=3
                                        ;         Child Loop BB170_64 Depth 4
	s_cmp_lg_u32 s30, 0
	s_cbranch_scc0 .LBB170_66
; %bb.63:                               ;   in Loop: Header=BB170_62 Depth=3
	s_lshl_b32 s14, s30, 3
	v_mov_b32_e32 v5, s14
	buffer_load_dword v1, v5, s[0:3], 0 offen
	buffer_load_dword v2, v5, s[0:3], 0 offen offset:4
	s_mov_b32 s14, 0
	s_mov_b32 s15, s31
	;; [unrolled: 1-line block ×3, first 2 shown]
.LBB170_64:                             ;   Parent Loop BB170_50 Depth=1
                                        ;     Parent Loop BB170_53 Depth=2
                                        ;       Parent Loop BB170_62 Depth=3
                                        ; =>      This Inner Loop Header: Depth=4
	v_mov_b32_e32 v6, s14
	buffer_load_dword v8, v6, s[0:3], 0 offen offset:4
	buffer_load_dword v9, v6, s[0:3], 0 offen
	v_mov_b32_e32 v6, s15
	ds_read_b64 v[6:7], v6
	s_add_i32 s33, s33, -1
	s_addk_i32 s15, 0x100
	s_add_i32 s14, s14, 8
	s_cmp_eq_u32 s33, 0
	s_waitcnt vmcnt(1) lgkmcnt(0)
	v_mul_f32_e32 v10, v7, v8
	v_mul_f32_e32 v8, v6, v8
	s_waitcnt vmcnt(0)
	v_fma_f32 v6, v6, v9, -v10
	v_fmac_f32_e32 v8, v7, v9
	v_sub_f32_e32 v1, v1, v6
	v_sub_f32_e32 v2, v2, v8
	buffer_store_dword v1, v5, s[0:3], 0 offen
	buffer_store_dword v2, v5, s[0:3], 0 offen offset:4
	s_cbranch_scc0 .LBB170_64
; %bb.65:                               ;   in Loop: Header=BB170_62 Depth=3
	s_branch .LBB170_61
.LBB170_66:                             ;   in Loop: Header=BB170_62 Depth=3
                                        ; implicit-def: $vgpr1
                                        ; implicit-def: $vgpr2
	s_cbranch_execz .LBB170_61
; %bb.67:                               ;   in Loop: Header=BB170_62 Depth=3
	buffer_load_dword v1, off, s[0:3], 0
	buffer_load_dword v2, off, s[0:3], 0 offset:4
	s_branch .LBB170_61
.LBB170_68:
	s_waitcnt lgkmcnt(0)
	; wave barrier
	s_and_saveexec_b64 s[12:13], s[4:5]
	s_cbranch_execz .LBB170_72
; %bb.69:
	s_andn2_b64 vcc, exec, s[6:7]
	s_cbranch_vccnz .LBB170_72
; %bb.70:
	s_lshl_b64 s[4:5], s[18:19], 3
	s_add_u32 s6, s10, s4
	s_addc_u32 s7, s11, s5
	s_lshl_b64 s[4:5], s[16:17], 3
	s_add_u32 s9, s6, s4
	s_addc_u32 s10, s7, s5
	v_mad_i64_i32 v[1:2], s[6:7], s24, v215, 0
	s_mul_hi_i32 s5, s24, s8
	s_mul_i32 s4, s24, s8
	s_lshl_b64 s[4:5], s[4:5], 3
	s_add_u32 s4, s9, s4
	v_lshlrev_b64 v[1:2], 3, v[1:2]
	s_addc_u32 s5, s10, s5
	v_mov_b32_e32 v0, s5
	v_add_co_u32_e32 v1, vcc, s4, v1
	v_addc_co_u32_e32 v2, vcc, v0, v2, vcc
	v_mov_b32_e32 v0, 0x2000
	v_lshl_or_b32 v0, v215, 3, v0
.LBB170_71:                             ; =>This Inner Loop Header: Depth=1
	ds_read_b64 v[3:4], v0
	s_add_i32 s26, s26, -1
	v_add_u32_e32 v0, 0x100, v0
	s_cmp_lg_u32 s26, 0
	s_waitcnt lgkmcnt(0)
	global_store_dwordx2 v[1:2], v[3:4], off
	v_add_co_u32_e32 v1, vcc, 8, v1
	v_addc_co_u32_e32 v2, vcc, 0, v2, vcc
	s_cbranch_scc1 .LBB170_71
.LBB170_72:
	s_endpgm
	.section	.rodata,"a",@progbits
	.p2align	6, 0x0
	.amdhsa_kernel _ZL38rocblas_trsm_small_left_device_sharedBILi32ELi32ELb1E19rocblas_complex_numIfES1_PKS1_PS1_Ev13rocblas_fill_18rocblas_operation_17rocblas_diagonal_iiT3_T4_lilT5_lili
		.amdhsa_group_segment_fixed_size 16384
		.amdhsa_private_segment_fixed_size 272
		.amdhsa_kernarg_size 360
		.amdhsa_user_sgpr_count 6
		.amdhsa_user_sgpr_private_segment_buffer 1
		.amdhsa_user_sgpr_dispatch_ptr 0
		.amdhsa_user_sgpr_queue_ptr 0
		.amdhsa_user_sgpr_kernarg_segment_ptr 1
		.amdhsa_user_sgpr_dispatch_id 0
		.amdhsa_user_sgpr_flat_scratch_init 0
		.amdhsa_user_sgpr_private_segment_size 0
		.amdhsa_uses_dynamic_stack 0
		.amdhsa_system_sgpr_private_segment_wavefront_offset 1
		.amdhsa_system_sgpr_workgroup_id_x 1
		.amdhsa_system_sgpr_workgroup_id_y 0
		.amdhsa_system_sgpr_workgroup_id_z 1
		.amdhsa_system_sgpr_workgroup_info 0
		.amdhsa_system_vgpr_workitem_id 0
		.amdhsa_next_free_vgpr 256
		.amdhsa_next_free_sgpr 98
		.amdhsa_reserve_vcc 1
		.amdhsa_reserve_flat_scratch 0
		.amdhsa_float_round_mode_32 0
		.amdhsa_float_round_mode_16_64 0
		.amdhsa_float_denorm_mode_32 3
		.amdhsa_float_denorm_mode_16_64 3
		.amdhsa_dx10_clamp 1
		.amdhsa_ieee_mode 1
		.amdhsa_fp16_overflow 0
		.amdhsa_exception_fp_ieee_invalid_op 0
		.amdhsa_exception_fp_denorm_src 0
		.amdhsa_exception_fp_ieee_div_zero 0
		.amdhsa_exception_fp_ieee_overflow 0
		.amdhsa_exception_fp_ieee_underflow 0
		.amdhsa_exception_fp_ieee_inexact 0
		.amdhsa_exception_int_div_zero 0
	.end_amdhsa_kernel
	.section	.text._ZL38rocblas_trsm_small_left_device_sharedBILi32ELi32ELb1E19rocblas_complex_numIfES1_PKS1_PS1_Ev13rocblas_fill_18rocblas_operation_17rocblas_diagonal_iiT3_T4_lilT5_lili,"axG",@progbits,_ZL38rocblas_trsm_small_left_device_sharedBILi32ELi32ELb1E19rocblas_complex_numIfES1_PKS1_PS1_Ev13rocblas_fill_18rocblas_operation_17rocblas_diagonal_iiT3_T4_lilT5_lili,comdat
.Lfunc_end170:
	.size	_ZL38rocblas_trsm_small_left_device_sharedBILi32ELi32ELb1E19rocblas_complex_numIfES1_PKS1_PS1_Ev13rocblas_fill_18rocblas_operation_17rocblas_diagonal_iiT3_T4_lilT5_lili, .Lfunc_end170-_ZL38rocblas_trsm_small_left_device_sharedBILi32ELi32ELb1E19rocblas_complex_numIfES1_PKS1_PS1_Ev13rocblas_fill_18rocblas_operation_17rocblas_diagonal_iiT3_T4_lilT5_lili
                                        ; -- End function
	.set _ZL38rocblas_trsm_small_left_device_sharedBILi32ELi32ELb1E19rocblas_complex_numIfES1_PKS1_PS1_Ev13rocblas_fill_18rocblas_operation_17rocblas_diagonal_iiT3_T4_lilT5_lili.num_vgpr, 256
	.set _ZL38rocblas_trsm_small_left_device_sharedBILi32ELi32ELb1E19rocblas_complex_numIfES1_PKS1_PS1_Ev13rocblas_fill_18rocblas_operation_17rocblas_diagonal_iiT3_T4_lilT5_lili.num_agpr, 0
	.set _ZL38rocblas_trsm_small_left_device_sharedBILi32ELi32ELb1E19rocblas_complex_numIfES1_PKS1_PS1_Ev13rocblas_fill_18rocblas_operation_17rocblas_diagonal_iiT3_T4_lilT5_lili.numbered_sgpr, 37
	.set _ZL38rocblas_trsm_small_left_device_sharedBILi32ELi32ELb1E19rocblas_complex_numIfES1_PKS1_PS1_Ev13rocblas_fill_18rocblas_operation_17rocblas_diagonal_iiT3_T4_lilT5_lili.num_named_barrier, 0
	.set _ZL38rocblas_trsm_small_left_device_sharedBILi32ELi32ELb1E19rocblas_complex_numIfES1_PKS1_PS1_Ev13rocblas_fill_18rocblas_operation_17rocblas_diagonal_iiT3_T4_lilT5_lili.private_seg_size, 272
	.set _ZL38rocblas_trsm_small_left_device_sharedBILi32ELi32ELb1E19rocblas_complex_numIfES1_PKS1_PS1_Ev13rocblas_fill_18rocblas_operation_17rocblas_diagonal_iiT3_T4_lilT5_lili.uses_vcc, 1
	.set _ZL38rocblas_trsm_small_left_device_sharedBILi32ELi32ELb1E19rocblas_complex_numIfES1_PKS1_PS1_Ev13rocblas_fill_18rocblas_operation_17rocblas_diagonal_iiT3_T4_lilT5_lili.uses_flat_scratch, 0
	.set _ZL38rocblas_trsm_small_left_device_sharedBILi32ELi32ELb1E19rocblas_complex_numIfES1_PKS1_PS1_Ev13rocblas_fill_18rocblas_operation_17rocblas_diagonal_iiT3_T4_lilT5_lili.has_dyn_sized_stack, 0
	.set _ZL38rocblas_trsm_small_left_device_sharedBILi32ELi32ELb1E19rocblas_complex_numIfES1_PKS1_PS1_Ev13rocblas_fill_18rocblas_operation_17rocblas_diagonal_iiT3_T4_lilT5_lili.has_recursion, 0
	.set _ZL38rocblas_trsm_small_left_device_sharedBILi32ELi32ELb1E19rocblas_complex_numIfES1_PKS1_PS1_Ev13rocblas_fill_18rocblas_operation_17rocblas_diagonal_iiT3_T4_lilT5_lili.has_indirect_call, 0
	.section	.AMDGPU.csdata,"",@progbits
; Kernel info:
; codeLenInByte = 56752
; TotalNumSgprs: 41
; NumVgprs: 256
; ScratchSize: 272
; MemoryBound: 0
; FloatMode: 240
; IeeeMode: 1
; LDSByteSize: 16384 bytes/workgroup (compile time only)
; SGPRBlocks: 12
; VGPRBlocks: 63
; NumSGPRsForWavesPerEU: 102
; NumVGPRsForWavesPerEU: 256
; Occupancy: 1
; WaveLimiterHint : 1
; COMPUTE_PGM_RSRC2:SCRATCH_EN: 1
; COMPUTE_PGM_RSRC2:USER_SGPR: 6
; COMPUTE_PGM_RSRC2:TRAP_HANDLER: 0
; COMPUTE_PGM_RSRC2:TGID_X_EN: 1
; COMPUTE_PGM_RSRC2:TGID_Y_EN: 0
; COMPUTE_PGM_RSRC2:TGID_Z_EN: 1
; COMPUTE_PGM_RSRC2:TIDIG_COMP_CNT: 0
	.section	.text._ZL30rocblas_trsm_small_left_deviceILi32ELi32ELb1E19rocblas_complex_numIfES1_PKS1_PS1_Ev13rocblas_fill_18rocblas_operation_17rocblas_diagonal_iiT3_T4_lilT5_lili,"axG",@progbits,_ZL30rocblas_trsm_small_left_deviceILi32ELi32ELb1E19rocblas_complex_numIfES1_PKS1_PS1_Ev13rocblas_fill_18rocblas_operation_17rocblas_diagonal_iiT3_T4_lilT5_lili,comdat
	.globl	_ZL30rocblas_trsm_small_left_deviceILi32ELi32ELb1E19rocblas_complex_numIfES1_PKS1_PS1_Ev13rocblas_fill_18rocblas_operation_17rocblas_diagonal_iiT3_T4_lilT5_lili ; -- Begin function _ZL30rocblas_trsm_small_left_deviceILi32ELi32ELb1E19rocblas_complex_numIfES1_PKS1_PS1_Ev13rocblas_fill_18rocblas_operation_17rocblas_diagonal_iiT3_T4_lilT5_lili
	.p2align	8
	.type	_ZL30rocblas_trsm_small_left_deviceILi32ELi32ELb1E19rocblas_complex_numIfES1_PKS1_PS1_Ev13rocblas_fill_18rocblas_operation_17rocblas_diagonal_iiT3_T4_lilT5_lili,@function
_ZL30rocblas_trsm_small_left_deviceILi32ELi32ELb1E19rocblas_complex_numIfES1_PKS1_PS1_Ev13rocblas_fill_18rocblas_operation_17rocblas_diagonal_iiT3_T4_lilT5_lili: ; @_ZL30rocblas_trsm_small_left_deviceILi32ELi32ELb1E19rocblas_complex_numIfES1_PKS1_PS1_Ev13rocblas_fill_18rocblas_operation_17rocblas_diagonal_iiT3_T4_lilT5_lili
; %bb.0:
	s_add_u32 s0, s0, s8
	s_load_dwordx4 s[12:15], s[4:5], 0x4
	s_load_dwordx2 s[16:17], s[4:5], 0x14
	s_load_dwordx4 s[8:11], s[4:5], 0x38
	s_load_dwordx2 s[18:19], s[4:5], 0x48
	s_load_dword s27, s[4:5], 0x68
	s_addc_u32 s1, s1, 0
	s_waitcnt lgkmcnt(0)
	s_min_i32 s26, s14, 32
	v_cmp_gt_i32_e32 vcc, s26, v0
	s_and_saveexec_b64 s[20:21], vcc
	s_cbranch_execz .LBB171_15
; %bb.1:
	s_load_dword s24, s[4:5], 0x30
	s_load_dwordx4 s[28:31], s[4:5], 0x20
	s_mul_i32 s9, s9, s7
	s_mul_hi_u32 s14, s8, s7
	s_mul_i32 s8, s8, s7
	s_waitcnt lgkmcnt(0)
	s_ashr_i32 s25, s24, 31
	s_cmpk_lg_i32 s12, 0x71
	s_cselect_b64 s[22:23], -1, 0
	s_add_i32 s9, s14, s9
	s_lshl_b64 s[8:9], s[8:9], 3
	s_lshl_b64 s[30:31], s[30:31], 3
	s_add_u32 s8, s8, s30
	s_addc_u32 s9, s9, s31
	s_add_u32 s8, s28, s8
	v_lshlrev_b32_e32 v5, 3, v0
	s_addc_u32 s9, s29, s9
	v_mov_b32_e32 v1, s9
	v_add_co_u32_e32 v2, vcc, s8, v5
	v_addc_co_u32_e32 v3, vcc, 0, v1, vcc
	v_add_co_u32_e32 v1, vcc, 4, v2
	s_lshl_b64 s[8:9], s[24:25], 3
	v_addc_co_u32_e32 v2, vcc, 0, v3, vcc
	v_mov_b32_e32 v6, s9
	v_mov_b32_e32 v7, v5
	s_mov_b32 s9, s26
	s_branch .LBB171_3
.LBB171_2:                              ;   in Loop: Header=BB171_3 Depth=1
	global_load_dword v3, v[1:2], off offset:-4
	s_add_i32 s9, s9, -1
	v_add_co_u32_e32 v1, vcc, s8, v1
	v_addc_co_u32_e32 v2, vcc, v2, v6, vcc
	s_cmp_eq_u32 s9, 0
	s_waitcnt vmcnt(0)
	ds_write_b64 v7, v[3:4]
	v_add_u32_e32 v7, 0x100, v7
	s_cbranch_scc1 .LBB171_7
.LBB171_3:                              ; =>This Inner Loop Header: Depth=1
	s_mov_b64 s[24:25], -1
	s_and_b64 vcc, exec, s[22:23]
                                        ; implicit-def: $vgpr4
	s_cbranch_vccz .LBB171_5
; %bb.4:                                ;   in Loop: Header=BB171_3 Depth=1
	global_load_dword v4, v[1:2], off
	s_mov_b64 s[24:25], 0
.LBB171_5:                              ;   in Loop: Header=BB171_3 Depth=1
	s_andn2_b64 vcc, exec, s[24:25]
	s_cbranch_vccnz .LBB171_2
; %bb.6:                                ;   in Loop: Header=BB171_3 Depth=1
	global_load_dword v3, v[1:2], off
	s_waitcnt vmcnt(0)
	v_xor_b32_e32 v4, 0x80000000, v3
	s_branch .LBB171_2
.LBB171_7:
	s_cmpk_lg_i32 s13, 0x84
	v_lshlrev_b32_e32 v6, 8, v0
	s_mov_b64 s[8:9], -1
	s_cbranch_scc0 .LBB171_13
; %bb.8:
	v_add_u32_e32 v7, v5, v6
	ds_read_b64 v[1:2], v7
                                        ; implicit-def: $vgpr3
	s_waitcnt lgkmcnt(0)
	v_cmp_ngt_f32_e64 s[8:9], |v1|, |v2|
	s_and_saveexec_b64 s[22:23], s[8:9]
	s_xor_b64 s[8:9], exec, s[22:23]
	s_cbranch_execz .LBB171_10
; %bb.9:
	v_div_scale_f32 v3, s[22:23], v2, v2, v1
	v_div_scale_f32 v4, vcc, v1, v2, v1
	v_rcp_f32_e32 v8, v3
	v_fma_f32 v9, -v3, v8, 1.0
	v_fmac_f32_e32 v8, v9, v8
	v_mul_f32_e32 v9, v4, v8
	v_fma_f32 v10, -v3, v9, v4
	v_fmac_f32_e32 v9, v10, v8
	v_fma_f32 v3, -v3, v9, v4
	v_div_fmas_f32 v3, v3, v8, v9
	v_div_fixup_f32 v3, v3, v2, v1
	v_fmac_f32_e32 v2, v1, v3
	v_div_scale_f32 v1, s[22:23], v2, v2, 1.0
	v_div_scale_f32 v4, vcc, 1.0, v2, 1.0
	v_rcp_f32_e32 v8, v1
	v_fma_f32 v9, -v1, v8, 1.0
	v_fmac_f32_e32 v8, v9, v8
	v_mul_f32_e32 v9, v4, v8
	v_fma_f32 v10, -v1, v9, v4
	v_fmac_f32_e32 v9, v10, v8
	v_fma_f32 v1, -v1, v9, v4
	v_div_fmas_f32 v1, v1, v8, v9
	v_add_f32_e32 v4, 0, v3
	v_fma_f32 v8, v3, 0, -1.0
	v_div_fixup_f32 v1, v1, v2, 1.0
	v_mul_f32_e32 v3, v4, v1
	v_mul_f32_e32 v4, v8, v1
                                        ; implicit-def: $vgpr1_vgpr2
.LBB171_10:
	s_andn2_saveexec_b64 s[8:9], s[8:9]
	s_cbranch_execz .LBB171_12
; %bb.11:
	v_div_scale_f32 v3, s[22:23], v1, v1, v2
	v_div_scale_f32 v4, vcc, v2, v1, v2
	v_rcp_f32_e32 v8, v3
	v_fma_f32 v9, -v3, v8, 1.0
	v_fmac_f32_e32 v8, v9, v8
	v_mul_f32_e32 v9, v4, v8
	v_fma_f32 v10, -v3, v9, v4
	v_fmac_f32_e32 v9, v10, v8
	v_fma_f32 v3, -v3, v9, v4
	v_div_fmas_f32 v3, v3, v8, v9
	v_div_fixup_f32 v4, v3, v1, v2
	v_fmac_f32_e32 v1, v2, v4
	v_div_scale_f32 v2, s[22:23], v1, v1, 1.0
	v_div_scale_f32 v3, vcc, 1.0, v1, 1.0
	v_rcp_f32_e32 v8, v2
	v_fma_f32 v9, -v2, v8, 1.0
	v_fmac_f32_e32 v8, v9, v8
	v_mul_f32_e32 v9, v3, v8
	v_fma_f32 v10, -v2, v9, v3
	v_fmac_f32_e32 v9, v10, v8
	v_fma_f32 v2, -v2, v9, v3
	v_div_fmas_f32 v2, v2, v8, v9
	v_fma_f32 v3, v4, 0, 1.0
	v_div_fixup_f32 v1, v2, v1, 1.0
	v_mul_f32_e32 v3, v3, v1
	v_mul_f32_e64 v4, -v4, v1
.LBB171_12:
	s_or_b64 exec, exec, s[8:9]
	s_mov_b64 s[8:9], 0
	ds_write_b64 v7, v[3:4]
.LBB171_13:
	s_and_b64 vcc, exec, s[8:9]
	s_cbranch_vccz .LBB171_15
; %bb.14:
	v_add_u32_e32 v3, v5, v6
	v_mov_b32_e32 v1, 1.0
	v_mov_b32_e32 v2, 0
	ds_write_b64 v3, v[1:2]
.LBB171_15:
	s_or_b64 exec, exec, s[20:21]
	s_lshl_b32 s8, s6, 5
	s_add_i32 s27, s27, -1
	s_sub_i32 s9, s15, s8
	s_cmp_ge_u32 s6, s27
	s_cselect_b32 s6, s9, 32
	v_cmp_gt_i32_e32 vcc, s6, v0
	s_waitcnt lgkmcnt(0)
	; wave barrier
	s_and_saveexec_b64 s[14:15], vcc
	s_cbranch_execz .LBB171_58
; %bb.16:
	s_load_dwordx2 s[14:15], s[4:5], 0x58
	s_load_dword s6, s[4:5], 0x50
	v_add_u32_e32 v0, s8, v0
	s_waitcnt lgkmcnt(0)
	s_mul_i32 s5, s15, s7
	s_mul_hi_u32 s8, s14, s7
	s_mul_i32 s4, s14, s7
	s_add_i32 s5, s8, s5
	v_mad_i64_i32 v[0:1], s[6:7], s6, v0, 0
	s_lshl_b64 s[4:5], s[4:5], 3
	s_add_u32 s8, s10, s4
	s_addc_u32 s9, s11, s5
	s_lshl_b64 s[6:7], s[18:19], 3
	s_add_u32 s8, s8, s6
	v_lshlrev_b64 v[0:1], 3, v[0:1]
	s_addc_u32 s9, s9, s7
	v_mov_b32_e32 v2, s9
	v_add_co_u32_e32 v4, vcc, s8, v0
	v_addc_co_u32_e32 v5, vcc, v2, v1, vcc
	s_cmpk_eq_i32 s12, 0x6f
	s_mov_b64 s[8:9], -1
	s_cbranch_scc1 .LBB171_37
; %bb.17:
	s_add_i32 s22, s26, -1
	s_add_u32 s8, s10, s6
	s_addc_u32 s9, s11, s7
	s_add_u32 s8, s8, s4
	s_addc_u32 s9, s9, s5
	v_mov_b32_e32 v2, s9
	v_add_co_u32_e32 v3, vcc, s8, v0
	v_addc_co_u32_e32 v2, vcc, v2, v1, vcc
	v_add_co_u32_e32 v6, vcc, 4, v3
	s_lshl_b32 s23, s26, 3
	s_mov_b32 s9, 0
	v_addc_co_u32_e32 v7, vcc, 0, v2, vcc
	s_add_i32 s23, s23, -8
	s_mov_b32 s8, s9
	s_mov_b32 s12, s22
	s_branch .LBB171_19
.LBB171_18:                             ;   in Loop: Header=BB171_19 Depth=1
	s_cmp_lt_i32 s12, 0
	s_cselect_b64 s[14:15], -1, 0
	s_add_i32 s8, s8, 1
	s_cmp_eq_u32 s8, 3
	s_cselect_b64 s[18:19], -1, 0
	s_or_b64 s[14:15], s[14:15], s[18:19]
	s_andn2_b64 vcc, exec, s[14:15]
	s_cbranch_vccz .LBB171_36
.LBB171_19:                             ; =>This Loop Header: Depth=1
                                        ;     Child Loop BB171_22 Depth 2
                                        ;       Child Loop BB171_23 Depth 3
                                        ;       Child Loop BB171_25 Depth 3
                                        ;         Child Loop BB171_26 Depth 4
                                        ;       Child Loop BB171_30 Depth 3
                                        ;         Child Loop BB171_32 Depth 4
	s_lshl_b64 s[14:15], s[8:9], 2
	s_getpc_b64 s[18:19]
	s_add_u32 s18, s18, __const._ZL30rocblas_trsm_small_left_deviceILi32ELi32ELb1E19rocblas_complex_numIfES1_PKS1_PS1_Ev13rocblas_fill_18rocblas_operation_17rocblas_diagonal_iiT3_T4_lilT5_lili.step_sizes@rel32@lo+4
	s_addc_u32 s19, s19, __const._ZL30rocblas_trsm_small_left_deviceILi32ELi32ELb1E19rocblas_complex_numIfES1_PKS1_PS1_Ev13rocblas_fill_18rocblas_operation_17rocblas_diagonal_iiT3_T4_lilT5_lili.step_sizes@rel32@hi+12
	s_add_u32 s14, s18, s14
	s_addc_u32 s15, s19, s15
	s_load_dword s24, s[14:15], 0x0
	s_waitcnt lgkmcnt(0)
	s_add_i32 s25, s24, -1
	s_cmp_lt_i32 s12, s25
	s_cbranch_scc1 .LBB171_18
; %bb.20:                               ;   in Loop: Header=BB171_19 Depth=1
	s_lshl_b32 s13, s12, 8
	s_add_i32 s28, s23, s13
	s_lshl_b32 s13, s24, 8
	s_max_i32 s27, s24, 1
	s_sub_i32 s29, 0, s13
	s_mul_i32 s30, s12, 0x108
	s_mul_i32 s31, s24, 0xfffffef8
	s_branch .LBB171_22
.LBB171_21:                             ;   in Loop: Header=BB171_22 Depth=2
	s_sub_i32 s12, s12, s24
	s_add_i32 s28, s28, s29
	s_add_i32 s30, s30, s31
	s_cmp_lt_i32 s12, s25
	s_cbranch_scc1 .LBB171_18
.LBB171_22:                             ;   Parent Loop BB171_19 Depth=1
                                        ; =>  This Loop Header: Depth=2
                                        ;       Child Loop BB171_23 Depth 3
                                        ;       Child Loop BB171_25 Depth 3
                                        ;         Child Loop BB171_26 Depth 4
                                        ;       Child Loop BB171_30 Depth 3
                                        ;         Child Loop BB171_32 Depth 4
	s_ashr_i32 s13, s12, 31
	s_lshl_b64 s[14:15], s[12:13], 3
	v_mov_b32_e32 v3, s15
	v_add_co_u32_e32 v2, vcc, s14, v6
	v_addc_co_u32_e32 v3, vcc, v7, v3, vcc
	s_mov_b32 s14, 0
	s_mov_b32 s15, s27
.LBB171_23:                             ;   Parent Loop BB171_19 Depth=1
                                        ;     Parent Loop BB171_22 Depth=2
                                        ; =>    This Inner Loop Header: Depth=3
	global_load_dwordx2 v[8:9], v[2:3], off offset:-4
	v_mov_b32_e32 v10, s14
	s_add_i32 s15, s15, -1
	v_add_co_u32_e32 v2, vcc, -8, v2
	s_add_i32 s14, s14, 8
	v_addc_co_u32_e32 v3, vcc, -1, v3, vcc
	s_cmp_eq_u32 s15, 0
	s_waitcnt vmcnt(0)
	v_mul_f32_e32 v11, s17, v9
	v_mul_f32_e32 v9, s16, v9
	v_fma_f32 v11, v8, s16, -v11
	v_fmac_f32_e32 v9, s17, v8
	buffer_store_dword v11, v10, s[0:3], 0 offen
	buffer_store_dword v9, v10, s[0:3], 0 offen offset:4
	s_cbranch_scc0 .LBB171_23
; %bb.24:                               ;   in Loop: Header=BB171_22 Depth=2
	s_cmp_le_i32 s22, s12
	s_mov_b32 s18, s28
	s_mov_b32 s14, s22
	s_cbranch_scc1 .LBB171_28
.LBB171_25:                             ;   Parent Loop BB171_19 Depth=1
                                        ;     Parent Loop BB171_22 Depth=2
                                        ; =>    This Loop Header: Depth=3
                                        ;         Child Loop BB171_26 Depth 4
	s_ashr_i32 s15, s14, 31
	s_lshl_b64 s[20:21], s[14:15], 3
	v_mov_b32_e32 v3, s21
	v_add_co_u32_e32 v2, vcc, s20, v4
	v_addc_co_u32_e32 v3, vcc, v5, v3, vcc
	global_load_dwordx2 v[2:3], v[2:3], off
	s_mov_b32 s15, 0
	s_mov_b32 s19, s18
	;; [unrolled: 1-line block ×3, first 2 shown]
.LBB171_26:                             ;   Parent Loop BB171_19 Depth=1
                                        ;     Parent Loop BB171_22 Depth=2
                                        ;       Parent Loop BB171_25 Depth=3
                                        ; =>      This Inner Loop Header: Depth=4
	v_mov_b32_e32 v10, s15
	buffer_load_dword v11, v10, s[0:3], 0 offen
	buffer_load_dword v12, v10, s[0:3], 0 offen offset:4
	v_mov_b32_e32 v8, s19
	ds_read_b64 v[8:9], v8
	s_add_i32 s20, s20, -1
	s_addk_i32 s19, 0xff00
	s_add_i32 s15, s15, 8
	s_cmp_eq_u32 s20, 0
	s_waitcnt vmcnt(2) lgkmcnt(0)
	v_mul_f32_e32 v13, v9, v3
	v_mul_f32_e32 v9, v9, v2
	v_fma_f32 v13, v8, v2, -v13
	v_fmac_f32_e32 v9, v8, v3
	s_waitcnt vmcnt(1)
	v_sub_f32_e32 v8, v11, v13
	s_waitcnt vmcnt(0)
	v_sub_f32_e32 v9, v12, v9
	buffer_store_dword v8, v10, s[0:3], 0 offen
	buffer_store_dword v9, v10, s[0:3], 0 offen offset:4
	s_cbranch_scc0 .LBB171_26
; %bb.27:                               ;   in Loop: Header=BB171_25 Depth=3
	s_add_i32 s14, s14, -1
	s_add_i32 s18, s18, -8
	s_cmp_le_i32 s14, s12
	s_cbranch_scc0 .LBB171_25
.LBB171_28:                             ;   in Loop: Header=BB171_22 Depth=2
	s_mov_b32 s33, 0
	s_mov_b32 s34, s30
	s_branch .LBB171_30
.LBB171_29:                             ;   in Loop: Header=BB171_30 Depth=3
	s_mulk_i32 s18, 0x108
	v_mov_b32_e32 v8, s18
	ds_read_b64 v[8:9], v8
	s_lshl_b64 s[14:15], s[14:15], 3
	s_lshl_b32 s18, s33, 3
	s_add_i32 s33, s33, 1
	s_addk_i32 s34, 0xff00
	s_waitcnt vmcnt(0) lgkmcnt(0)
	v_mul_f32_e32 v10, v9, v3
	v_mul_f32_e32 v11, v8, v3
	v_fma_f32 v10, v8, v2, -v10
	v_fmac_f32_e32 v11, v9, v2
	v_mov_b32_e32 v3, s15
	v_add_co_u32_e32 v2, vcc, s14, v4
	v_mov_b32_e32 v12, s18
	v_addc_co_u32_e32 v3, vcc, v5, v3, vcc
	s_cmp_eq_u32 s33, s27
	buffer_store_dword v10, v12, s[0:3], 0 offen
	buffer_store_dword v11, v12, s[0:3], 0 offen offset:4
	global_store_dwordx2 v[2:3], v[10:11], off
	s_cbranch_scc1 .LBB171_21
.LBB171_30:                             ;   Parent Loop BB171_19 Depth=1
                                        ;     Parent Loop BB171_22 Depth=2
                                        ; =>    This Loop Header: Depth=3
                                        ;         Child Loop BB171_32 Depth 4
	s_cmp_lg_u32 s33, 0
	s_cbranch_scc0 .LBB171_34
; %bb.31:                               ;   in Loop: Header=BB171_30 Depth=3
	s_lshl_b32 s14, s33, 3
	v_mov_b32_e32 v8, s14
	buffer_load_dword v2, v8, s[0:3], 0 offen
	buffer_load_dword v3, v8, s[0:3], 0 offen offset:4
	s_mov_b32 s14, 0
	s_mov_b32 s15, s34
	;; [unrolled: 1-line block ×3, first 2 shown]
.LBB171_32:                             ;   Parent Loop BB171_19 Depth=1
                                        ;     Parent Loop BB171_22 Depth=2
                                        ;       Parent Loop BB171_30 Depth=3
                                        ; =>      This Inner Loop Header: Depth=4
	v_mov_b32_e32 v9, s14
	buffer_load_dword v11, v9, s[0:3], 0 offen offset:4
	buffer_load_dword v12, v9, s[0:3], 0 offen
	v_mov_b32_e32 v9, s15
	ds_read_b64 v[9:10], v9
	s_add_i32 s18, s18, -1
	s_add_i32 s15, s15, -8
	s_add_i32 s14, s14, 8
	s_cmp_eq_u32 s18, 0
	s_waitcnt vmcnt(1) lgkmcnt(0)
	v_mul_f32_e32 v13, v10, v11
	v_mul_f32_e32 v11, v9, v11
	s_waitcnt vmcnt(0)
	v_fma_f32 v9, v9, v12, -v13
	v_fmac_f32_e32 v11, v10, v12
	v_sub_f32_e32 v2, v2, v9
	v_sub_f32_e32 v3, v3, v11
	buffer_store_dword v2, v8, s[0:3], 0 offen
	buffer_store_dword v3, v8, s[0:3], 0 offen offset:4
	s_cbranch_scc0 .LBB171_32
; %bb.33:                               ;   in Loop: Header=BB171_30 Depth=3
	s_sub_i32 s18, s12, s33
	s_ashr_i32 s19, s18, 31
	s_mov_b64 s[14:15], s[18:19]
	s_branch .LBB171_29
.LBB171_34:                             ;   in Loop: Header=BB171_30 Depth=3
                                        ; implicit-def: $vgpr2
                                        ; implicit-def: $vgpr3
                                        ; implicit-def: $sgpr18
                                        ; implicit-def: $sgpr14_sgpr15
	s_cbranch_execz .LBB171_29
; %bb.35:                               ;   in Loop: Header=BB171_30 Depth=3
	buffer_load_dword v2, off, s[0:3], 0
	buffer_load_dword v3, off, s[0:3], 0 offset:4
	s_mov_b64 s[14:15], s[12:13]
	s_mov_b32 s18, s12
	s_branch .LBB171_29
.LBB171_36:
	s_mov_b64 s[8:9], 0
.LBB171_37:
	s_and_b64 vcc, exec, s[8:9]
	s_cbranch_vccz .LBB171_58
; %bb.38:
	s_add_u32 s6, s10, s6
	s_addc_u32 s7, s11, s7
	s_add_u32 s4, s6, s4
	s_addc_u32 s5, s7, s5
	v_mov_b32_e32 v2, s5
	v_add_co_u32_e32 v0, vcc, s4, v0
	v_addc_co_u32_e32 v1, vcc, v2, v1, vcc
	v_add_co_u32_e32 v6, vcc, 4, v0
	s_mov_b32 s5, 0
	v_addc_co_u32_e32 v7, vcc, 0, v1, vcc
	s_mov_b32 s6, s5
	s_mov_b32 s8, s5
	s_branch .LBB171_40
.LBB171_39:                             ;   in Loop: Header=BB171_40 Depth=1
	s_cmp_ge_i32 s6, s26
	s_cselect_b64 s[10:11], -1, 0
	s_add_i32 s8, s8, 1
	s_cmp_eq_u32 s8, 3
	s_cselect_b64 s[12:13], -1, 0
	s_or_b64 s[10:11], s[10:11], s[12:13]
	s_and_b64 vcc, exec, s[10:11]
	s_cbranch_vccnz .LBB171_58
.LBB171_40:                             ; =>This Loop Header: Depth=1
                                        ;     Child Loop BB171_43 Depth 2
                                        ;       Child Loop BB171_44 Depth 3
                                        ;       Child Loop BB171_47 Depth 3
                                        ;         Child Loop BB171_48 Depth 4
                                        ;       Child Loop BB171_52 Depth 3
                                        ;         Child Loop BB171_54 Depth 4
	s_mov_b32 s9, s5
	s_lshl_b64 s[10:11], s[8:9], 2
	s_getpc_b64 s[12:13]
	s_add_u32 s12, s12, __const._ZL30rocblas_trsm_small_left_deviceILi32ELi32ELb1E19rocblas_complex_numIfES1_PKS1_PS1_Ev13rocblas_fill_18rocblas_operation_17rocblas_diagonal_iiT3_T4_lilT5_lili.step_sizes@rel32@lo+4
	s_addc_u32 s13, s13, __const._ZL30rocblas_trsm_small_left_deviceILi32ELi32ELb1E19rocblas_complex_numIfES1_PKS1_PS1_Ev13rocblas_fill_18rocblas_operation_17rocblas_diagonal_iiT3_T4_lilT5_lili.step_sizes@rel32@hi+12
	s_add_u32 s10, s12, s10
	s_addc_u32 s11, s13, s11
	s_load_dword s10, s[10:11], 0x0
	s_waitcnt lgkmcnt(0)
	s_add_i32 s9, s10, -1
	s_add_i32 s4, s9, s6
	s_cmp_ge_i32 s4, s26
	s_cbranch_scc1 .LBB171_39
; %bb.41:                               ;   in Loop: Header=BB171_40 Depth=1
	s_ashr_i32 s7, s6, 31
	s_lshl_b64 s[12:13], s[6:7], 3
	s_ashr_i32 s11, s10, 31
	v_mov_b32_e32 v1, s13
	v_add_co_u32_e32 v0, vcc, s12, v6
	s_lshl_b64 s[12:13], s[10:11], 3
	s_max_i32 s18, s10, 1
	v_addc_co_u32_e32 v1, vcc, v7, v1, vcc
	s_lshl_b32 s7, s6, 3
	s_lshl_b32 s11, s10, 3
	s_mul_i32 s19, s6, 0x108
	s_mul_i32 s20, s10, 0x108
	v_mov_b32_e32 v8, s13
	s_branch .LBB171_43
.LBB171_42:                             ;   in Loop: Header=BB171_43 Depth=2
	s_add_i32 s6, s6, s10
	s_add_i32 s4, s9, s6
	s_add_i32 s7, s7, s11
	s_add_i32 s19, s19, s20
	v_add_co_u32_e32 v0, vcc, s12, v0
	s_cmp_ge_i32 s4, s26
	v_addc_co_u32_e32 v1, vcc, v1, v8, vcc
	s_cbranch_scc1 .LBB171_39
.LBB171_43:                             ;   Parent Loop BB171_40 Depth=1
                                        ; =>  This Loop Header: Depth=2
                                        ;       Child Loop BB171_44 Depth 3
                                        ;       Child Loop BB171_47 Depth 3
                                        ;         Child Loop BB171_48 Depth 4
                                        ;       Child Loop BB171_52 Depth 3
                                        ;         Child Loop BB171_54 Depth 4
	v_mov_b32_e32 v3, v1
	s_mov_b32 s4, 0
	v_mov_b32_e32 v2, v0
	s_mov_b32 s13, s18
.LBB171_44:                             ;   Parent Loop BB171_40 Depth=1
                                        ;     Parent Loop BB171_43 Depth=2
                                        ; =>    This Inner Loop Header: Depth=3
	global_load_dwordx2 v[9:10], v[2:3], off offset:-4
	v_mov_b32_e32 v11, s4
	s_add_i32 s13, s13, -1
	v_add_co_u32_e32 v2, vcc, 8, v2
	s_add_i32 s4, s4, 8
	v_addc_co_u32_e32 v3, vcc, 0, v3, vcc
	s_cmp_eq_u32 s13, 0
	s_waitcnt vmcnt(0)
	v_mul_f32_e32 v12, s17, v10
	v_mul_f32_e32 v10, s16, v10
	v_fma_f32 v12, v9, s16, -v12
	v_fmac_f32_e32 v10, s17, v9
	buffer_store_dword v12, v11, s[0:3], 0 offen
	buffer_store_dword v10, v11, s[0:3], 0 offen offset:4
	s_cbranch_scc0 .LBB171_44
; %bb.45:                               ;   in Loop: Header=BB171_43 Depth=2
	s_cmp_lt_i32 s6, 1
	s_cbranch_scc1 .LBB171_50
; %bb.46:                               ;   in Loop: Header=BB171_43 Depth=2
	s_mov_b32 s4, 0
	s_mov_b32 s13, s7
.LBB171_47:                             ;   Parent Loop BB171_40 Depth=1
                                        ;     Parent Loop BB171_43 Depth=2
                                        ; =>    This Loop Header: Depth=3
                                        ;         Child Loop BB171_48 Depth 4
	s_lshl_b64 s[14:15], s[4:5], 3
	v_mov_b32_e32 v3, s15
	v_add_co_u32_e32 v2, vcc, s14, v4
	v_addc_co_u32_e32 v3, vcc, v5, v3, vcc
	global_load_dwordx2 v[2:3], v[2:3], off
	s_mov_b32 s14, 0
	s_mov_b32 s15, s13
	;; [unrolled: 1-line block ×3, first 2 shown]
.LBB171_48:                             ;   Parent Loop BB171_40 Depth=1
                                        ;     Parent Loop BB171_43 Depth=2
                                        ;       Parent Loop BB171_47 Depth=3
                                        ; =>      This Inner Loop Header: Depth=4
	v_mov_b32_e32 v11, s14
	buffer_load_dword v12, v11, s[0:3], 0 offen
	buffer_load_dword v13, v11, s[0:3], 0 offen offset:4
	v_mov_b32_e32 v9, s15
	ds_read_b64 v[9:10], v9
	s_add_i32 s21, s21, -1
	s_add_i32 s15, s15, 8
	s_add_i32 s14, s14, 8
	s_cmp_eq_u32 s21, 0
	s_waitcnt vmcnt(2) lgkmcnt(0)
	v_mul_f32_e32 v14, v10, v3
	v_mul_f32_e32 v10, v10, v2
	v_fma_f32 v14, v9, v2, -v14
	v_fmac_f32_e32 v10, v9, v3
	s_waitcnt vmcnt(1)
	v_sub_f32_e32 v9, v12, v14
	s_waitcnt vmcnt(0)
	v_sub_f32_e32 v10, v13, v10
	buffer_store_dword v9, v11, s[0:3], 0 offen
	buffer_store_dword v10, v11, s[0:3], 0 offen offset:4
	s_cbranch_scc0 .LBB171_48
; %bb.49:                               ;   in Loop: Header=BB171_47 Depth=3
	s_add_i32 s4, s4, 1
	s_addk_i32 s13, 0x100
	s_cmp_eq_u32 s4, s6
	s_cbranch_scc0 .LBB171_47
.LBB171_50:                             ;   in Loop: Header=BB171_43 Depth=2
	s_mov_b32 s4, 0
	s_mov_b32 s13, s19
	s_branch .LBB171_52
.LBB171_51:                             ;   in Loop: Header=BB171_52 Depth=3
	s_add_i32 s14, s4, s6
	s_mul_i32 s15, s14, 0x108
	v_mov_b32_e32 v9, s15
	ds_read_b64 v[9:10], v9
	s_lshl_b32 s15, s4, 3
	v_mov_b32_e32 v13, s15
	s_ashr_i32 s15, s14, 31
	s_lshl_b64 s[14:15], s[14:15], 3
	s_waitcnt vmcnt(0) lgkmcnt(0)
	v_mul_f32_e32 v11, v10, v3
	v_mul_f32_e32 v12, v9, v3
	v_fma_f32 v11, v9, v2, -v11
	v_fmac_f32_e32 v12, v10, v2
	v_mov_b32_e32 v3, s15
	v_add_co_u32_e32 v2, vcc, s14, v4
	s_add_i32 s4, s4, 1
	s_add_i32 s13, s13, 8
	v_addc_co_u32_e32 v3, vcc, v5, v3, vcc
	s_cmp_eq_u32 s4, s18
	buffer_store_dword v11, v13, s[0:3], 0 offen
	buffer_store_dword v12, v13, s[0:3], 0 offen offset:4
	global_store_dwordx2 v[2:3], v[11:12], off
	s_cbranch_scc1 .LBB171_42
.LBB171_52:                             ;   Parent Loop BB171_40 Depth=1
                                        ;     Parent Loop BB171_43 Depth=2
                                        ; =>    This Loop Header: Depth=3
                                        ;         Child Loop BB171_54 Depth 4
	s_cmp_lg_u32 s4, 0
	s_cbranch_scc0 .LBB171_56
; %bb.53:                               ;   in Loop: Header=BB171_52 Depth=3
	s_lshl_b32 s14, s4, 3
	v_mov_b32_e32 v9, s14
	buffer_load_dword v2, v9, s[0:3], 0 offen
	buffer_load_dword v3, v9, s[0:3], 0 offen offset:4
	s_mov_b32 s14, 0
	s_mov_b32 s15, s13
	;; [unrolled: 1-line block ×3, first 2 shown]
.LBB171_54:                             ;   Parent Loop BB171_40 Depth=1
                                        ;     Parent Loop BB171_43 Depth=2
                                        ;       Parent Loop BB171_52 Depth=3
                                        ; =>      This Inner Loop Header: Depth=4
	v_mov_b32_e32 v10, s14
	buffer_load_dword v12, v10, s[0:3], 0 offen offset:4
	buffer_load_dword v13, v10, s[0:3], 0 offen
	v_mov_b32_e32 v10, s15
	ds_read_b64 v[10:11], v10
	s_add_i32 s21, s21, -1
	s_addk_i32 s15, 0x100
	s_add_i32 s14, s14, 8
	s_cmp_eq_u32 s21, 0
	s_waitcnt vmcnt(1) lgkmcnt(0)
	v_mul_f32_e32 v14, v11, v12
	v_mul_f32_e32 v12, v10, v12
	s_waitcnt vmcnt(0)
	v_fma_f32 v10, v10, v13, -v14
	v_fmac_f32_e32 v12, v11, v13
	v_sub_f32_e32 v2, v2, v10
	v_sub_f32_e32 v3, v3, v12
	buffer_store_dword v2, v9, s[0:3], 0 offen
	buffer_store_dword v3, v9, s[0:3], 0 offen offset:4
	s_cbranch_scc0 .LBB171_54
; %bb.55:                               ;   in Loop: Header=BB171_52 Depth=3
	s_branch .LBB171_51
.LBB171_56:                             ;   in Loop: Header=BB171_52 Depth=3
                                        ; implicit-def: $vgpr2
                                        ; implicit-def: $vgpr3
	s_cbranch_execz .LBB171_51
; %bb.57:                               ;   in Loop: Header=BB171_52 Depth=3
	buffer_load_dword v2, off, s[0:3], 0
	buffer_load_dword v3, off, s[0:3], 0 offset:4
	s_branch .LBB171_51
.LBB171_58:
	s_endpgm
	.section	.rodata,"a",@progbits
	.p2align	6, 0x0
	.amdhsa_kernel _ZL30rocblas_trsm_small_left_deviceILi32ELi32ELb1E19rocblas_complex_numIfES1_PKS1_PS1_Ev13rocblas_fill_18rocblas_operation_17rocblas_diagonal_iiT3_T4_lilT5_lili
		.amdhsa_group_segment_fixed_size 8192
		.amdhsa_private_segment_fixed_size 272
		.amdhsa_kernarg_size 360
		.amdhsa_user_sgpr_count 6
		.amdhsa_user_sgpr_private_segment_buffer 1
		.amdhsa_user_sgpr_dispatch_ptr 0
		.amdhsa_user_sgpr_queue_ptr 0
		.amdhsa_user_sgpr_kernarg_segment_ptr 1
		.amdhsa_user_sgpr_dispatch_id 0
		.amdhsa_user_sgpr_flat_scratch_init 0
		.amdhsa_user_sgpr_private_segment_size 0
		.amdhsa_uses_dynamic_stack 0
		.amdhsa_system_sgpr_private_segment_wavefront_offset 1
		.amdhsa_system_sgpr_workgroup_id_x 1
		.amdhsa_system_sgpr_workgroup_id_y 0
		.amdhsa_system_sgpr_workgroup_id_z 1
		.amdhsa_system_sgpr_workgroup_info 0
		.amdhsa_system_vgpr_workitem_id 0
		.amdhsa_next_free_vgpr 85
		.amdhsa_next_free_sgpr 98
		.amdhsa_reserve_vcc 1
		.amdhsa_reserve_flat_scratch 0
		.amdhsa_float_round_mode_32 0
		.amdhsa_float_round_mode_16_64 0
		.amdhsa_float_denorm_mode_32 3
		.amdhsa_float_denorm_mode_16_64 3
		.amdhsa_dx10_clamp 1
		.amdhsa_ieee_mode 1
		.amdhsa_fp16_overflow 0
		.amdhsa_exception_fp_ieee_invalid_op 0
		.amdhsa_exception_fp_denorm_src 0
		.amdhsa_exception_fp_ieee_div_zero 0
		.amdhsa_exception_fp_ieee_overflow 0
		.amdhsa_exception_fp_ieee_underflow 0
		.amdhsa_exception_fp_ieee_inexact 0
		.amdhsa_exception_int_div_zero 0
	.end_amdhsa_kernel
	.section	.text._ZL30rocblas_trsm_small_left_deviceILi32ELi32ELb1E19rocblas_complex_numIfES1_PKS1_PS1_Ev13rocblas_fill_18rocblas_operation_17rocblas_diagonal_iiT3_T4_lilT5_lili,"axG",@progbits,_ZL30rocblas_trsm_small_left_deviceILi32ELi32ELb1E19rocblas_complex_numIfES1_PKS1_PS1_Ev13rocblas_fill_18rocblas_operation_17rocblas_diagonal_iiT3_T4_lilT5_lili,comdat
.Lfunc_end171:
	.size	_ZL30rocblas_trsm_small_left_deviceILi32ELi32ELb1E19rocblas_complex_numIfES1_PKS1_PS1_Ev13rocblas_fill_18rocblas_operation_17rocblas_diagonal_iiT3_T4_lilT5_lili, .Lfunc_end171-_ZL30rocblas_trsm_small_left_deviceILi32ELi32ELb1E19rocblas_complex_numIfES1_PKS1_PS1_Ev13rocblas_fill_18rocblas_operation_17rocblas_diagonal_iiT3_T4_lilT5_lili
                                        ; -- End function
	.set _ZL30rocblas_trsm_small_left_deviceILi32ELi32ELb1E19rocblas_complex_numIfES1_PKS1_PS1_Ev13rocblas_fill_18rocblas_operation_17rocblas_diagonal_iiT3_T4_lilT5_lili.num_vgpr, 15
	.set _ZL30rocblas_trsm_small_left_deviceILi32ELi32ELb1E19rocblas_complex_numIfES1_PKS1_PS1_Ev13rocblas_fill_18rocblas_operation_17rocblas_diagonal_iiT3_T4_lilT5_lili.num_agpr, 0
	.set _ZL30rocblas_trsm_small_left_deviceILi32ELi32ELb1E19rocblas_complex_numIfES1_PKS1_PS1_Ev13rocblas_fill_18rocblas_operation_17rocblas_diagonal_iiT3_T4_lilT5_lili.numbered_sgpr, 35
	.set _ZL30rocblas_trsm_small_left_deviceILi32ELi32ELb1E19rocblas_complex_numIfES1_PKS1_PS1_Ev13rocblas_fill_18rocblas_operation_17rocblas_diagonal_iiT3_T4_lilT5_lili.num_named_barrier, 0
	.set _ZL30rocblas_trsm_small_left_deviceILi32ELi32ELb1E19rocblas_complex_numIfES1_PKS1_PS1_Ev13rocblas_fill_18rocblas_operation_17rocblas_diagonal_iiT3_T4_lilT5_lili.private_seg_size, 272
	.set _ZL30rocblas_trsm_small_left_deviceILi32ELi32ELb1E19rocblas_complex_numIfES1_PKS1_PS1_Ev13rocblas_fill_18rocblas_operation_17rocblas_diagonal_iiT3_T4_lilT5_lili.uses_vcc, 1
	.set _ZL30rocblas_trsm_small_left_deviceILi32ELi32ELb1E19rocblas_complex_numIfES1_PKS1_PS1_Ev13rocblas_fill_18rocblas_operation_17rocblas_diagonal_iiT3_T4_lilT5_lili.uses_flat_scratch, 0
	.set _ZL30rocblas_trsm_small_left_deviceILi32ELi32ELb1E19rocblas_complex_numIfES1_PKS1_PS1_Ev13rocblas_fill_18rocblas_operation_17rocblas_diagonal_iiT3_T4_lilT5_lili.has_dyn_sized_stack, 0
	.set _ZL30rocblas_trsm_small_left_deviceILi32ELi32ELb1E19rocblas_complex_numIfES1_PKS1_PS1_Ev13rocblas_fill_18rocblas_operation_17rocblas_diagonal_iiT3_T4_lilT5_lili.has_recursion, 0
	.set _ZL30rocblas_trsm_small_left_deviceILi32ELi32ELb1E19rocblas_complex_numIfES1_PKS1_PS1_Ev13rocblas_fill_18rocblas_operation_17rocblas_diagonal_iiT3_T4_lilT5_lili.has_indirect_call, 0
	.section	.AMDGPU.csdata,"",@progbits
; Kernel info:
; codeLenInByte = 2512
; TotalNumSgprs: 39
; NumVgprs: 15
; ScratchSize: 272
; MemoryBound: 0
; FloatMode: 240
; IeeeMode: 1
; LDSByteSize: 8192 bytes/workgroup (compile time only)
; SGPRBlocks: 12
; VGPRBlocks: 21
; NumSGPRsForWavesPerEU: 102
; NumVGPRsForWavesPerEU: 85
; Occupancy: 2
; WaveLimiterHint : 0
; COMPUTE_PGM_RSRC2:SCRATCH_EN: 1
; COMPUTE_PGM_RSRC2:USER_SGPR: 6
; COMPUTE_PGM_RSRC2:TRAP_HANDLER: 0
; COMPUTE_PGM_RSRC2:TGID_X_EN: 1
; COMPUTE_PGM_RSRC2:TGID_Y_EN: 0
; COMPUTE_PGM_RSRC2:TGID_Z_EN: 1
; COMPUTE_PGM_RSRC2:TIDIG_COMP_CNT: 0
	.section	.text._ZL31rocblas_trsm_small_right_deviceI19rocblas_complex_numIfES1_PKS1_PS1_Li32EEv13rocblas_fill_18rocblas_operation_17rocblas_diagonal_iiT0_T1_lilT2_lili,"axG",@progbits,_ZL31rocblas_trsm_small_right_deviceI19rocblas_complex_numIfES1_PKS1_PS1_Li32EEv13rocblas_fill_18rocblas_operation_17rocblas_diagonal_iiT0_T1_lilT2_lili,comdat
	.globl	_ZL31rocblas_trsm_small_right_deviceI19rocblas_complex_numIfES1_PKS1_PS1_Li32EEv13rocblas_fill_18rocblas_operation_17rocblas_diagonal_iiT0_T1_lilT2_lili ; -- Begin function _ZL31rocblas_trsm_small_right_deviceI19rocblas_complex_numIfES1_PKS1_PS1_Li32EEv13rocblas_fill_18rocblas_operation_17rocblas_diagonal_iiT0_T1_lilT2_lili
	.p2align	8
	.type	_ZL31rocblas_trsm_small_right_deviceI19rocblas_complex_numIfES1_PKS1_PS1_Li32EEv13rocblas_fill_18rocblas_operation_17rocblas_diagonal_iiT0_T1_lilT2_lili,@function
_ZL31rocblas_trsm_small_right_deviceI19rocblas_complex_numIfES1_PKS1_PS1_Li32EEv13rocblas_fill_18rocblas_operation_17rocblas_diagonal_iiT0_T1_lilT2_lili: ; @_ZL31rocblas_trsm_small_right_deviceI19rocblas_complex_numIfES1_PKS1_PS1_Li32EEv13rocblas_fill_18rocblas_operation_17rocblas_diagonal_iiT0_T1_lilT2_lili
; %bb.0:
	s_load_dwordx8 s[8:15], s[4:5], 0x0
	s_load_dwordx4 s[0:3], s[4:5], 0x38
	s_load_dwordx2 s[16:17], s[4:5], 0x48
	s_waitcnt lgkmcnt(0)
	s_min_i32 s24, s12, 32
	v_cmp_gt_i32_e32 vcc, s24, v0
	s_and_saveexec_b64 s[18:19], vcc
	s_cbranch_execz .LBB172_9
; %bb.1:
	s_load_dword s22, s[4:5], 0x30
	s_load_dwordx4 s[28:31], s[4:5], 0x20
	s_mul_i32 s1, s1, s7
	s_mul_hi_u32 s15, s0, s7
	s_mul_i32 s0, s0, s7
	s_waitcnt lgkmcnt(0)
	s_ashr_i32 s23, s22, 31
	s_cmpk_lg_i32 s9, 0x71
	s_cselect_b64 s[20:21], -1, 0
	s_add_i32 s1, s15, s1
	s_lshl_b64 s[0:1], s[0:1], 3
	s_lshl_b64 s[26:27], s[30:31], 3
	s_add_u32 s0, s0, s26
	s_addc_u32 s1, s1, s27
	s_add_u32 s0, s28, s0
	v_lshlrev_b32_e32 v5, 3, v0
	s_addc_u32 s1, s29, s1
	v_mov_b32_e32 v1, s1
	v_add_co_u32_e32 v2, vcc, s0, v5
	v_addc_co_u32_e32 v3, vcc, 0, v1, vcc
	v_add_co_u32_e32 v1, vcc, 4, v2
	s_lshl_b64 s[0:1], s[22:23], 3
	v_addc_co_u32_e32 v2, vcc, 0, v3, vcc
	v_mov_b32_e32 v6, s1
	v_mov_b32_e32 v7, v5
	s_mov_b32 s1, s24
	s_branch .LBB172_3
.LBB172_2:                              ;   in Loop: Header=BB172_3 Depth=1
	global_load_dword v3, v[1:2], off offset:-4
	s_add_i32 s1, s1, -1
	v_add_co_u32_e32 v1, vcc, s0, v1
	v_addc_co_u32_e32 v2, vcc, v2, v6, vcc
	s_cmp_eq_u32 s1, 0
	s_waitcnt vmcnt(0)
	ds_write_b64 v7, v[3:4]
	v_add_u32_e32 v7, 0x100, v7
	s_cbranch_scc1 .LBB172_7
.LBB172_3:                              ; =>This Inner Loop Header: Depth=1
	s_mov_b64 s[22:23], -1
	s_and_b64 vcc, exec, s[20:21]
                                        ; implicit-def: $vgpr4
	s_cbranch_vccz .LBB172_5
; %bb.4:                                ;   in Loop: Header=BB172_3 Depth=1
	global_load_dword v4, v[1:2], off
	s_mov_b64 s[22:23], 0
.LBB172_5:                              ;   in Loop: Header=BB172_3 Depth=1
	s_andn2_b64 vcc, exec, s[22:23]
	s_cbranch_vccnz .LBB172_2
; %bb.6:                                ;   in Loop: Header=BB172_3 Depth=1
	global_load_dword v3, v[1:2], off
	s_waitcnt vmcnt(0)
	v_xor_b32_e32 v4, 0x80000000, v3
	s_branch .LBB172_2
.LBB172_7:
	s_cmpk_eq_i32 s10, 0x84
	s_cbranch_scc0 .LBB172_9
; %bb.8:
	v_lshl_or_b32 v3, v0, 8, v5
	v_mov_b32_e32 v1, 1.0
	v_mov_b32_e32 v2, 0
	ds_write_b64 v3, v[1:2]
.LBB172_9:
	s_or_b64 exec, exec, s[18:19]
	s_load_dword s0, s[4:5], 0x68
	s_load_dwordx2 s[18:19], s[4:5], 0x58
	s_load_dword s10, s[4:5], 0x50
	s_waitcnt lgkmcnt(0)
	s_add_i32 s0, s0, -1
	s_mul_i32 s1, s19, s7
	s_mul_hi_u32 s5, s18, s7
	s_add_i32 s5, s5, s1
	s_lshl_b32 s1, s6, 5
	s_sub_i32 s1, s11, s1
	s_cmp_ge_u32 s6, s0
	s_mul_i32 s4, s18, s7
	s_cselect_b32 s0, s1, 32
	s_ashr_i32 s7, s6, 31
	s_lshl_b64 s[6:7], s[6:7], 8
	v_cmp_gt_i32_e64 s[0:1], s0, v0
	s_and_saveexec_b64 s[18:19], s[0:1]
	s_cbranch_execz .LBB172_13
; %bb.10:
	s_cmp_lt_i32 s12, 1
	s_cbranch_scc1 .LBB172_13
; %bb.11:
	s_ashr_i32 s11, s10, 31
	s_lshl_b64 s[20:21], s[4:5], 3
	s_add_u32 s15, s20, s6
	s_addc_u32 s22, s21, s7
	s_lshl_b64 s[20:21], s[16:17], 3
	s_add_u32 s15, s15, s20
	s_addc_u32 s20, s22, s21
	s_add_u32 s15, s2, s15
	v_lshlrev_b32_e32 v3, 3, v0
	s_addc_u32 s20, s3, s20
	v_mov_b32_e32 v1, s20
	v_add_co_u32_e32 v2, vcc, s15, v3
	v_addc_co_u32_e32 v4, vcc, 0, v1, vcc
	v_add_co_u32_e32 v1, vcc, 4, v2
	s_lshl_b64 s[20:21], s[10:11], 3
	v_addc_co_u32_e32 v2, vcc, 0, v4, vcc
	v_or_b32_e32 v3, 0x2000, v3
	v_mov_b32_e32 v4, s21
	s_mov_b32 s11, s12
.LBB172_12:                             ; =>This Inner Loop Header: Depth=1
	global_load_dwordx2 v[5:6], v[1:2], off offset:-4
	s_add_i32 s11, s11, -1
	v_add_co_u32_e32 v1, vcc, s20, v1
	v_addc_co_u32_e32 v2, vcc, v2, v4, vcc
	s_cmp_lg_u32 s11, 0
	s_waitcnt vmcnt(0)
	v_mul_f32_e32 v8, s14, v6
	v_mul_f32_e32 v7, s13, v6
	v_fma_f32 v6, s13, v5, -v8
	v_fmac_f32_e32 v7, s14, v5
	ds_write_b64 v3, v[6:7]
	v_add_u32_e32 v3, 0x100, v3
	s_cbranch_scc1 .LBB172_12
.LBB172_13:
	s_or_b64 exec, exec, s[18:19]
	s_cmpk_eq_i32 s9, 0x6f
	s_cselect_b64 s[18:19], -1, 0
	s_cmpk_lg_i32 s8, 0x79
	s_cselect_b64 s[14:15], -1, 0
	s_cmpk_eq_i32 s8, 0x79
	s_cselect_b64 s[20:21], -1, 0
	s_and_b64 s[20:21], s[20:21], s[18:19]
	s_andn2_b64 vcc, exec, s[20:21]
	s_mov_b64 s[20:21], -1
	s_waitcnt lgkmcnt(0)
	; wave barrier
	s_cbranch_vccz .LBB172_114
; %bb.14:
	s_cmpk_lg_i32 s8, 0x7a
	s_cselect_b64 s[8:9], -1, 0
	s_xor_b64 s[18:19], s[18:19], -1
	s_add_i32 s11, s24, -1
	s_or_b64 s[18:19], s[8:9], s[18:19]
	v_mov_b32_e32 v1, 0x2000
	s_cmp_gt_i32 s12, 3
	v_lshl_or_b32 v13, v0, 3, v1
	s_cselect_b64 s[8:9], -1, 0
	s_and_b64 vcc, exec, s[18:19]
	s_cbranch_vccz .LBB172_81
; %bb.15:
	s_andn2_b64 vcc, exec, s[14:15]
	s_mov_b64 s[14:15], -1
	s_cbranch_vccnz .LBB172_48
; %bb.16:
	s_andn2_b64 vcc, exec, s[8:9]
	s_mov_b32 s19, 0
	s_cbranch_vccnz .LBB172_38
; %bb.17:
	v_mov_b32_e32 v1, 0x2000
	v_lshl_or_b32 v14, v0, 3, v1
	s_mov_b32 s13, 0
	s_mov_b32 s18, 0
.LBB172_18:                             ; =>This Loop Header: Depth=1
                                        ;     Child Loop BB172_19 Depth 2
	s_lshl_b32 s14, s18, 8
	v_add_u32_e32 v18, s14, v13
	s_or_b32 s21, s18, 1
	s_or_b32 s19, s18, 2
	;; [unrolled: 1-line block ×3, first 2 shown]
	v_lshl_add_u32 v17, s21, 8, v13
	v_lshl_add_u32 v16, s19, 8, v13
	v_add_u32_e32 v15, s15, v13
	ds_read_b64 v[1:2], v18
	ds_read_b64 v[11:12], v17
	;; [unrolled: 1-line block ×4, first 2 shown]
	s_cmp_eq_u32 s18, 0
	v_mov_b32_e32 v3, v14
	s_mov_b32 s15, s13
	s_mov_b32 s20, s18
	s_cbranch_scc1 .LBB172_20
.LBB172_19:                             ;   Parent Loop BB172_18 Depth=1
                                        ; =>  This Inner Loop Header: Depth=2
	v_mov_b32_e32 v4, s15
	ds_read_b64 v[9:10], v3
	ds_read_b128 v[19:22], v4
	ds_read_b128 v[23:26], v4 offset:16
	s_add_i32 s20, s20, -1
	s_addk_i32 s15, 0x100
	v_add_u32_e32 v3, 0x100, v3
	s_waitcnt lgkmcnt(1)
	v_mul_f32_e32 v4, v20, v10
	v_mul_f32_e32 v27, v19, v10
	;; [unrolled: 1-line block ×4, first 2 shown]
	s_waitcnt lgkmcnt(0)
	v_mul_f32_e32 v29, v24, v10
	v_mul_f32_e32 v24, v24, v9
	;; [unrolled: 1-line block ×4, first 2 shown]
	v_fma_f32 v4, v19, v9, -v4
	v_fmac_f32_e32 v27, v20, v9
	v_fma_f32 v19, v21, v9, -v28
	v_fmac_f32_e32 v22, v21, v10
	;; [unrolled: 2-line block ×4, first 2 shown]
	s_cmp_eq_u32 s20, 0
	v_sub_f32_e32 v1, v1, v4
	v_sub_f32_e32 v2, v2, v27
	;; [unrolled: 1-line block ×8, first 2 shown]
	s_cbranch_scc0 .LBB172_19
.LBB172_20:                             ;   in Loop: Header=BB172_18 Depth=1
	s_lshl_b32 s20, s18, 3
	s_add_i32 s22, s20, s14
	v_mov_b32_e32 v3, s22
	ds_read_b64 v[3:4], v3
	s_mov_b64 s[14:15], -1
                                        ; implicit-def: $vgpr10
	s_waitcnt lgkmcnt(0)
	v_cmp_ngt_f32_e64 s[26:27], |v3|, |v4|
	s_and_b64 vcc, exec, s[26:27]
	s_cbranch_vccz .LBB172_22
; %bb.21:                               ;   in Loop: Header=BB172_18 Depth=1
	v_div_scale_f32 v9, s[14:15], v4, v4, v3
	v_div_scale_f32 v10, vcc, v3, v4, v3
	v_rcp_f32_e32 v19, v9
	v_fma_f32 v20, -v9, v19, 1.0
	v_fmac_f32_e32 v19, v20, v19
	v_mul_f32_e32 v20, v10, v19
	v_fma_f32 v21, -v9, v20, v10
	v_fmac_f32_e32 v20, v21, v19
	v_fma_f32 v9, -v9, v20, v10
	v_div_fmas_f32 v9, v9, v19, v20
	v_div_fixup_f32 v9, v9, v4, v3
	v_fma_f32 v10, v3, v9, v4
	v_div_scale_f32 v19, s[14:15], v10, v10, 1.0
	v_div_scale_f32 v20, vcc, 1.0, v10, 1.0
	s_mov_b64 s[14:15], 0
	v_rcp_f32_e32 v21, v19
	v_fma_f32 v22, -v19, v21, 1.0
	v_fmac_f32_e32 v21, v22, v21
	v_mul_f32_e32 v22, v20, v21
	v_fma_f32 v23, -v19, v22, v20
	v_fmac_f32_e32 v22, v23, v21
	v_fma_f32 v19, -v19, v22, v20
	v_div_fmas_f32 v19, v19, v21, v22
	v_fma_f32 v20, v1, v9, v2
	v_fma_f32 v21, v2, v9, -v1
	v_div_fixup_f32 v10, v19, v10, 1.0
	v_mul_f32_e32 v9, v20, v10
	v_mul_f32_e32 v10, v21, v10
.LBB172_22:                             ;   in Loop: Header=BB172_18 Depth=1
	s_andn2_b64 vcc, exec, s[14:15]
	s_cbranch_vccnz .LBB172_24
; %bb.23:                               ;   in Loop: Header=BB172_18 Depth=1
	v_div_scale_f32 v9, s[14:15], v3, v3, v4
	v_div_scale_f32 v10, vcc, v4, v3, v4
	v_rcp_f32_e32 v19, v9
	v_fma_f32 v20, -v9, v19, 1.0
	v_fmac_f32_e32 v19, v20, v19
	v_mul_f32_e32 v20, v10, v19
	v_fma_f32 v21, -v9, v20, v10
	v_fmac_f32_e32 v20, v21, v19
	v_fma_f32 v9, -v9, v20, v10
	v_div_fmas_f32 v9, v9, v19, v20
	v_div_fixup_f32 v9, v9, v3, v4
	v_fmac_f32_e32 v3, v4, v9
	v_div_scale_f32 v4, s[14:15], v3, v3, 1.0
	v_div_scale_f32 v10, vcc, 1.0, v3, 1.0
	v_rcp_f32_e32 v19, v4
	v_fma_f32 v20, -v4, v19, 1.0
	v_fmac_f32_e32 v19, v20, v19
	v_mul_f32_e32 v20, v10, v19
	v_fma_f32 v21, -v4, v20, v10
	v_fmac_f32_e32 v20, v21, v19
	v_fma_f32 v4, -v4, v20, v10
	v_div_fmas_f32 v4, v4, v19, v20
	v_fma_f32 v10, v2, v9, v1
	v_fma_f32 v1, -v1, v9, v2
	v_div_fixup_f32 v2, v4, v3, 1.0
	v_mul_f32_e32 v9, v10, v2
	v_mul_f32_e32 v10, v1, v2
.LBB172_24:                             ;   in Loop: Header=BB172_18 Depth=1
	v_mov_b32_e32 v1, s22
	ds_read2_b64 v[1:4], v1 offset0:1 offset1:33
	ds_write_b64 v18, v[9:10]
	s_mov_b64 s[14:15], -1
	s_waitcnt lgkmcnt(1)
	v_mul_f32_e32 v18, v10, v2
	v_mul_f32_e32 v2, v9, v2
	v_fma_f32 v18, v9, v1, -v18
	v_fmac_f32_e32 v2, v10, v1
	v_cmp_ngt_f32_e64 s[26:27], |v3|, |v4|
	v_sub_f32_e32 v1, v11, v18
	v_sub_f32_e32 v2, v12, v2
	s_and_b64 vcc, exec, s[26:27]
                                        ; implicit-def: $vgpr12
	s_cbranch_vccz .LBB172_26
; %bb.25:                               ;   in Loop: Header=BB172_18 Depth=1
	v_div_scale_f32 v11, s[14:15], v4, v4, v3
	v_div_scale_f32 v12, vcc, v3, v4, v3
	v_rcp_f32_e32 v18, v11
	v_fma_f32 v19, -v11, v18, 1.0
	v_fmac_f32_e32 v18, v19, v18
	v_mul_f32_e32 v19, v12, v18
	v_fma_f32 v20, -v11, v19, v12
	v_fmac_f32_e32 v19, v20, v18
	v_fma_f32 v11, -v11, v19, v12
	v_div_fmas_f32 v11, v11, v18, v19
	v_div_fixup_f32 v11, v11, v4, v3
	v_fma_f32 v12, v3, v11, v4
	v_div_scale_f32 v18, s[14:15], v12, v12, 1.0
	v_div_scale_f32 v19, vcc, 1.0, v12, 1.0
	s_mov_b64 s[14:15], 0
	v_rcp_f32_e32 v20, v18
	v_fma_f32 v21, -v18, v20, 1.0
	v_fmac_f32_e32 v20, v21, v20
	v_mul_f32_e32 v21, v19, v20
	v_fma_f32 v22, -v18, v21, v19
	v_fmac_f32_e32 v21, v22, v20
	v_fma_f32 v18, -v18, v21, v19
	v_div_fmas_f32 v18, v18, v20, v21
	v_fma_f32 v19, v11, v1, v2
	v_fma_f32 v20, v11, v2, -v1
	v_div_fixup_f32 v12, v18, v12, 1.0
	v_mul_f32_e32 v11, v19, v12
	v_mul_f32_e32 v12, v20, v12
.LBB172_26:                             ;   in Loop: Header=BB172_18 Depth=1
	s_andn2_b64 vcc, exec, s[14:15]
	s_cbranch_vccnz .LBB172_28
; %bb.27:                               ;   in Loop: Header=BB172_18 Depth=1
	v_div_scale_f32 v11, s[14:15], v3, v3, v4
	v_div_scale_f32 v12, vcc, v4, v3, v4
	v_rcp_f32_e32 v18, v11
	v_fma_f32 v19, -v11, v18, 1.0
	v_fmac_f32_e32 v18, v19, v18
	v_mul_f32_e32 v19, v12, v18
	v_fma_f32 v20, -v11, v19, v12
	v_fmac_f32_e32 v19, v20, v18
	v_fma_f32 v11, -v11, v19, v12
	v_div_fmas_f32 v11, v11, v18, v19
	v_div_fixup_f32 v11, v11, v3, v4
	v_fmac_f32_e32 v3, v4, v11
	v_div_scale_f32 v4, s[14:15], v3, v3, 1.0
	v_div_scale_f32 v12, vcc, 1.0, v3, 1.0
	v_rcp_f32_e32 v18, v4
	v_fma_f32 v19, -v4, v18, 1.0
	v_fmac_f32_e32 v18, v19, v18
	v_mul_f32_e32 v19, v12, v18
	v_fma_f32 v20, -v4, v19, v12
	v_fmac_f32_e32 v19, v20, v18
	v_fma_f32 v4, -v4, v19, v12
	v_div_fmas_f32 v4, v4, v18, v19
	v_fma_f32 v12, v11, v2, v1
	v_fma_f32 v1, -v11, v1, v2
	v_div_fixup_f32 v2, v4, v3, 1.0
	v_mul_f32_e32 v11, v12, v2
	v_mul_f32_e32 v12, v1, v2
.LBB172_28:                             ;   in Loop: Header=BB172_18 Depth=1
	v_mov_b32_e32 v1, s22
	ds_read2_b64 v[1:4], v1 offset0:2 offset1:66
	s_add_i32 s23, s22, 0x108
	s_lshl_b32 s14, s21, 3
	s_sub_i32 s21, s23, s14
	ds_write_b64 v17, v[11:12]
	s_waitcnt lgkmcnt(1)
	v_mul_f32_e32 v17, v10, v2
	s_add_i32 s21, s21, s20
	v_fma_f32 v19, v9, v1, -v17
	v_mov_b32_e32 v17, s21
	ds_read_b64 v[17:18], v17 offset:16
	v_mul_f32_e32 v2, v9, v2
	v_fmac_f32_e32 v2, v10, v1
	v_sub_f32_e32 v1, v7, v19
	v_sub_f32_e32 v2, v8, v2
	s_waitcnt lgkmcnt(0)
	v_mul_f32_e32 v7, v12, v18
	v_mul_f32_e32 v8, v11, v18
	v_fma_f32 v7, v11, v17, -v7
	v_fmac_f32_e32 v8, v12, v17
	v_cmp_ngt_f32_e64 s[26:27], |v3|, |v4|
	v_sub_f32_e32 v1, v1, v7
	v_sub_f32_e32 v2, v2, v8
	s_mov_b64 s[14:15], -1
	s_and_b64 vcc, exec, s[26:27]
                                        ; implicit-def: $vgpr8
	s_cbranch_vccz .LBB172_30
; %bb.29:                               ;   in Loop: Header=BB172_18 Depth=1
	v_div_scale_f32 v7, s[14:15], v4, v4, v3
	v_div_scale_f32 v8, vcc, v3, v4, v3
	v_rcp_f32_e32 v17, v7
	v_fma_f32 v18, -v7, v17, 1.0
	v_fmac_f32_e32 v17, v18, v17
	v_mul_f32_e32 v18, v8, v17
	v_fma_f32 v19, -v7, v18, v8
	v_fmac_f32_e32 v18, v19, v17
	v_fma_f32 v7, -v7, v18, v8
	v_div_fmas_f32 v7, v7, v17, v18
	v_div_fixup_f32 v7, v7, v4, v3
	v_fma_f32 v8, v3, v7, v4
	v_div_scale_f32 v17, s[14:15], v8, v8, 1.0
	v_div_scale_f32 v18, vcc, 1.0, v8, 1.0
	s_mov_b64 s[14:15], 0
	v_rcp_f32_e32 v19, v17
	v_fma_f32 v20, -v17, v19, 1.0
	v_fmac_f32_e32 v19, v20, v19
	v_mul_f32_e32 v20, v18, v19
	v_fma_f32 v21, -v17, v20, v18
	v_fmac_f32_e32 v20, v21, v19
	v_fma_f32 v17, -v17, v20, v18
	v_div_fmas_f32 v17, v17, v19, v20
	v_fma_f32 v18, v7, v1, v2
	v_fma_f32 v19, v7, v2, -v1
	v_div_fixup_f32 v8, v17, v8, 1.0
	v_mul_f32_e32 v7, v18, v8
	v_mul_f32_e32 v8, v19, v8
.LBB172_30:                             ;   in Loop: Header=BB172_18 Depth=1
	s_andn2_b64 vcc, exec, s[14:15]
	s_cbranch_vccnz .LBB172_32
; %bb.31:                               ;   in Loop: Header=BB172_18 Depth=1
	v_div_scale_f32 v7, s[14:15], v3, v3, v4
	v_div_scale_f32 v8, vcc, v4, v3, v4
	v_rcp_f32_e32 v17, v7
	v_fma_f32 v18, -v7, v17, 1.0
	v_fmac_f32_e32 v17, v18, v17
	v_mul_f32_e32 v18, v8, v17
	v_fma_f32 v19, -v7, v18, v8
	v_fmac_f32_e32 v18, v19, v17
	v_fma_f32 v7, -v7, v18, v8
	v_div_fmas_f32 v7, v7, v17, v18
	v_div_fixup_f32 v7, v7, v3, v4
	v_fmac_f32_e32 v3, v4, v7
	v_div_scale_f32 v4, s[14:15], v3, v3, 1.0
	v_div_scale_f32 v8, vcc, 1.0, v3, 1.0
	v_rcp_f32_e32 v17, v4
	v_fma_f32 v18, -v4, v17, 1.0
	v_fmac_f32_e32 v17, v18, v17
	v_mul_f32_e32 v18, v8, v17
	v_fma_f32 v19, -v4, v18, v8
	v_fmac_f32_e32 v18, v19, v17
	v_fma_f32 v4, -v4, v18, v8
	v_div_fmas_f32 v4, v4, v17, v18
	v_fma_f32 v8, v7, v2, v1
	v_fma_f32 v1, -v7, v1, v2
	v_div_fixup_f32 v2, v4, v3, 1.0
	v_mul_f32_e32 v7, v8, v2
	v_mul_f32_e32 v8, v1, v2
.LBB172_32:                             ;   in Loop: Header=BB172_18 Depth=1
	v_mov_b32_e32 v1, s22
	ds_read2_b64 v[1:4], v1 offset0:3 offset1:99
	s_lshl_b32 s14, s19, 3
	ds_write_b64 v16, v[7:8]
	s_sub_i32 s14, s23, s14
	s_add_i32 s14, s14, s20
	s_waitcnt lgkmcnt(1)
	v_mul_f32_e32 v16, v10, v2
	v_mul_f32_e32 v17, v9, v2
	v_fma_f32 v2, v9, v1, -v16
	v_fmac_f32_e32 v17, v10, v1
	v_mov_b32_e32 v1, s21
	v_sub_f32_e32 v9, v5, v2
	ds_read_b64 v[1:2], v1 offset:24
	v_mov_b32_e32 v5, s14
	v_sub_f32_e32 v10, v6, v17
	ds_read_b64 v[5:6], v5 offset:288
	v_cmp_ngt_f32_e64 s[20:21], |v3|, |v4|
	s_waitcnt lgkmcnt(1)
	v_mul_f32_e32 v16, v12, v2
	v_fma_f32 v16, v11, v1, -v16
	v_mul_f32_e32 v2, v11, v2
	v_fmac_f32_e32 v2, v12, v1
	v_sub_f32_e32 v1, v9, v16
	s_waitcnt lgkmcnt(0)
	v_mul_f32_e32 v9, v8, v6
	v_mul_f32_e32 v6, v7, v6
	v_sub_f32_e32 v2, v10, v2
	v_fma_f32 v9, v7, v5, -v9
	v_fmac_f32_e32 v6, v8, v5
	v_sub_f32_e32 v5, v1, v9
	v_sub_f32_e32 v6, v2, v6
	s_mov_b64 s[14:15], -1
	s_and_b64 vcc, exec, s[20:21]
                                        ; implicit-def: $vgpr2
	s_cbranch_vccz .LBB172_34
; %bb.33:                               ;   in Loop: Header=BB172_18 Depth=1
	v_div_scale_f32 v1, s[14:15], v4, v4, v3
	v_div_scale_f32 v2, vcc, v3, v4, v3
	v_rcp_f32_e32 v7, v1
	v_fma_f32 v8, -v1, v7, 1.0
	v_fmac_f32_e32 v7, v8, v7
	v_mul_f32_e32 v8, v2, v7
	v_fma_f32 v9, -v1, v8, v2
	v_fmac_f32_e32 v8, v9, v7
	v_fma_f32 v1, -v1, v8, v2
	v_div_fmas_f32 v1, v1, v7, v8
	v_div_fixup_f32 v1, v1, v4, v3
	v_fma_f32 v2, v3, v1, v4
	v_div_scale_f32 v7, s[14:15], v2, v2, 1.0
	v_div_scale_f32 v8, vcc, 1.0, v2, 1.0
	s_mov_b64 s[14:15], 0
	v_rcp_f32_e32 v9, v7
	v_fma_f32 v10, -v7, v9, 1.0
	v_fmac_f32_e32 v9, v10, v9
	v_mul_f32_e32 v10, v8, v9
	v_fma_f32 v11, -v7, v10, v8
	v_fmac_f32_e32 v10, v11, v9
	v_fma_f32 v7, -v7, v10, v8
	v_div_fmas_f32 v7, v7, v9, v10
	v_fma_f32 v8, v1, v5, v6
	v_fma_f32 v9, v1, v6, -v5
	v_div_fixup_f32 v2, v7, v2, 1.0
	v_mul_f32_e32 v1, v8, v2
	v_mul_f32_e32 v2, v9, v2
.LBB172_34:                             ;   in Loop: Header=BB172_18 Depth=1
	s_andn2_b64 vcc, exec, s[14:15]
	s_cbranch_vccnz .LBB172_36
; %bb.35:                               ;   in Loop: Header=BB172_18 Depth=1
	v_div_scale_f32 v1, s[14:15], v3, v3, v4
	v_div_scale_f32 v2, vcc, v4, v3, v4
	v_rcp_f32_e32 v7, v1
	v_fma_f32 v8, -v1, v7, 1.0
	v_fmac_f32_e32 v7, v8, v7
	v_mul_f32_e32 v8, v2, v7
	v_fma_f32 v9, -v1, v8, v2
	v_fmac_f32_e32 v8, v9, v7
	v_fma_f32 v1, -v1, v8, v2
	v_div_fmas_f32 v1, v1, v7, v8
	v_div_fixup_f32 v1, v1, v3, v4
	v_fmac_f32_e32 v3, v4, v1
	v_div_scale_f32 v2, s[14:15], v3, v3, 1.0
	v_div_scale_f32 v4, vcc, 1.0, v3, 1.0
	v_rcp_f32_e32 v7, v2
	v_fma_f32 v8, -v2, v7, 1.0
	v_fmac_f32_e32 v7, v8, v7
	v_mul_f32_e32 v8, v4, v7
	v_fma_f32 v9, -v2, v8, v4
	v_fmac_f32_e32 v8, v9, v7
	v_fma_f32 v2, -v2, v8, v4
	v_div_fmas_f32 v2, v2, v7, v8
	v_fma_f32 v4, v1, v6, v5
	v_fma_f32 v5, -v1, v5, v6
	v_div_fixup_f32 v2, v2, v3, 1.0
	v_mul_f32_e32 v1, v4, v2
	v_mul_f32_e32 v2, v5, v2
.LBB172_36:                             ;   in Loop: Header=BB172_18 Depth=1
	s_add_i32 s19, s18, 4
	s_add_i32 s14, s18, 7
	s_add_i32 s13, s13, 32
	s_cmp_ge_i32 s14, s24
	ds_write_b64 v15, v[1:2]
	s_cbranch_scc1 .LBB172_38
; %bb.37:                               ;   in Loop: Header=BB172_18 Depth=1
	s_mov_b32 s18, s19
	s_branch .LBB172_18
.LBB172_38:
	s_cmp_ge_i32 s19, s24
	s_cbranch_scc1 .LBB172_47
; %bb.39:
	v_mov_b32_e32 v1, 0x2000
	s_lshl_b32 s13, s19, 3
	v_lshl_or_b32 v7, v0, 3, v1
	s_branch .LBB172_41
.LBB172_40:                             ;   in Loop: Header=BB172_41 Depth=1
	s_add_i32 s19, s19, 1
	s_add_i32 s13, s13, 8
	s_cmp_ge_i32 s19, s24
	ds_write_b64 v8, v[5:6]
	s_cbranch_scc1 .LBB172_47
.LBB172_41:                             ; =>This Loop Header: Depth=1
                                        ;     Child Loop BB172_42 Depth 2
	s_lshl_b32 s14, s19, 8
	v_add_u32_e32 v8, s14, v13
	ds_read_b64 v[1:2], v8
	s_cmp_eq_u32 s19, 0
	v_mov_b32_e32 v3, v7
	s_mov_b32 s15, s13
	s_mov_b32 s18, s19
	s_cbranch_scc1 .LBB172_43
.LBB172_42:                             ;   Parent Loop BB172_41 Depth=1
                                        ; =>  This Inner Loop Header: Depth=2
	v_mov_b32_e32 v6, s15
	ds_read_b64 v[4:5], v3
	ds_read_b64 v[9:10], v6
	s_add_i32 s18, s18, -1
	s_addk_i32 s15, 0x100
	v_add_u32_e32 v3, 0x100, v3
	s_cmp_eq_u32 s18, 0
	s_waitcnt lgkmcnt(0)
	v_mul_f32_e32 v6, v10, v5
	v_mul_f32_e32 v5, v9, v5
	v_fma_f32 v6, v9, v4, -v6
	v_fmac_f32_e32 v5, v10, v4
	v_sub_f32_e32 v1, v1, v6
	v_sub_f32_e32 v2, v2, v5
	s_cbranch_scc0 .LBB172_42
.LBB172_43:                             ;   in Loop: Header=BB172_41 Depth=1
	s_lshl_b32 s15, s19, 3
	s_add_i32 s14, s15, s14
	v_mov_b32_e32 v3, s14
	ds_read_b64 v[3:4], v3
	s_mov_b64 s[14:15], -1
                                        ; implicit-def: $vgpr5
	s_waitcnt lgkmcnt(0)
	v_cmp_ngt_f32_e64 s[20:21], |v3|, |v4|
	s_and_b64 vcc, exec, s[20:21]
	s_cbranch_vccz .LBB172_45
; %bb.44:                               ;   in Loop: Header=BB172_41 Depth=1
	v_div_scale_f32 v5, s[14:15], v4, v4, v3
	v_div_scale_f32 v6, vcc, v3, v4, v3
	v_rcp_f32_e32 v9, v5
	v_fma_f32 v10, -v5, v9, 1.0
	v_fmac_f32_e32 v9, v10, v9
	v_mul_f32_e32 v10, v6, v9
	v_fma_f32 v11, -v5, v10, v6
	v_fmac_f32_e32 v10, v11, v9
	v_fma_f32 v5, -v5, v10, v6
	v_div_fmas_f32 v5, v5, v9, v10
	v_div_fixup_f32 v5, v5, v4, v3
	v_fma_f32 v6, v3, v5, v4
	v_div_scale_f32 v9, s[14:15], v6, v6, 1.0
	v_div_scale_f32 v10, vcc, 1.0, v6, 1.0
	s_mov_b64 s[14:15], 0
	v_rcp_f32_e32 v11, v9
	v_fma_f32 v12, -v9, v11, 1.0
	v_fmac_f32_e32 v11, v12, v11
	v_mul_f32_e32 v12, v10, v11
	v_fma_f32 v14, -v9, v12, v10
	v_fmac_f32_e32 v12, v14, v11
	v_fma_f32 v9, -v9, v12, v10
	v_div_fmas_f32 v9, v9, v11, v12
	v_fma_f32 v10, v1, v5, v2
	v_fma_f32 v11, v2, v5, -v1
	v_div_fixup_f32 v6, v9, v6, 1.0
	v_mul_f32_e32 v5, v10, v6
	v_mul_f32_e32 v6, v11, v6
.LBB172_45:                             ;   in Loop: Header=BB172_41 Depth=1
	s_andn2_b64 vcc, exec, s[14:15]
	s_cbranch_vccnz .LBB172_40
; %bb.46:                               ;   in Loop: Header=BB172_41 Depth=1
	v_div_scale_f32 v5, s[14:15], v3, v3, v4
	v_div_scale_f32 v6, vcc, v4, v3, v4
	v_rcp_f32_e32 v9, v5
	v_fma_f32 v10, -v5, v9, 1.0
	v_fmac_f32_e32 v9, v10, v9
	v_mul_f32_e32 v10, v6, v9
	v_fma_f32 v11, -v5, v10, v6
	v_fmac_f32_e32 v10, v11, v9
	v_fma_f32 v5, -v5, v10, v6
	v_div_fmas_f32 v5, v5, v9, v10
	v_div_fixup_f32 v5, v5, v3, v4
	v_fmac_f32_e32 v3, v4, v5
	v_div_scale_f32 v4, s[14:15], v3, v3, 1.0
	v_div_scale_f32 v6, vcc, 1.0, v3, 1.0
	v_rcp_f32_e32 v9, v4
	v_fma_f32 v10, -v4, v9, 1.0
	v_fmac_f32_e32 v9, v10, v9
	v_mul_f32_e32 v10, v6, v9
	v_fma_f32 v11, -v4, v10, v6
	v_fmac_f32_e32 v10, v11, v9
	v_fma_f32 v4, -v4, v10, v6
	v_div_fmas_f32 v4, v4, v9, v10
	v_fma_f32 v6, v2, v5, v1
	v_fma_f32 v1, -v1, v5, v2
	v_div_fixup_f32 v2, v4, v3, 1.0
	v_mul_f32_e32 v5, v6, v2
	v_mul_f32_e32 v6, v1, v2
	s_branch .LBB172_40
.LBB172_47:
	s_mov_b64 s[14:15], 0
.LBB172_48:
	s_and_b64 vcc, exec, s[14:15]
	s_cbranch_vccz .LBB172_80
; %bb.49:
	s_andn2_b64 vcc, exec, s[8:9]
	s_mov_b32 s19, s11
	s_cbranch_vccnz .LBB172_71
; %bb.50:
	v_lshlrev_b32_e32 v1, 3, v0
	s_mul_i32 s13, s24, 0x108
	v_lshl_or_b32 v1, s24, 8, v1
	s_addk_i32 s13, 0xfee0
	v_add_u32_e32 v14, 0x1f00, v1
	s_mov_b32 s18, s11
.LBB172_51:                             ; =>This Loop Header: Depth=1
                                        ;     Child Loop BB172_52 Depth 2
	s_add_i32 s19, s18, -3
	v_lshl_add_u32 v18, s18, 8, v13
	s_add_i32 s20, s18, -1
	s_add_i32 s22, s18, -2
	s_lshl_b32 s14, s19, 8
	v_lshl_add_u32 v17, s20, 8, v13
	v_lshl_add_u32 v16, s22, 8, v13
	v_add_u32_e32 v15, s14, v13
	ds_read_b64 v[9:10], v18
	ds_read_b64 v[7:8], v17
	;; [unrolled: 1-line block ×4, first 2 shown]
	s_cmp_le_i32 s11, s18
	v_mov_b32_e32 v5, v14
	s_mov_b32 s14, s13
	s_mov_b32 s15, s11
	s_cbranch_scc1 .LBB172_53
.LBB172_52:                             ;   Parent Loop BB172_51 Depth=1
                                        ; =>  This Inner Loop Header: Depth=2
	v_mov_b32_e32 v6, s14
	ds_read_b64 v[11:12], v5
	ds_read2_b64 v[19:22], v6 offset0:2 offset1:3
	ds_read2_b64 v[23:26], v6 offset1:1
	s_add_i32 s15, s15, -1
	s_addk_i32 s14, 0xff00
	v_add_u32_e32 v5, 0xffffff00, v5
	s_waitcnt lgkmcnt(1)
	v_mul_f32_e32 v6, v22, v12
	v_mul_f32_e32 v27, v21, v12
	;; [unrolled: 1-line block ×4, first 2 shown]
	s_waitcnt lgkmcnt(0)
	v_mul_f32_e32 v29, v26, v12
	v_mul_f32_e32 v26, v26, v11
	;; [unrolled: 1-line block ×4, first 2 shown]
	v_fma_f32 v6, v21, v11, -v6
	v_fmac_f32_e32 v27, v22, v11
	v_fma_f32 v21, v19, v11, -v28
	v_fmac_f32_e32 v20, v19, v12
	;; [unrolled: 2-line block ×4, first 2 shown]
	s_cmp_le_i32 s15, s18
	v_sub_f32_e32 v9, v9, v6
	v_sub_f32_e32 v10, v10, v27
	;; [unrolled: 1-line block ×8, first 2 shown]
	s_cbranch_scc0 .LBB172_52
.LBB172_53:                             ;   in Loop: Header=BB172_51 Depth=1
	s_lshl_b32 s23, s18, 3
	s_lshl_b32 s14, s18, 8
	s_add_i32 s21, s23, s14
	v_mov_b32_e32 v5, s21
	ds_read_b64 v[11:12], v5
	s_mov_b64 s[14:15], -1
                                        ; implicit-def: $vgpr6
	s_waitcnt lgkmcnt(0)
	v_cmp_ngt_f32_e64 s[26:27], |v11|, |v12|
	s_and_b64 vcc, exec, s[26:27]
	s_cbranch_vccz .LBB172_55
; %bb.54:                               ;   in Loop: Header=BB172_51 Depth=1
	v_div_scale_f32 v5, s[14:15], v12, v12, v11
	v_div_scale_f32 v6, vcc, v11, v12, v11
	v_rcp_f32_e32 v19, v5
	v_fma_f32 v20, -v5, v19, 1.0
	v_fmac_f32_e32 v19, v20, v19
	v_mul_f32_e32 v20, v6, v19
	v_fma_f32 v21, -v5, v20, v6
	v_fmac_f32_e32 v20, v21, v19
	v_fma_f32 v5, -v5, v20, v6
	v_div_fmas_f32 v5, v5, v19, v20
	v_div_fixup_f32 v5, v5, v12, v11
	v_fma_f32 v6, v11, v5, v12
	v_div_scale_f32 v19, s[14:15], v6, v6, 1.0
	v_div_scale_f32 v20, vcc, 1.0, v6, 1.0
	s_mov_b64 s[14:15], 0
	v_rcp_f32_e32 v21, v19
	v_fma_f32 v22, -v19, v21, 1.0
	v_fmac_f32_e32 v21, v22, v21
	v_mul_f32_e32 v22, v20, v21
	v_fma_f32 v23, -v19, v22, v20
	v_fmac_f32_e32 v22, v23, v21
	v_fma_f32 v19, -v19, v22, v20
	v_div_fmas_f32 v19, v19, v21, v22
	v_fma_f32 v20, v9, v5, v10
	v_fma_f32 v21, v10, v5, -v9
	v_div_fixup_f32 v6, v19, v6, 1.0
	v_mul_f32_e32 v5, v20, v6
	v_mul_f32_e32 v6, v21, v6
.LBB172_55:                             ;   in Loop: Header=BB172_51 Depth=1
	s_andn2_b64 vcc, exec, s[14:15]
	s_cbranch_vccnz .LBB172_57
; %bb.56:                               ;   in Loop: Header=BB172_51 Depth=1
	v_div_scale_f32 v5, s[14:15], v11, v11, v12
	v_div_scale_f32 v6, vcc, v12, v11, v12
	v_rcp_f32_e32 v19, v5
	v_fma_f32 v20, -v5, v19, 1.0
	v_fmac_f32_e32 v19, v20, v19
	v_mul_f32_e32 v20, v6, v19
	v_fma_f32 v21, -v5, v20, v6
	v_fmac_f32_e32 v20, v21, v19
	v_fma_f32 v5, -v5, v20, v6
	v_div_fmas_f32 v5, v5, v19, v20
	v_div_fixup_f32 v5, v5, v11, v12
	v_fmac_f32_e32 v11, v12, v5
	v_div_scale_f32 v6, s[14:15], v11, v11, 1.0
	v_div_scale_f32 v12, vcc, 1.0, v11, 1.0
	v_rcp_f32_e32 v19, v6
	v_fma_f32 v20, -v6, v19, 1.0
	v_fmac_f32_e32 v19, v20, v19
	v_mul_f32_e32 v20, v12, v19
	v_fma_f32 v21, -v6, v20, v12
	v_fmac_f32_e32 v20, v21, v19
	v_fma_f32 v6, -v6, v20, v12
	v_div_fmas_f32 v6, v6, v19, v20
	v_fma_f32 v12, v10, v5, v9
	v_fma_f32 v9, -v9, v5, v10
	v_div_fixup_f32 v6, v6, v11, 1.0
	v_mul_f32_e32 v5, v12, v6
	v_mul_f32_e32 v6, v9, v6
.LBB172_57:                             ;   in Loop: Header=BB172_51 Depth=1
	s_lshl_b32 s14, s20, 8
	s_add_i32 s25, s23, s14
	s_add_i32 s14, s21, -8
	v_mov_b32_e32 v9, s14
	s_add_i32 s25, s25, -8
	ds_read_b64 v[11:12], v9
	v_mov_b32_e32 v9, s25
	ds_read_b64 v[9:10], v9
	ds_write_b64 v18, v[5:6]
	s_mov_b64 s[14:15], -1
	s_waitcnt lgkmcnt(2)
	v_mul_f32_e32 v18, v6, v12
	v_mul_f32_e32 v12, v5, v12
	v_fma_f32 v18, v5, v11, -v18
	v_fmac_f32_e32 v12, v6, v11
	s_waitcnt lgkmcnt(1)
	v_cmp_ngt_f32_e64 s[26:27], |v9|, |v10|
	v_sub_f32_e32 v11, v7, v18
	v_sub_f32_e32 v12, v8, v12
	s_and_b64 vcc, exec, s[26:27]
                                        ; implicit-def: $vgpr8
	s_cbranch_vccz .LBB172_59
; %bb.58:                               ;   in Loop: Header=BB172_51 Depth=1
	v_div_scale_f32 v7, s[14:15], v10, v10, v9
	v_div_scale_f32 v8, vcc, v9, v10, v9
	v_rcp_f32_e32 v18, v7
	v_fma_f32 v19, -v7, v18, 1.0
	v_fmac_f32_e32 v18, v19, v18
	v_mul_f32_e32 v19, v8, v18
	v_fma_f32 v20, -v7, v19, v8
	v_fmac_f32_e32 v19, v20, v18
	v_fma_f32 v7, -v7, v19, v8
	v_div_fmas_f32 v7, v7, v18, v19
	v_div_fixup_f32 v7, v7, v10, v9
	v_fma_f32 v8, v9, v7, v10
	v_div_scale_f32 v18, s[14:15], v8, v8, 1.0
	v_div_scale_f32 v19, vcc, 1.0, v8, 1.0
	s_mov_b64 s[14:15], 0
	v_rcp_f32_e32 v20, v18
	v_fma_f32 v21, -v18, v20, 1.0
	v_fmac_f32_e32 v20, v21, v20
	v_mul_f32_e32 v21, v19, v20
	v_fma_f32 v22, -v18, v21, v19
	v_fmac_f32_e32 v21, v22, v20
	v_fma_f32 v18, -v18, v21, v19
	v_div_fmas_f32 v18, v18, v20, v21
	v_fma_f32 v19, v7, v11, v12
	v_fma_f32 v20, v7, v12, -v11
	v_div_fixup_f32 v8, v18, v8, 1.0
	v_mul_f32_e32 v7, v19, v8
	v_mul_f32_e32 v8, v20, v8
.LBB172_59:                             ;   in Loop: Header=BB172_51 Depth=1
	s_andn2_b64 vcc, exec, s[14:15]
	s_cbranch_vccnz .LBB172_61
; %bb.60:                               ;   in Loop: Header=BB172_51 Depth=1
	v_div_scale_f32 v7, s[14:15], v9, v9, v10
	v_div_scale_f32 v8, vcc, v10, v9, v10
	v_rcp_f32_e32 v18, v7
	v_fma_f32 v19, -v7, v18, 1.0
	v_fmac_f32_e32 v18, v19, v18
	v_mul_f32_e32 v19, v8, v18
	v_fma_f32 v20, -v7, v19, v8
	v_fmac_f32_e32 v19, v20, v18
	v_fma_f32 v7, -v7, v19, v8
	v_div_fmas_f32 v7, v7, v18, v19
	v_div_fixup_f32 v7, v7, v9, v10
	v_fmac_f32_e32 v9, v10, v7
	v_div_scale_f32 v8, s[14:15], v9, v9, 1.0
	v_div_scale_f32 v10, vcc, 1.0, v9, 1.0
	v_rcp_f32_e32 v18, v8
	v_fma_f32 v19, -v8, v18, 1.0
	v_fmac_f32_e32 v18, v19, v18
	v_mul_f32_e32 v19, v10, v18
	v_fma_f32 v20, -v8, v19, v10
	v_fmac_f32_e32 v19, v20, v18
	v_fma_f32 v8, -v8, v19, v10
	v_div_fmas_f32 v8, v8, v18, v19
	v_fma_f32 v10, v7, v12, v11
	v_fma_f32 v11, -v7, v11, v12
	v_div_fixup_f32 v8, v8, v9, 1.0
	v_mul_f32_e32 v7, v10, v8
	v_mul_f32_e32 v8, v11, v8
.LBB172_61:                             ;   in Loop: Header=BB172_51 Depth=1
	s_add_i32 s15, s21, -16
	s_lshl_b32 s14, s22, 8
	v_mov_b32_e32 v9, s15
	s_lshl_b32 s15, s20, 3
	s_add_i32 s14, s23, s14
	ds_read_b64 v[11:12], v9
	s_sub_i32 s23, s25, s15
	s_lshl_b32 s22, s22, 3
	s_add_i32 s15, s23, s22
	s_add_i32 s20, s14, -16
	ds_write_b64 v17, v[7:8]
	v_mov_b32_e32 v9, s15
	v_mov_b32_e32 v10, s20
	ds_read_b64 v[17:18], v9
	ds_read_b64 v[9:10], v10
	s_waitcnt lgkmcnt(3)
	v_mul_f32_e32 v19, v6, v12
	v_mul_f32_e32 v12, v5, v12
	v_fmac_f32_e32 v12, v6, v11
	v_fma_f32 v19, v5, v11, -v19
	v_sub_f32_e32 v4, v4, v12
	s_waitcnt lgkmcnt(1)
	v_mul_f32_e32 v11, v8, v18
	v_mul_f32_e32 v12, v7, v18
	v_sub_f32_e32 v3, v3, v19
	v_fma_f32 v11, v7, v17, -v11
	v_fmac_f32_e32 v12, v8, v17
	s_waitcnt lgkmcnt(0)
	v_cmp_ngt_f32_e64 s[26:27], |v9|, |v10|
	v_sub_f32_e32 v3, v3, v11
	v_sub_f32_e32 v4, v4, v12
	s_mov_b64 s[14:15], -1
	s_and_b64 vcc, exec, s[26:27]
                                        ; implicit-def: $vgpr12
	s_cbranch_vccz .LBB172_63
; %bb.62:                               ;   in Loop: Header=BB172_51 Depth=1
	v_div_scale_f32 v11, s[14:15], v10, v10, v9
	v_div_scale_f32 v12, vcc, v9, v10, v9
	v_rcp_f32_e32 v17, v11
	v_fma_f32 v18, -v11, v17, 1.0
	v_fmac_f32_e32 v17, v18, v17
	v_mul_f32_e32 v18, v12, v17
	v_fma_f32 v19, -v11, v18, v12
	v_fmac_f32_e32 v18, v19, v17
	v_fma_f32 v11, -v11, v18, v12
	v_div_fmas_f32 v11, v11, v17, v18
	v_div_fixup_f32 v11, v11, v10, v9
	v_fma_f32 v12, v9, v11, v10
	v_div_scale_f32 v17, s[14:15], v12, v12, 1.0
	v_div_scale_f32 v18, vcc, 1.0, v12, 1.0
	s_mov_b64 s[14:15], 0
	v_rcp_f32_e32 v19, v17
	v_fma_f32 v20, -v17, v19, 1.0
	v_fmac_f32_e32 v19, v20, v19
	v_mul_f32_e32 v20, v18, v19
	v_fma_f32 v21, -v17, v20, v18
	v_fmac_f32_e32 v20, v21, v19
	v_fma_f32 v17, -v17, v20, v18
	v_div_fmas_f32 v17, v17, v19, v20
	v_fma_f32 v18, v11, v3, v4
	v_fma_f32 v19, v11, v4, -v3
	v_div_fixup_f32 v12, v17, v12, 1.0
	v_mul_f32_e32 v11, v18, v12
	v_mul_f32_e32 v12, v19, v12
.LBB172_63:                             ;   in Loop: Header=BB172_51 Depth=1
	s_andn2_b64 vcc, exec, s[14:15]
	s_cbranch_vccnz .LBB172_65
; %bb.64:                               ;   in Loop: Header=BB172_51 Depth=1
	v_div_scale_f32 v11, s[14:15], v9, v9, v10
	v_div_scale_f32 v12, vcc, v10, v9, v10
	v_rcp_f32_e32 v17, v11
	v_fma_f32 v18, -v11, v17, 1.0
	v_fmac_f32_e32 v17, v18, v17
	v_mul_f32_e32 v18, v12, v17
	v_fma_f32 v19, -v11, v18, v12
	v_fmac_f32_e32 v18, v19, v17
	v_fma_f32 v11, -v11, v18, v12
	v_div_fmas_f32 v11, v11, v17, v18
	v_div_fixup_f32 v11, v11, v9, v10
	v_fmac_f32_e32 v9, v10, v11
	v_div_scale_f32 v10, s[14:15], v9, v9, 1.0
	v_div_scale_f32 v12, vcc, 1.0, v9, 1.0
	v_rcp_f32_e32 v17, v10
	v_fma_f32 v18, -v10, v17, 1.0
	v_fmac_f32_e32 v17, v18, v17
	v_mul_f32_e32 v18, v12, v17
	v_fma_f32 v19, -v10, v18, v12
	v_fmac_f32_e32 v18, v19, v17
	v_fma_f32 v10, -v10, v18, v12
	v_div_fmas_f32 v10, v10, v17, v18
	v_fma_f32 v12, v11, v4, v3
	v_fma_f32 v3, -v11, v3, v4
	v_div_fixup_f32 v4, v10, v9, 1.0
	v_mul_f32_e32 v11, v12, v4
	v_mul_f32_e32 v12, v3, v4
.LBB172_65:                             ;   in Loop: Header=BB172_51 Depth=1
	s_sub_i32 s14, s21, 24
	v_mov_b32_e32 v3, s14
	s_lshl_b32 s14, s19, 3
	ds_read_b64 v[9:10], v3
	s_add_i32 s15, s23, s14
	v_mov_b32_e32 v3, s15
	s_sub_i32 s15, s20, s22
	s_add_i32 s14, s15, s14
	v_mov_b32_e32 v4, s14
	s_add_i32 s14, s20, 0xfffffef8
	ds_write_b64 v16, v[11:12]
	v_mov_b32_e32 v20, s14
	ds_read_b64 v[16:17], v3
	ds_read_b64 v[18:19], v4
	;; [unrolled: 1-line block ×3, first 2 shown]
	s_waitcnt lgkmcnt(4)
	v_mul_f32_e32 v20, v6, v10
	v_fma_f32 v20, v5, v9, -v20
	v_mul_f32_e32 v5, v5, v10
	v_fmac_f32_e32 v5, v6, v9
	v_sub_f32_e32 v2, v2, v5
	s_waitcnt lgkmcnt(2)
	v_mul_f32_e32 v5, v8, v17
	v_mul_f32_e32 v6, v7, v17
	v_sub_f32_e32 v1, v1, v20
	v_fma_f32 v5, v7, v16, -v5
	v_fmac_f32_e32 v6, v8, v16
	v_sub_f32_e32 v1, v1, v5
	v_sub_f32_e32 v2, v2, v6
	s_waitcnt lgkmcnt(1)
	v_mul_f32_e32 v5, v12, v19
	v_mul_f32_e32 v6, v11, v19
	v_fma_f32 v5, v11, v18, -v5
	v_fmac_f32_e32 v6, v12, v18
	s_waitcnt lgkmcnt(0)
	v_cmp_ngt_f32_e64 s[20:21], |v3|, |v4|
	v_sub_f32_e32 v5, v1, v5
	v_sub_f32_e32 v6, v2, v6
	s_mov_b64 s[14:15], -1
	s_and_b64 vcc, exec, s[20:21]
                                        ; implicit-def: $vgpr2
	s_cbranch_vccz .LBB172_67
; %bb.66:                               ;   in Loop: Header=BB172_51 Depth=1
	v_div_scale_f32 v1, s[14:15], v4, v4, v3
	v_div_scale_f32 v2, vcc, v3, v4, v3
	v_rcp_f32_e32 v7, v1
	v_fma_f32 v8, -v1, v7, 1.0
	v_fmac_f32_e32 v7, v8, v7
	v_mul_f32_e32 v8, v2, v7
	v_fma_f32 v9, -v1, v8, v2
	v_fmac_f32_e32 v8, v9, v7
	v_fma_f32 v1, -v1, v8, v2
	v_div_fmas_f32 v1, v1, v7, v8
	v_div_fixup_f32 v1, v1, v4, v3
	v_fma_f32 v2, v3, v1, v4
	v_div_scale_f32 v7, s[14:15], v2, v2, 1.0
	v_div_scale_f32 v8, vcc, 1.0, v2, 1.0
	s_mov_b64 s[14:15], 0
	v_rcp_f32_e32 v9, v7
	v_fma_f32 v10, -v7, v9, 1.0
	v_fmac_f32_e32 v9, v10, v9
	v_mul_f32_e32 v10, v8, v9
	v_fma_f32 v11, -v7, v10, v8
	v_fmac_f32_e32 v10, v11, v9
	v_fma_f32 v7, -v7, v10, v8
	v_div_fmas_f32 v7, v7, v9, v10
	v_fma_f32 v8, v1, v5, v6
	v_fma_f32 v9, v1, v6, -v5
	v_div_fixup_f32 v2, v7, v2, 1.0
	v_mul_f32_e32 v1, v8, v2
	v_mul_f32_e32 v2, v9, v2
.LBB172_67:                             ;   in Loop: Header=BB172_51 Depth=1
	s_andn2_b64 vcc, exec, s[14:15]
	s_cbranch_vccnz .LBB172_69
; %bb.68:                               ;   in Loop: Header=BB172_51 Depth=1
	v_div_scale_f32 v1, s[14:15], v3, v3, v4
	v_div_scale_f32 v2, vcc, v4, v3, v4
	v_rcp_f32_e32 v7, v1
	v_fma_f32 v8, -v1, v7, 1.0
	v_fmac_f32_e32 v7, v8, v7
	v_mul_f32_e32 v8, v2, v7
	v_fma_f32 v9, -v1, v8, v2
	v_fmac_f32_e32 v8, v9, v7
	v_fma_f32 v1, -v1, v8, v2
	v_div_fmas_f32 v1, v1, v7, v8
	v_div_fixup_f32 v1, v1, v3, v4
	v_fmac_f32_e32 v3, v4, v1
	v_div_scale_f32 v2, s[14:15], v3, v3, 1.0
	v_div_scale_f32 v4, vcc, 1.0, v3, 1.0
	v_rcp_f32_e32 v7, v2
	v_fma_f32 v8, -v2, v7, 1.0
	v_fmac_f32_e32 v7, v8, v7
	v_mul_f32_e32 v8, v4, v7
	v_fma_f32 v9, -v2, v8, v4
	v_fmac_f32_e32 v8, v9, v7
	v_fma_f32 v2, -v2, v8, v4
	v_div_fmas_f32 v2, v2, v7, v8
	v_fma_f32 v4, v1, v6, v5
	v_fma_f32 v5, -v1, v5, v6
	v_div_fixup_f32 v2, v2, v3, 1.0
	v_mul_f32_e32 v1, v4, v2
	v_mul_f32_e32 v2, v5, v2
.LBB172_69:                             ;   in Loop: Header=BB172_51 Depth=1
	s_add_i32 s19, s18, -4
	s_sub_i32 s13, s13, 32
	s_cmp_lt_i32 s18, 7
	ds_write_b64 v15, v[1:2]
	s_cbranch_scc1 .LBB172_71
; %bb.70:                               ;   in Loop: Header=BB172_51 Depth=1
	s_mov_b32 s18, s19
	s_branch .LBB172_51
.LBB172_71:
	s_cmp_lt_i32 s19, 0
	s_cbranch_scc1 .LBB172_80
; %bb.72:
	s_lshl_b32 s14, s24, 8
	s_lshl_b32 s13, s19, 3
	s_add_i32 s13, s14, s13
	v_lshl_or_b32 v1, v0, 3, s14
	s_addk_i32 s13, 0xff00
	v_add_u32_e32 v7, 0x1f00, v1
	s_branch .LBB172_74
.LBB172_73:                             ;   in Loop: Header=BB172_74 Depth=1
	v_sub_co_u32_e64 v1, s[14:15], s19, 1
	v_readfirstlane_b32 s19, v1
	s_add_i32 s13, s13, -8
	s_and_b64 vcc, exec, s[14:15]
	ds_write_b64 v8, v[5:6]
	s_cbranch_vccnz .LBB172_80
.LBB172_74:                             ; =>This Loop Header: Depth=1
                                        ;     Child Loop BB172_75 Depth 2
	s_lshl_b32 s14, s19, 8
	v_add_u32_e32 v8, s14, v13
	ds_read_b64 v[1:2], v8
	s_cmp_le_i32 s11, s19
	v_mov_b32_e32 v3, v7
	s_mov_b32 s15, s13
	s_mov_b32 s18, s11
	s_cbranch_scc1 .LBB172_76
.LBB172_75:                             ;   Parent Loop BB172_74 Depth=1
                                        ; =>  This Inner Loop Header: Depth=2
	v_mov_b32_e32 v6, s15
	ds_read_b64 v[4:5], v3
	ds_read_b64 v[9:10], v6
	s_add_i32 s18, s18, -1
	s_addk_i32 s15, 0xff00
	v_add_u32_e32 v3, 0xffffff00, v3
	s_cmp_le_u32 s18, s19
	s_waitcnt lgkmcnt(0)
	v_mul_f32_e32 v6, v10, v5
	v_mul_f32_e32 v5, v9, v5
	v_fma_f32 v6, v9, v4, -v6
	v_fmac_f32_e32 v5, v10, v4
	v_sub_f32_e32 v1, v1, v6
	v_sub_f32_e32 v2, v2, v5
	s_cbranch_scc0 .LBB172_75
.LBB172_76:                             ;   in Loop: Header=BB172_74 Depth=1
	s_lshl_b32 s15, s19, 3
	s_add_i32 s14, s15, s14
	v_mov_b32_e32 v3, s14
	ds_read_b64 v[3:4], v3
	s_mov_b64 s[14:15], -1
                                        ; implicit-def: $vgpr5
	s_waitcnt lgkmcnt(0)
	v_cmp_ngt_f32_e64 s[20:21], |v3|, |v4|
	s_and_b64 vcc, exec, s[20:21]
	s_cbranch_vccz .LBB172_78
; %bb.77:                               ;   in Loop: Header=BB172_74 Depth=1
	v_div_scale_f32 v5, s[14:15], v4, v4, v3
	v_div_scale_f32 v6, vcc, v3, v4, v3
	v_rcp_f32_e32 v9, v5
	v_fma_f32 v10, -v5, v9, 1.0
	v_fmac_f32_e32 v9, v10, v9
	v_mul_f32_e32 v10, v6, v9
	v_fma_f32 v11, -v5, v10, v6
	v_fmac_f32_e32 v10, v11, v9
	v_fma_f32 v5, -v5, v10, v6
	v_div_fmas_f32 v5, v5, v9, v10
	v_div_fixup_f32 v5, v5, v4, v3
	v_fma_f32 v6, v3, v5, v4
	v_div_scale_f32 v9, s[14:15], v6, v6, 1.0
	v_div_scale_f32 v10, vcc, 1.0, v6, 1.0
	s_mov_b64 s[14:15], 0
	v_rcp_f32_e32 v11, v9
	v_fma_f32 v12, -v9, v11, 1.0
	v_fmac_f32_e32 v11, v12, v11
	v_mul_f32_e32 v12, v10, v11
	v_fma_f32 v14, -v9, v12, v10
	v_fmac_f32_e32 v12, v14, v11
	v_fma_f32 v9, -v9, v12, v10
	v_div_fmas_f32 v9, v9, v11, v12
	v_fma_f32 v10, v1, v5, v2
	v_fma_f32 v11, v2, v5, -v1
	v_div_fixup_f32 v6, v9, v6, 1.0
	v_mul_f32_e32 v5, v10, v6
	v_mul_f32_e32 v6, v11, v6
.LBB172_78:                             ;   in Loop: Header=BB172_74 Depth=1
	s_andn2_b64 vcc, exec, s[14:15]
	s_cbranch_vccnz .LBB172_73
; %bb.79:                               ;   in Loop: Header=BB172_74 Depth=1
	v_div_scale_f32 v5, s[14:15], v3, v3, v4
	v_div_scale_f32 v6, vcc, v4, v3, v4
	v_rcp_f32_e32 v9, v5
	v_fma_f32 v10, -v5, v9, 1.0
	v_fmac_f32_e32 v9, v10, v9
	v_mul_f32_e32 v10, v6, v9
	v_fma_f32 v11, -v5, v10, v6
	v_fmac_f32_e32 v10, v11, v9
	v_fma_f32 v5, -v5, v10, v6
	v_div_fmas_f32 v5, v5, v9, v10
	v_div_fixup_f32 v5, v5, v3, v4
	v_fmac_f32_e32 v3, v4, v5
	v_div_scale_f32 v4, s[14:15], v3, v3, 1.0
	v_div_scale_f32 v6, vcc, 1.0, v3, 1.0
	v_rcp_f32_e32 v9, v4
	v_fma_f32 v10, -v4, v9, 1.0
	v_fmac_f32_e32 v9, v10, v9
	v_mul_f32_e32 v10, v6, v9
	v_fma_f32 v11, -v4, v10, v6
	v_fmac_f32_e32 v10, v11, v9
	v_fma_f32 v4, -v4, v10, v6
	v_div_fmas_f32 v4, v4, v9, v10
	v_fma_f32 v6, v2, v5, v1
	v_fma_f32 v1, -v1, v5, v2
	v_div_fixup_f32 v2, v4, v3, 1.0
	v_mul_f32_e32 v5, v6, v2
	v_mul_f32_e32 v6, v1, v2
	s_branch .LBB172_73
.LBB172_80:
	s_mov_b64 s[20:21], 0
.LBB172_81:
	s_andn2_b64 vcc, exec, s[20:21]
	s_cbranch_vccnz .LBB172_113
; %bb.82:
	s_andn2_b64 vcc, exec, s[8:9]
	s_mov_b32 s15, s11
	s_cbranch_vccnz .LBB172_104
; %bb.83:
	v_lshlrev_b32_e32 v1, 3, v0
	v_lshl_or_b32 v1, s24, 8, v1
	s_mul_i32 s8, s24, 0x108
	v_add_u32_e32 v14, 0x1f00, v1
	s_add_i32 s13, s8, 0xfffffbf8
	s_mov_b32 s14, s11
.LBB172_84:                             ; =>This Loop Header: Depth=1
                                        ;     Child Loop BB172_85 Depth 2
	v_lshl_add_u32 v18, s14, 8, v13
	s_add_i32 s20, s14, -1
	s_add_i32 s18, s14, -2
	;; [unrolled: 1-line block ×3, first 2 shown]
	v_lshl_add_u32 v17, s20, 8, v13
	v_lshl_add_u32 v16, s18, 8, v13
	;; [unrolled: 1-line block ×3, first 2 shown]
	ds_read_b64 v[1:2], v18
	ds_read_b64 v[11:12], v17
	;; [unrolled: 1-line block ×4, first 2 shown]
	s_cmp_le_i32 s11, s14
	s_mov_b32 s8, s13
	v_mov_b32_e32 v3, v14
	s_mov_b32 s9, s11
	s_cbranch_scc1 .LBB172_86
.LBB172_85:                             ;   Parent Loop BB172_84 Depth=1
                                        ; =>  This Inner Loop Header: Depth=2
	v_mov_b32_e32 v4, s8
	ds_read_b64 v[9:10], v3
	ds_read2_b64 v[19:22], v4 offset0:64 offset1:96
	ds_read2_b64 v[23:26], v4 offset1:32
	s_add_i32 s9, s9, -1
	s_add_i32 s8, s8, -8
	v_add_u32_e32 v3, 0xffffff00, v3
	s_waitcnt lgkmcnt(1)
	v_mul_f32_e32 v4, v22, v10
	v_mul_f32_e32 v27, v21, v10
	v_mul_f32_e32 v28, v20, v10
	v_mul_f32_e32 v20, v20, v9
	s_waitcnt lgkmcnt(0)
	v_mul_f32_e32 v29, v26, v10
	v_mul_f32_e32 v26, v26, v9
	;; [unrolled: 1-line block ×4, first 2 shown]
	v_fma_f32 v4, v21, v9, -v4
	v_fmac_f32_e32 v27, v22, v9
	v_fma_f32 v21, v19, v9, -v28
	v_fmac_f32_e32 v20, v19, v10
	;; [unrolled: 2-line block ×4, first 2 shown]
	s_cmp_le_i32 s9, s14
	v_sub_f32_e32 v1, v1, v4
	v_sub_f32_e32 v2, v2, v27
	;; [unrolled: 1-line block ×8, first 2 shown]
	s_cbranch_scc0 .LBB172_85
.LBB172_86:                             ;   in Loop: Header=BB172_84 Depth=1
	s_mul_i32 s8, s14, 0x108
	v_mov_b32_e32 v3, s8
	ds_read_b64 v[3:4], v3
	s_lshl_b32 s22, s20, 5
	s_lshl_b32 s21, s18, 5
	;; [unrolled: 1-line block ×3, first 2 shown]
	s_mov_b64 s[8:9], -1
	s_waitcnt lgkmcnt(0)
	v_cmp_ngt_f32_e64 s[26:27], |v3|, |v4|
	s_and_b64 vcc, exec, s[26:27]
                                        ; implicit-def: $vgpr10
	s_cbranch_vccz .LBB172_88
; %bb.87:                               ;   in Loop: Header=BB172_84 Depth=1
	v_div_scale_f32 v9, s[8:9], v4, v4, v3
	v_div_scale_f32 v10, vcc, v3, v4, v3
	v_rcp_f32_e32 v19, v9
	v_fma_f32 v20, -v9, v19, 1.0
	v_fmac_f32_e32 v19, v20, v19
	v_mul_f32_e32 v20, v10, v19
	v_fma_f32 v21, -v9, v20, v10
	v_fmac_f32_e32 v20, v21, v19
	v_fma_f32 v9, -v9, v20, v10
	v_div_fmas_f32 v9, v9, v19, v20
	v_div_fixup_f32 v9, v9, v4, v3
	v_fma_f32 v10, v3, v9, v4
	v_div_scale_f32 v19, s[8:9], v10, v10, 1.0
	v_div_scale_f32 v20, vcc, 1.0, v10, 1.0
	s_mov_b64 s[8:9], 0
	v_rcp_f32_e32 v21, v19
	v_fma_f32 v22, -v19, v21, 1.0
	v_fmac_f32_e32 v21, v22, v21
	v_mul_f32_e32 v22, v20, v21
	v_fma_f32 v23, -v19, v22, v20
	v_fmac_f32_e32 v22, v23, v21
	v_fma_f32 v19, -v19, v22, v20
	v_div_fmas_f32 v19, v19, v21, v22
	v_fma_f32 v20, v1, v9, v2
	v_fma_f32 v21, v2, v9, -v1
	v_div_fixup_f32 v10, v19, v10, 1.0
	v_mul_f32_e32 v9, v20, v10
	v_mul_f32_e32 v10, v21, v10
.LBB172_88:                             ;   in Loop: Header=BB172_84 Depth=1
	s_andn2_b64 vcc, exec, s[8:9]
	s_cbranch_vccnz .LBB172_90
; %bb.89:                               ;   in Loop: Header=BB172_84 Depth=1
	v_div_scale_f32 v9, s[8:9], v3, v3, v4
	v_div_scale_f32 v10, vcc, v4, v3, v4
	v_rcp_f32_e32 v19, v9
	v_fma_f32 v20, -v9, v19, 1.0
	v_fmac_f32_e32 v19, v20, v19
	v_mul_f32_e32 v20, v10, v19
	v_fma_f32 v21, -v9, v20, v10
	v_fmac_f32_e32 v20, v21, v19
	v_fma_f32 v9, -v9, v20, v10
	v_div_fmas_f32 v9, v9, v19, v20
	v_div_fixup_f32 v9, v9, v3, v4
	v_fmac_f32_e32 v3, v4, v9
	v_div_scale_f32 v4, s[8:9], v3, v3, 1.0
	v_div_scale_f32 v10, vcc, 1.0, v3, 1.0
	v_rcp_f32_e32 v19, v4
	v_fma_f32 v20, -v4, v19, 1.0
	v_fmac_f32_e32 v19, v20, v19
	v_mul_f32_e32 v20, v10, v19
	v_fma_f32 v21, -v4, v20, v10
	v_fmac_f32_e32 v20, v21, v19
	v_fma_f32 v4, -v4, v20, v10
	v_div_fmas_f32 v4, v4, v19, v20
	v_fma_f32 v10, v2, v9, v1
	v_fma_f32 v1, -v1, v9, v2
	v_div_fixup_f32 v2, v4, v3, 1.0
	v_mul_f32_e32 v9, v10, v2
	v_mul_f32_e32 v10, v1, v2
.LBB172_90:                             ;   in Loop: Header=BB172_84 Depth=1
	s_lshl_b32 s8, s22, 3
	s_lshl_b32 s9, s20, 3
	s_add_i32 s8, s8, s9
	v_mov_b32_e32 v1, s8
	ds_read2_b64 v[1:4], v1 offset1:1
	ds_write_b64 v18, v[9:10]
	s_mov_b64 s[8:9], -1
	s_waitcnt lgkmcnt(1)
	v_mul_f32_e32 v18, v10, v4
	v_mul_f32_e32 v4, v9, v4
	v_fma_f32 v18, v9, v3, -v18
	v_fmac_f32_e32 v4, v10, v3
	v_cmp_ngt_f32_e64 s[22:23], |v1|, |v2|
	v_sub_f32_e32 v3, v11, v18
	v_sub_f32_e32 v4, v12, v4
	s_and_b64 vcc, exec, s[22:23]
                                        ; implicit-def: $vgpr12
	s_cbranch_vccz .LBB172_92
; %bb.91:                               ;   in Loop: Header=BB172_84 Depth=1
	v_div_scale_f32 v11, s[8:9], v2, v2, v1
	v_div_scale_f32 v12, vcc, v1, v2, v1
	v_rcp_f32_e32 v18, v11
	v_fma_f32 v19, -v11, v18, 1.0
	v_fmac_f32_e32 v18, v19, v18
	v_mul_f32_e32 v19, v12, v18
	v_fma_f32 v20, -v11, v19, v12
	v_fmac_f32_e32 v19, v20, v18
	v_fma_f32 v11, -v11, v19, v12
	v_div_fmas_f32 v11, v11, v18, v19
	v_div_fixup_f32 v11, v11, v2, v1
	v_fma_f32 v12, v1, v11, v2
	v_div_scale_f32 v18, s[8:9], v12, v12, 1.0
	v_div_scale_f32 v19, vcc, 1.0, v12, 1.0
	s_mov_b64 s[8:9], 0
	v_rcp_f32_e32 v20, v18
	v_fma_f32 v21, -v18, v20, 1.0
	v_fmac_f32_e32 v20, v21, v20
	v_mul_f32_e32 v21, v19, v20
	v_fma_f32 v22, -v18, v21, v19
	v_fmac_f32_e32 v21, v22, v20
	v_fma_f32 v18, -v18, v21, v19
	v_div_fmas_f32 v18, v18, v20, v21
	v_fma_f32 v19, v11, v3, v4
	v_fma_f32 v20, v11, v4, -v3
	v_div_fixup_f32 v12, v18, v12, 1.0
	v_mul_f32_e32 v11, v19, v12
	v_mul_f32_e32 v12, v20, v12
.LBB172_92:                             ;   in Loop: Header=BB172_84 Depth=1
	s_andn2_b64 vcc, exec, s[8:9]
	s_cbranch_vccnz .LBB172_94
; %bb.93:                               ;   in Loop: Header=BB172_84 Depth=1
	v_div_scale_f32 v11, s[8:9], v1, v1, v2
	v_div_scale_f32 v12, vcc, v2, v1, v2
	v_rcp_f32_e32 v18, v11
	v_fma_f32 v19, -v11, v18, 1.0
	v_fmac_f32_e32 v18, v19, v18
	v_mul_f32_e32 v19, v12, v18
	v_fma_f32 v20, -v11, v19, v12
	v_fmac_f32_e32 v19, v20, v18
	v_fma_f32 v11, -v11, v19, v12
	v_div_fmas_f32 v11, v11, v18, v19
	v_div_fixup_f32 v11, v11, v1, v2
	v_fmac_f32_e32 v1, v2, v11
	v_div_scale_f32 v2, s[8:9], v1, v1, 1.0
	v_div_scale_f32 v12, vcc, 1.0, v1, 1.0
	v_rcp_f32_e32 v18, v2
	v_fma_f32 v19, -v2, v18, 1.0
	v_fmac_f32_e32 v18, v19, v18
	v_mul_f32_e32 v19, v12, v18
	v_fma_f32 v20, -v2, v19, v12
	v_fmac_f32_e32 v19, v20, v18
	v_fma_f32 v2, -v2, v19, v12
	v_div_fmas_f32 v2, v2, v18, v19
	v_fma_f32 v12, v11, v4, v3
	v_fma_f32 v3, -v11, v3, v4
	v_div_fixup_f32 v1, v2, v1, 1.0
	v_mul_f32_e32 v11, v12, v1
	v_mul_f32_e32 v12, v3, v1
.LBB172_94:                             ;   in Loop: Header=BB172_84 Depth=1
	s_lshl_b32 s8, s21, 3
	s_lshl_b32 s20, s14, 3
	s_add_i32 s9, s8, s20
	v_mov_b32_e32 v1, s9
	s_lshl_b32 s9, s18, 3
	s_add_i32 s8, s8, s9
	ds_write_b64 v17, v[11:12]
	ds_read_b64 v[17:18], v1
	v_mov_b32_e32 v1, s8
	ds_read2_b64 v[1:4], v1 offset1:1
	s_mov_b64 s[8:9], -1
	s_waitcnt lgkmcnt(1)
	v_mul_f32_e32 v19, v10, v18
	v_mul_f32_e32 v18, v9, v18
	v_fma_f32 v19, v9, v17, -v19
	v_fmac_f32_e32 v18, v10, v17
	s_waitcnt lgkmcnt(0)
	v_mul_f32_e32 v17, v12, v4
	v_mul_f32_e32 v4, v11, v4
	v_sub_f32_e32 v7, v7, v19
	v_sub_f32_e32 v8, v8, v18
	v_fma_f32 v17, v11, v3, -v17
	v_fmac_f32_e32 v4, v12, v3
	v_cmp_ngt_f32_e64 s[22:23], |v1|, |v2|
	v_sub_f32_e32 v3, v7, v17
	v_sub_f32_e32 v4, v8, v4
	s_and_b64 vcc, exec, s[22:23]
                                        ; implicit-def: $vgpr8
	s_cbranch_vccz .LBB172_96
; %bb.95:                               ;   in Loop: Header=BB172_84 Depth=1
	v_div_scale_f32 v7, s[8:9], v2, v2, v1
	v_div_scale_f32 v8, vcc, v1, v2, v1
	v_rcp_f32_e32 v17, v7
	v_fma_f32 v18, -v7, v17, 1.0
	v_fmac_f32_e32 v17, v18, v17
	v_mul_f32_e32 v18, v8, v17
	v_fma_f32 v19, -v7, v18, v8
	v_fmac_f32_e32 v18, v19, v17
	v_fma_f32 v7, -v7, v18, v8
	v_div_fmas_f32 v7, v7, v17, v18
	v_div_fixup_f32 v7, v7, v2, v1
	v_fma_f32 v8, v1, v7, v2
	v_div_scale_f32 v17, s[8:9], v8, v8, 1.0
	v_div_scale_f32 v18, vcc, 1.0, v8, 1.0
	s_mov_b64 s[8:9], 0
	v_rcp_f32_e32 v19, v17
	v_fma_f32 v20, -v17, v19, 1.0
	v_fmac_f32_e32 v19, v20, v19
	v_mul_f32_e32 v20, v18, v19
	v_fma_f32 v21, -v17, v20, v18
	v_fmac_f32_e32 v20, v21, v19
	v_fma_f32 v17, -v17, v20, v18
	v_div_fmas_f32 v17, v17, v19, v20
	v_fma_f32 v18, v7, v3, v4
	v_fma_f32 v19, v7, v4, -v3
	v_div_fixup_f32 v8, v17, v8, 1.0
	v_mul_f32_e32 v7, v18, v8
	v_mul_f32_e32 v8, v19, v8
.LBB172_96:                             ;   in Loop: Header=BB172_84 Depth=1
	s_andn2_b64 vcc, exec, s[8:9]
	s_cbranch_vccnz .LBB172_98
; %bb.97:                               ;   in Loop: Header=BB172_84 Depth=1
	v_div_scale_f32 v7, s[8:9], v1, v1, v2
	v_div_scale_f32 v8, vcc, v2, v1, v2
	v_rcp_f32_e32 v17, v7
	v_fma_f32 v18, -v7, v17, 1.0
	v_fmac_f32_e32 v17, v18, v17
	v_mul_f32_e32 v18, v8, v17
	v_fma_f32 v19, -v7, v18, v8
	v_fmac_f32_e32 v18, v19, v17
	v_fma_f32 v7, -v7, v18, v8
	v_div_fmas_f32 v7, v7, v17, v18
	v_div_fixup_f32 v7, v7, v1, v2
	v_fmac_f32_e32 v1, v2, v7
	v_div_scale_f32 v2, s[8:9], v1, v1, 1.0
	v_div_scale_f32 v8, vcc, 1.0, v1, 1.0
	v_rcp_f32_e32 v17, v2
	v_fma_f32 v18, -v2, v17, 1.0
	v_fmac_f32_e32 v17, v18, v17
	v_mul_f32_e32 v18, v8, v17
	v_fma_f32 v19, -v2, v18, v8
	v_fmac_f32_e32 v18, v19, v17
	v_fma_f32 v2, -v2, v18, v8
	v_div_fmas_f32 v2, v2, v17, v18
	v_fma_f32 v8, v7, v4, v3
	v_fma_f32 v3, -v7, v3, v4
	v_div_fixup_f32 v1, v2, v1, 1.0
	v_mul_f32_e32 v7, v8, v1
	v_mul_f32_e32 v8, v3, v1
.LBB172_98:                             ;   in Loop: Header=BB172_84 Depth=1
	s_lshl_b32 s8, s19, 3
	s_add_i32 s9, s8, s20
	s_add_i32 s9, s9, -8
	v_mov_b32_e32 v1, s9
	ds_write_b64 v16, v[7:8]
	ds_read2_b64 v[16:19], v1 offset1:1
	s_lshl_b32 s9, s15, 3
	s_add_i32 s8, s8, s9
	v_mov_b32_e32 v1, s8
	ds_read2_b64 v[1:4], v1 offset1:1
	s_waitcnt lgkmcnt(1)
	v_mul_f32_e32 v20, v10, v19
	v_fma_f32 v20, v9, v18, -v20
	v_mul_f32_e32 v9, v9, v19
	v_fmac_f32_e32 v9, v10, v18
	v_sub_f32_e32 v6, v6, v9
	v_mul_f32_e32 v9, v12, v17
	v_sub_f32_e32 v5, v5, v20
	v_fma_f32 v9, v11, v16, -v9
	v_mul_f32_e32 v10, v11, v17
	v_fmac_f32_e32 v10, v12, v16
	v_sub_f32_e32 v5, v5, v9
	s_waitcnt lgkmcnt(0)
	v_mul_f32_e32 v9, v8, v4
	v_mul_f32_e32 v4, v7, v4
	v_sub_f32_e32 v6, v6, v10
	v_fma_f32 v9, v7, v3, -v9
	v_fmac_f32_e32 v4, v8, v3
	v_cmp_ngt_f32_e64 s[18:19], |v1|, |v2|
	v_sub_f32_e32 v5, v5, v9
	v_sub_f32_e32 v6, v6, v4
	s_mov_b64 s[8:9], -1
	s_and_b64 vcc, exec, s[18:19]
                                        ; implicit-def: $vgpr4
	s_cbranch_vccz .LBB172_100
; %bb.99:                               ;   in Loop: Header=BB172_84 Depth=1
	v_div_scale_f32 v3, s[8:9], v2, v2, v1
	v_div_scale_f32 v4, vcc, v1, v2, v1
	v_rcp_f32_e32 v7, v3
	v_fma_f32 v8, -v3, v7, 1.0
	v_fmac_f32_e32 v7, v8, v7
	v_mul_f32_e32 v8, v4, v7
	v_fma_f32 v9, -v3, v8, v4
	v_fmac_f32_e32 v8, v9, v7
	v_fma_f32 v3, -v3, v8, v4
	v_div_fmas_f32 v3, v3, v7, v8
	v_div_fixup_f32 v3, v3, v2, v1
	v_fma_f32 v4, v1, v3, v2
	v_div_scale_f32 v7, s[8:9], v4, v4, 1.0
	v_div_scale_f32 v8, vcc, 1.0, v4, 1.0
	s_mov_b64 s[8:9], 0
	v_rcp_f32_e32 v9, v7
	v_fma_f32 v10, -v7, v9, 1.0
	v_fmac_f32_e32 v9, v10, v9
	v_mul_f32_e32 v10, v8, v9
	v_fma_f32 v11, -v7, v10, v8
	v_fmac_f32_e32 v10, v11, v9
	v_fma_f32 v7, -v7, v10, v8
	v_div_fmas_f32 v7, v7, v9, v10
	v_fma_f32 v8, v3, v5, v6
	v_fma_f32 v9, v3, v6, -v5
	v_div_fixup_f32 v4, v7, v4, 1.0
	v_mul_f32_e32 v3, v8, v4
	v_mul_f32_e32 v4, v9, v4
.LBB172_100:                            ;   in Loop: Header=BB172_84 Depth=1
	s_andn2_b64 vcc, exec, s[8:9]
	s_cbranch_vccnz .LBB172_102
; %bb.101:                              ;   in Loop: Header=BB172_84 Depth=1
	v_div_scale_f32 v3, s[8:9], v1, v1, v2
	v_div_scale_f32 v4, vcc, v2, v1, v2
	v_rcp_f32_e32 v7, v3
	v_fma_f32 v8, -v3, v7, 1.0
	v_fmac_f32_e32 v7, v8, v7
	v_mul_f32_e32 v8, v4, v7
	v_fma_f32 v9, -v3, v8, v4
	v_fmac_f32_e32 v8, v9, v7
	v_fma_f32 v3, -v3, v8, v4
	v_div_fmas_f32 v3, v3, v7, v8
	v_div_fixup_f32 v3, v3, v1, v2
	v_fmac_f32_e32 v1, v2, v3
	v_div_scale_f32 v2, s[8:9], v1, v1, 1.0
	v_div_scale_f32 v4, vcc, 1.0, v1, 1.0
	v_rcp_f32_e32 v7, v2
	v_fma_f32 v8, -v2, v7, 1.0
	v_fmac_f32_e32 v7, v8, v7
	v_mul_f32_e32 v8, v4, v7
	v_fma_f32 v9, -v2, v8, v4
	v_fmac_f32_e32 v8, v9, v7
	v_fma_f32 v2, -v2, v8, v4
	v_div_fmas_f32 v2, v2, v7, v8
	v_fma_f32 v4, v3, v6, v5
	v_fma_f32 v5, -v3, v5, v6
	v_div_fixup_f32 v1, v2, v1, 1.0
	v_mul_f32_e32 v3, v4, v1
	v_mul_f32_e32 v4, v5, v1
.LBB172_102:                            ;   in Loop: Header=BB172_84 Depth=1
	s_add_i32 s15, s14, -4
	s_addk_i32 s13, 0xfc00
	s_cmp_lt_i32 s14, 7
	ds_write_b64 v15, v[3:4]
	s_cbranch_scc1 .LBB172_104
; %bb.103:                              ;   in Loop: Header=BB172_84 Depth=1
	s_mov_b32 s14, s15
	s_branch .LBB172_84
.LBB172_104:
	s_cmp_lt_i32 s15, 0
	s_cbranch_scc1 .LBB172_113
; %bb.105:
	v_lshlrev_b32_e32 v1, 3, v0
	s_lshl_b32 s8, s15, 8
	s_lshl_b32 s9, s24, 3
	v_lshl_or_b32 v1, s24, 8, v1
	s_add_i32 s8, s8, s9
	v_add_u32_e32 v7, 0x1f00, v1
	s_add_i32 s13, s8, -8
	s_branch .LBB172_107
.LBB172_106:                            ;   in Loop: Header=BB172_107 Depth=1
	v_sub_co_u32_e64 v1, s[8:9], s15, 1
	v_readfirstlane_b32 s15, v1
	s_addk_i32 s13, 0xff00
	s_and_b64 vcc, exec, s[8:9]
	ds_write_b64 v8, v[5:6]
	s_cbranch_vccnz .LBB172_113
.LBB172_107:                            ; =>This Loop Header: Depth=1
                                        ;     Child Loop BB172_108 Depth 2
	v_lshl_add_u32 v8, s15, 8, v13
	ds_read_b64 v[1:2], v8
	s_cmp_le_i32 s11, s15
	s_mov_b32 s8, s13
	v_mov_b32_e32 v3, v7
	s_mov_b32 s9, s11
	s_cbranch_scc1 .LBB172_109
.LBB172_108:                            ;   Parent Loop BB172_107 Depth=1
                                        ; =>  This Inner Loop Header: Depth=2
	v_mov_b32_e32 v6, s8
	ds_read_b64 v[4:5], v3
	ds_read_b64 v[9:10], v6
	s_add_i32 s9, s9, -1
	s_add_i32 s8, s8, -8
	v_add_u32_e32 v3, 0xffffff00, v3
	s_cmp_le_u32 s9, s15
	s_waitcnt lgkmcnt(0)
	v_mul_f32_e32 v6, v10, v5
	v_mul_f32_e32 v5, v9, v5
	v_fma_f32 v6, v9, v4, -v6
	v_fmac_f32_e32 v5, v10, v4
	v_sub_f32_e32 v1, v1, v6
	v_sub_f32_e32 v2, v2, v5
	s_cbranch_scc0 .LBB172_108
.LBB172_109:                            ;   in Loop: Header=BB172_107 Depth=1
	s_mul_i32 s8, s15, 0x108
	v_mov_b32_e32 v3, s8
	ds_read_b64 v[3:4], v3
	s_mov_b64 s[8:9], -1
                                        ; implicit-def: $vgpr5
	s_waitcnt lgkmcnt(0)
	v_cmp_ngt_f32_e64 s[18:19], |v3|, |v4|
	s_and_b64 vcc, exec, s[18:19]
	s_cbranch_vccz .LBB172_111
; %bb.110:                              ;   in Loop: Header=BB172_107 Depth=1
	v_div_scale_f32 v5, s[8:9], v4, v4, v3
	v_div_scale_f32 v6, vcc, v3, v4, v3
	v_rcp_f32_e32 v9, v5
	v_fma_f32 v10, -v5, v9, 1.0
	v_fmac_f32_e32 v9, v10, v9
	v_mul_f32_e32 v10, v6, v9
	v_fma_f32 v11, -v5, v10, v6
	v_fmac_f32_e32 v10, v11, v9
	v_fma_f32 v5, -v5, v10, v6
	v_div_fmas_f32 v5, v5, v9, v10
	v_div_fixup_f32 v5, v5, v4, v3
	v_fma_f32 v6, v3, v5, v4
	v_div_scale_f32 v9, s[8:9], v6, v6, 1.0
	v_div_scale_f32 v10, vcc, 1.0, v6, 1.0
	s_mov_b64 s[8:9], 0
	v_rcp_f32_e32 v11, v9
	v_fma_f32 v12, -v9, v11, 1.0
	v_fmac_f32_e32 v11, v12, v11
	v_mul_f32_e32 v12, v10, v11
	v_fma_f32 v14, -v9, v12, v10
	v_fmac_f32_e32 v12, v14, v11
	v_fma_f32 v9, -v9, v12, v10
	v_div_fmas_f32 v9, v9, v11, v12
	v_fma_f32 v10, v1, v5, v2
	v_fma_f32 v11, v2, v5, -v1
	v_div_fixup_f32 v6, v9, v6, 1.0
	v_mul_f32_e32 v5, v10, v6
	v_mul_f32_e32 v6, v11, v6
.LBB172_111:                            ;   in Loop: Header=BB172_107 Depth=1
	s_andn2_b64 vcc, exec, s[8:9]
	s_cbranch_vccnz .LBB172_106
; %bb.112:                              ;   in Loop: Header=BB172_107 Depth=1
	v_div_scale_f32 v5, s[8:9], v3, v3, v4
	v_div_scale_f32 v6, vcc, v4, v3, v4
	v_rcp_f32_e32 v9, v5
	v_fma_f32 v10, -v5, v9, 1.0
	v_fmac_f32_e32 v9, v10, v9
	v_mul_f32_e32 v10, v6, v9
	v_fma_f32 v11, -v5, v10, v6
	v_fmac_f32_e32 v10, v11, v9
	v_fma_f32 v5, -v5, v10, v6
	v_div_fmas_f32 v5, v5, v9, v10
	v_div_fixup_f32 v5, v5, v3, v4
	v_fmac_f32_e32 v3, v4, v5
	v_div_scale_f32 v4, s[8:9], v3, v3, 1.0
	v_div_scale_f32 v6, vcc, 1.0, v3, 1.0
	v_rcp_f32_e32 v9, v4
	v_fma_f32 v10, -v4, v9, 1.0
	v_fmac_f32_e32 v9, v10, v9
	v_mul_f32_e32 v10, v6, v9
	v_fma_f32 v11, -v4, v10, v6
	v_fmac_f32_e32 v10, v11, v9
	v_fma_f32 v4, -v4, v10, v6
	v_div_fmas_f32 v4, v4, v9, v10
	v_fma_f32 v6, v2, v5, v1
	v_fma_f32 v1, -v1, v5, v2
	v_div_fixup_f32 v2, v4, v3, 1.0
	v_mul_f32_e32 v5, v6, v2
	v_mul_f32_e32 v6, v1, v2
	s_branch .LBB172_106
.LBB172_113:
	s_mov_b64 s[20:21], 0
.LBB172_114:
	s_andn2_b64 vcc, exec, s[20:21]
	s_cbranch_vccnz .LBB172_146
; %bb.115:
	v_mov_b32_e32 v1, 0x2000
	v_lshl_or_b32 v13, v0, 3, v1
	s_cmp_lt_i32 s12, 4
	s_mov_b32 s14, 0
	s_cbranch_scc1 .LBB172_137
; %bb.116:
	s_mov_b32 s11, 0
	s_mov_b32 s13, 0
.LBB172_117:                            ; =>This Loop Header: Depth=1
                                        ;     Child Loop BB172_118 Depth 2
	s_or_b32 s8, s13, 3
	v_lshl_add_u32 v17, s13, 8, v13
	s_or_b32 s9, s13, 1
	s_or_b32 s14, s13, 2
	v_lshl_add_u32 v16, s9, 8, v13
	v_lshl_add_u32 v15, s14, 8, v13
	;; [unrolled: 1-line block ×3, first 2 shown]
	ds_read_b64 v[1:2], v17
	ds_read_b64 v[11:12], v16
	;; [unrolled: 1-line block ×4, first 2 shown]
	s_cmp_eq_u32 s13, 0
	s_mov_b32 s15, s11
	v_mov_b32_e32 v3, v13
	s_mov_b32 s18, s13
	s_cbranch_scc1 .LBB172_119
.LBB172_118:                            ;   Parent Loop BB172_117 Depth=1
                                        ; =>  This Inner Loop Header: Depth=2
	v_mov_b32_e32 v4, s15
	ds_read_b64 v[9:10], v3
	ds_read2_b64 v[18:21], v4 offset1:32
	ds_read2_b64 v[22:25], v4 offset0:64 offset1:96
	s_add_i32 s18, s18, -1
	s_add_i32 s15, s15, 8
	v_add_u32_e32 v3, 0x100, v3
	s_waitcnt lgkmcnt(1)
	v_mul_f32_e32 v4, v19, v10
	v_mul_f32_e32 v26, v18, v10
	;; [unrolled: 1-line block ×4, first 2 shown]
	s_waitcnt lgkmcnt(0)
	v_mul_f32_e32 v28, v23, v10
	v_mul_f32_e32 v23, v23, v9
	;; [unrolled: 1-line block ×4, first 2 shown]
	v_fma_f32 v4, v18, v9, -v4
	v_fmac_f32_e32 v26, v19, v9
	v_fma_f32 v18, v20, v9, -v27
	v_fmac_f32_e32 v21, v20, v10
	;; [unrolled: 2-line block ×4, first 2 shown]
	s_cmp_eq_u32 s18, 0
	v_sub_f32_e32 v1, v1, v4
	v_sub_f32_e32 v2, v2, v26
	;; [unrolled: 1-line block ×8, first 2 shown]
	s_cbranch_scc0 .LBB172_118
.LBB172_119:                            ;   in Loop: Header=BB172_117 Depth=1
	s_lshl_b32 s15, s8, 5
	s_mul_i32 s8, s13, 0x108
	v_mov_b32_e32 v3, s8
	ds_read_b64 v[3:4], v3
	s_lshl_b32 s18, s9, 5
	s_lshl_b32 s19, s14, 5
	s_mov_b64 s[8:9], -1
                                        ; implicit-def: $vgpr10
	s_waitcnt lgkmcnt(0)
	v_cmp_ngt_f32_e64 s[20:21], |v3|, |v4|
	s_and_b64 vcc, exec, s[20:21]
	s_cbranch_vccz .LBB172_121
; %bb.120:                              ;   in Loop: Header=BB172_117 Depth=1
	v_div_scale_f32 v9, s[8:9], v4, v4, v3
	v_div_scale_f32 v10, vcc, v3, v4, v3
	v_rcp_f32_e32 v18, v9
	v_fma_f32 v19, -v9, v18, 1.0
	v_fmac_f32_e32 v18, v19, v18
	v_mul_f32_e32 v19, v10, v18
	v_fma_f32 v20, -v9, v19, v10
	v_fmac_f32_e32 v19, v20, v18
	v_fma_f32 v9, -v9, v19, v10
	v_div_fmas_f32 v9, v9, v18, v19
	v_div_fixup_f32 v9, v9, v4, v3
	v_fma_f32 v10, v3, v9, v4
	v_div_scale_f32 v18, s[8:9], v10, v10, 1.0
	v_div_scale_f32 v19, vcc, 1.0, v10, 1.0
	s_mov_b64 s[8:9], 0
	v_rcp_f32_e32 v20, v18
	v_fma_f32 v21, -v18, v20, 1.0
	v_fmac_f32_e32 v20, v21, v20
	v_mul_f32_e32 v21, v19, v20
	v_fma_f32 v22, -v18, v21, v19
	v_fmac_f32_e32 v21, v22, v20
	v_fma_f32 v18, -v18, v21, v19
	v_div_fmas_f32 v18, v18, v20, v21
	v_fma_f32 v19, v1, v9, v2
	v_fma_f32 v20, v2, v9, -v1
	v_div_fixup_f32 v10, v18, v10, 1.0
	v_mul_f32_e32 v9, v19, v10
	v_mul_f32_e32 v10, v20, v10
.LBB172_121:                            ;   in Loop: Header=BB172_117 Depth=1
	s_andn2_b64 vcc, exec, s[8:9]
	s_cbranch_vccnz .LBB172_123
; %bb.122:                              ;   in Loop: Header=BB172_117 Depth=1
	v_div_scale_f32 v9, s[8:9], v3, v3, v4
	v_div_scale_f32 v10, vcc, v4, v3, v4
	v_rcp_f32_e32 v18, v9
	v_fma_f32 v19, -v9, v18, 1.0
	v_fmac_f32_e32 v18, v19, v18
	v_mul_f32_e32 v19, v10, v18
	v_fma_f32 v20, -v9, v19, v10
	v_fmac_f32_e32 v19, v20, v18
	v_fma_f32 v9, -v9, v19, v10
	v_div_fmas_f32 v9, v9, v18, v19
	v_div_fixup_f32 v9, v9, v3, v4
	v_fmac_f32_e32 v3, v4, v9
	v_div_scale_f32 v4, s[8:9], v3, v3, 1.0
	v_div_scale_f32 v10, vcc, 1.0, v3, 1.0
	v_rcp_f32_e32 v18, v4
	v_fma_f32 v19, -v4, v18, 1.0
	v_fmac_f32_e32 v18, v19, v18
	v_mul_f32_e32 v19, v10, v18
	v_fma_f32 v20, -v4, v19, v10
	v_fmac_f32_e32 v19, v20, v18
	v_fma_f32 v4, -v4, v19, v10
	v_div_fmas_f32 v4, v4, v18, v19
	v_fma_f32 v10, v2, v9, v1
	v_fma_f32 v1, -v1, v9, v2
	v_div_fixup_f32 v2, v4, v3, 1.0
	v_mul_f32_e32 v9, v10, v2
	v_mul_f32_e32 v10, v1, v2
.LBB172_123:                            ;   in Loop: Header=BB172_117 Depth=1
	s_lshl_b32 s8, s18, 3
	s_lshl_b32 s18, s13, 3
	s_add_i32 s8, s8, s18
	v_mov_b32_e32 v1, s8
	ds_read_b128 v[1:4], v1
	ds_write_b64 v17, v[9:10]
	s_mov_b64 s[8:9], -1
	s_waitcnt lgkmcnt(1)
	v_mul_f32_e32 v17, v10, v2
	v_mul_f32_e32 v2, v9, v2
	v_fma_f32 v17, v9, v1, -v17
	v_fmac_f32_e32 v2, v10, v1
	v_cmp_ngt_f32_e64 s[20:21], |v3|, |v4|
	v_sub_f32_e32 v1, v11, v17
	v_sub_f32_e32 v2, v12, v2
	s_and_b64 vcc, exec, s[20:21]
                                        ; implicit-def: $vgpr12
	s_cbranch_vccz .LBB172_125
; %bb.124:                              ;   in Loop: Header=BB172_117 Depth=1
	v_div_scale_f32 v11, s[8:9], v4, v4, v3
	v_div_scale_f32 v12, vcc, v3, v4, v3
	v_rcp_f32_e32 v17, v11
	v_fma_f32 v18, -v11, v17, 1.0
	v_fmac_f32_e32 v17, v18, v17
	v_mul_f32_e32 v18, v12, v17
	v_fma_f32 v19, -v11, v18, v12
	v_fmac_f32_e32 v18, v19, v17
	v_fma_f32 v11, -v11, v18, v12
	v_div_fmas_f32 v11, v11, v17, v18
	v_div_fixup_f32 v11, v11, v4, v3
	v_fma_f32 v12, v3, v11, v4
	v_div_scale_f32 v17, s[8:9], v12, v12, 1.0
	v_div_scale_f32 v18, vcc, 1.0, v12, 1.0
	s_mov_b64 s[8:9], 0
	v_rcp_f32_e32 v19, v17
	v_fma_f32 v20, -v17, v19, 1.0
	v_fmac_f32_e32 v19, v20, v19
	v_mul_f32_e32 v20, v18, v19
	v_fma_f32 v21, -v17, v20, v18
	v_fmac_f32_e32 v20, v21, v19
	v_fma_f32 v17, -v17, v20, v18
	v_div_fmas_f32 v17, v17, v19, v20
	v_fma_f32 v18, v11, v1, v2
	v_fma_f32 v19, v11, v2, -v1
	v_div_fixup_f32 v12, v17, v12, 1.0
	v_mul_f32_e32 v11, v18, v12
	v_mul_f32_e32 v12, v19, v12
.LBB172_125:                            ;   in Loop: Header=BB172_117 Depth=1
	s_andn2_b64 vcc, exec, s[8:9]
	s_cbranch_vccnz .LBB172_127
; %bb.126:                              ;   in Loop: Header=BB172_117 Depth=1
	v_div_scale_f32 v11, s[8:9], v3, v3, v4
	v_div_scale_f32 v12, vcc, v4, v3, v4
	v_rcp_f32_e32 v17, v11
	v_fma_f32 v18, -v11, v17, 1.0
	v_fmac_f32_e32 v17, v18, v17
	v_mul_f32_e32 v18, v12, v17
	v_fma_f32 v19, -v11, v18, v12
	v_fmac_f32_e32 v18, v19, v17
	v_fma_f32 v11, -v11, v18, v12
	v_div_fmas_f32 v11, v11, v17, v18
	v_div_fixup_f32 v11, v11, v3, v4
	v_fmac_f32_e32 v3, v4, v11
	v_div_scale_f32 v4, s[8:9], v3, v3, 1.0
	v_div_scale_f32 v12, vcc, 1.0, v3, 1.0
	v_rcp_f32_e32 v17, v4
	v_fma_f32 v18, -v4, v17, 1.0
	v_fmac_f32_e32 v17, v18, v17
	v_mul_f32_e32 v18, v12, v17
	v_fma_f32 v19, -v4, v18, v12
	v_fmac_f32_e32 v18, v19, v17
	v_fma_f32 v4, -v4, v18, v12
	v_div_fmas_f32 v4, v4, v17, v18
	v_fma_f32 v12, v11, v2, v1
	v_fma_f32 v1, -v11, v1, v2
	v_div_fixup_f32 v2, v4, v3, 1.0
	v_mul_f32_e32 v11, v12, v2
	v_mul_f32_e32 v12, v1, v2
.LBB172_127:                            ;   in Loop: Header=BB172_117 Depth=1
	s_lshl_b32 s8, s19, 3
	s_add_i32 s9, s8, s18
	v_mov_b32_e32 v1, s9
	ds_write_b64 v16, v[11:12]
	ds_read_b128 v[16:19], v1
	s_lshl_b32 s9, s14, 3
	s_add_i32 s8, s8, s9
	v_mov_b32_e32 v1, s8
	ds_read_b64 v[1:2], v1
	s_waitcnt lgkmcnt(1)
	v_mul_f32_e32 v3, v10, v17
	v_mul_f32_e32 v4, v9, v17
	v_fma_f32 v3, v9, v16, -v3
	v_fmac_f32_e32 v4, v10, v16
	v_sub_f32_e32 v3, v7, v3
	v_sub_f32_e32 v4, v8, v4
	v_mul_f32_e32 v7, v12, v19
	v_mul_f32_e32 v8, v11, v19
	v_fma_f32 v7, v11, v18, -v7
	v_fmac_f32_e32 v8, v12, v18
	s_waitcnt lgkmcnt(0)
	v_cmp_ngt_f32_e64 s[20:21], |v1|, |v2|
	v_sub_f32_e32 v3, v3, v7
	v_sub_f32_e32 v4, v4, v8
	s_mov_b64 s[8:9], -1
	s_and_b64 vcc, exec, s[20:21]
                                        ; implicit-def: $vgpr8
	s_cbranch_vccz .LBB172_129
; %bb.128:                              ;   in Loop: Header=BB172_117 Depth=1
	v_div_scale_f32 v7, s[8:9], v2, v2, v1
	v_div_scale_f32 v8, vcc, v1, v2, v1
	v_rcp_f32_e32 v16, v7
	v_fma_f32 v17, -v7, v16, 1.0
	v_fmac_f32_e32 v16, v17, v16
	v_mul_f32_e32 v17, v8, v16
	v_fma_f32 v18, -v7, v17, v8
	v_fmac_f32_e32 v17, v18, v16
	v_fma_f32 v7, -v7, v17, v8
	v_div_fmas_f32 v7, v7, v16, v17
	v_div_fixup_f32 v7, v7, v2, v1
	v_fma_f32 v8, v1, v7, v2
	v_div_scale_f32 v16, s[8:9], v8, v8, 1.0
	v_div_scale_f32 v17, vcc, 1.0, v8, 1.0
	s_mov_b64 s[8:9], 0
	v_rcp_f32_e32 v18, v16
	v_fma_f32 v19, -v16, v18, 1.0
	v_fmac_f32_e32 v18, v19, v18
	v_mul_f32_e32 v19, v17, v18
	v_fma_f32 v20, -v16, v19, v17
	v_fmac_f32_e32 v19, v20, v18
	v_fma_f32 v16, -v16, v19, v17
	v_div_fmas_f32 v16, v16, v18, v19
	v_fma_f32 v17, v7, v3, v4
	v_fma_f32 v18, v7, v4, -v3
	v_div_fixup_f32 v8, v16, v8, 1.0
	v_mul_f32_e32 v7, v17, v8
	v_mul_f32_e32 v8, v18, v8
.LBB172_129:                            ;   in Loop: Header=BB172_117 Depth=1
	s_andn2_b64 vcc, exec, s[8:9]
	s_cbranch_vccnz .LBB172_131
; %bb.130:                              ;   in Loop: Header=BB172_117 Depth=1
	v_div_scale_f32 v7, s[8:9], v1, v1, v2
	v_div_scale_f32 v8, vcc, v2, v1, v2
	v_rcp_f32_e32 v16, v7
	v_fma_f32 v17, -v7, v16, 1.0
	v_fmac_f32_e32 v16, v17, v16
	v_mul_f32_e32 v17, v8, v16
	v_fma_f32 v18, -v7, v17, v8
	v_fmac_f32_e32 v17, v18, v16
	v_fma_f32 v7, -v7, v17, v8
	v_div_fmas_f32 v7, v7, v16, v17
	v_div_fixup_f32 v7, v7, v1, v2
	v_fmac_f32_e32 v1, v2, v7
	v_div_scale_f32 v2, s[8:9], v1, v1, 1.0
	v_div_scale_f32 v8, vcc, 1.0, v1, 1.0
	v_rcp_f32_e32 v16, v2
	v_fma_f32 v17, -v2, v16, 1.0
	v_fmac_f32_e32 v16, v17, v16
	v_mul_f32_e32 v17, v8, v16
	v_fma_f32 v18, -v2, v17, v8
	v_fmac_f32_e32 v17, v18, v16
	v_fma_f32 v2, -v2, v17, v8
	v_div_fmas_f32 v2, v2, v16, v17
	v_fma_f32 v8, v7, v4, v3
	v_fma_f32 v3, -v7, v3, v4
	v_div_fixup_f32 v1, v2, v1, 1.0
	v_mul_f32_e32 v7, v8, v1
	v_mul_f32_e32 v8, v3, v1
.LBB172_131:                            ;   in Loop: Header=BB172_117 Depth=1
	s_lshl_b32 s8, s15, 3
	s_add_i32 s8, s8, s18
	v_mov_b32_e32 v1, s8
	ds_read_b128 v[16:19], v1
	ds_read_b128 v[1:4], v1 offset:16
	ds_write_b64 v15, v[7:8]
	s_mov_b64 s[8:9], -1
	s_waitcnt lgkmcnt(2)
	v_mul_f32_e32 v15, v10, v17
	v_mul_f32_e32 v17, v9, v17
	v_fma_f32 v9, v9, v16, -v15
	v_sub_f32_e32 v5, v5, v9
	v_mul_f32_e32 v9, v12, v19
	v_fmac_f32_e32 v17, v10, v16
	v_fma_f32 v9, v11, v18, -v9
	v_mul_f32_e32 v10, v11, v19
	v_sub_f32_e32 v6, v6, v17
	v_fmac_f32_e32 v10, v12, v18
	v_sub_f32_e32 v5, v5, v9
	s_waitcnt lgkmcnt(1)
	v_mul_f32_e32 v9, v8, v2
	v_mul_f32_e32 v2, v7, v2
	v_sub_f32_e32 v6, v6, v10
	v_fma_f32 v9, v7, v1, -v9
	v_fmac_f32_e32 v2, v8, v1
	v_cmp_ngt_f32_e64 s[14:15], |v3|, |v4|
	v_sub_f32_e32 v5, v5, v9
	v_sub_f32_e32 v6, v6, v2
	s_and_b64 vcc, exec, s[14:15]
                                        ; implicit-def: $vgpr2
	s_cbranch_vccz .LBB172_133
; %bb.132:                              ;   in Loop: Header=BB172_117 Depth=1
	v_div_scale_f32 v1, s[8:9], v4, v4, v3
	v_div_scale_f32 v2, vcc, v3, v4, v3
	v_rcp_f32_e32 v7, v1
	v_fma_f32 v8, -v1, v7, 1.0
	v_fmac_f32_e32 v7, v8, v7
	v_mul_f32_e32 v8, v2, v7
	v_fma_f32 v9, -v1, v8, v2
	v_fmac_f32_e32 v8, v9, v7
	v_fma_f32 v1, -v1, v8, v2
	v_div_fmas_f32 v1, v1, v7, v8
	v_div_fixup_f32 v1, v1, v4, v3
	v_fma_f32 v2, v3, v1, v4
	v_div_scale_f32 v7, s[8:9], v2, v2, 1.0
	v_div_scale_f32 v8, vcc, 1.0, v2, 1.0
	s_mov_b64 s[8:9], 0
	v_rcp_f32_e32 v9, v7
	v_fma_f32 v10, -v7, v9, 1.0
	v_fmac_f32_e32 v9, v10, v9
	v_mul_f32_e32 v10, v8, v9
	v_fma_f32 v11, -v7, v10, v8
	v_fmac_f32_e32 v10, v11, v9
	v_fma_f32 v7, -v7, v10, v8
	v_div_fmas_f32 v7, v7, v9, v10
	v_fma_f32 v8, v1, v5, v6
	v_fma_f32 v9, v1, v6, -v5
	v_div_fixup_f32 v2, v7, v2, 1.0
	v_mul_f32_e32 v1, v8, v2
	v_mul_f32_e32 v2, v9, v2
.LBB172_133:                            ;   in Loop: Header=BB172_117 Depth=1
	s_andn2_b64 vcc, exec, s[8:9]
	s_cbranch_vccnz .LBB172_135
; %bb.134:                              ;   in Loop: Header=BB172_117 Depth=1
	v_div_scale_f32 v1, s[8:9], v3, v3, v4
	v_div_scale_f32 v2, vcc, v4, v3, v4
	v_rcp_f32_e32 v7, v1
	v_fma_f32 v8, -v1, v7, 1.0
	v_fmac_f32_e32 v7, v8, v7
	v_mul_f32_e32 v8, v2, v7
	v_fma_f32 v9, -v1, v8, v2
	v_fmac_f32_e32 v8, v9, v7
	v_fma_f32 v1, -v1, v8, v2
	v_div_fmas_f32 v1, v1, v7, v8
	v_div_fixup_f32 v1, v1, v3, v4
	v_fmac_f32_e32 v3, v4, v1
	v_div_scale_f32 v2, s[8:9], v3, v3, 1.0
	v_div_scale_f32 v4, vcc, 1.0, v3, 1.0
	v_rcp_f32_e32 v7, v2
	v_fma_f32 v8, -v2, v7, 1.0
	v_fmac_f32_e32 v7, v8, v7
	v_mul_f32_e32 v8, v4, v7
	v_fma_f32 v9, -v2, v8, v4
	v_fmac_f32_e32 v8, v9, v7
	v_fma_f32 v2, -v2, v8, v4
	v_div_fmas_f32 v2, v2, v7, v8
	v_fma_f32 v4, v1, v6, v5
	v_fma_f32 v5, -v1, v5, v6
	v_div_fixup_f32 v2, v2, v3, 1.0
	v_mul_f32_e32 v1, v4, v2
	v_mul_f32_e32 v2, v5, v2
.LBB172_135:                            ;   in Loop: Header=BB172_117 Depth=1
	s_add_i32 s14, s13, 4
	s_add_i32 s8, s13, 7
	s_addk_i32 s11, 0x400
	s_cmp_ge_i32 s8, s24
	ds_write_b64 v14, v[1:2]
	s_cbranch_scc1 .LBB172_137
; %bb.136:                              ;   in Loop: Header=BB172_117 Depth=1
	s_mov_b32 s13, s14
	s_branch .LBB172_117
.LBB172_137:
	s_cmp_ge_i32 s14, s24
	s_cbranch_scc1 .LBB172_146
; %bb.138:
	v_mov_b32_e32 v1, 0x2000
	v_lshl_or_b32 v7, v0, 3, v1
	s_lshl_b32 s11, s14, 8
	s_branch .LBB172_140
.LBB172_139:                            ;   in Loop: Header=BB172_140 Depth=1
	s_add_i32 s14, s14, 1
	s_addk_i32 s11, 0x100
	s_cmp_ge_i32 s14, s24
	ds_write_b64 v8, v[5:6]
	s_cbranch_scc1 .LBB172_146
.LBB172_140:                            ; =>This Loop Header: Depth=1
                                        ;     Child Loop BB172_141 Depth 2
	v_lshl_add_u32 v8, s14, 8, v13
	ds_read_b64 v[1:2], v8
	s_cmp_eq_u32 s14, 0
	s_mov_b32 s8, s11
	v_mov_b32_e32 v3, v7
	s_mov_b32 s9, s14
	s_cbranch_scc1 .LBB172_142
.LBB172_141:                            ;   Parent Loop BB172_140 Depth=1
                                        ; =>  This Inner Loop Header: Depth=2
	v_mov_b32_e32 v6, s8
	ds_read_b64 v[4:5], v3
	ds_read_b64 v[9:10], v6
	s_add_i32 s9, s9, -1
	s_add_i32 s8, s8, 8
	v_add_u32_e32 v3, 0x100, v3
	s_cmp_eq_u32 s9, 0
	s_waitcnt lgkmcnt(0)
	v_mul_f32_e32 v6, v10, v5
	v_mul_f32_e32 v5, v9, v5
	v_fma_f32 v6, v9, v4, -v6
	v_fmac_f32_e32 v5, v10, v4
	v_sub_f32_e32 v1, v1, v6
	v_sub_f32_e32 v2, v2, v5
	s_cbranch_scc0 .LBB172_141
.LBB172_142:                            ;   in Loop: Header=BB172_140 Depth=1
	s_mul_i32 s8, s14, 0x108
	v_mov_b32_e32 v3, s8
	ds_read_b64 v[3:4], v3
	s_mov_b64 s[8:9], -1
                                        ; implicit-def: $vgpr5
	s_waitcnt lgkmcnt(0)
	v_cmp_ngt_f32_e64 s[18:19], |v3|, |v4|
	s_and_b64 vcc, exec, s[18:19]
	s_cbranch_vccz .LBB172_144
; %bb.143:                              ;   in Loop: Header=BB172_140 Depth=1
	v_div_scale_f32 v5, s[8:9], v4, v4, v3
	v_div_scale_f32 v6, vcc, v3, v4, v3
	v_rcp_f32_e32 v9, v5
	v_fma_f32 v10, -v5, v9, 1.0
	v_fmac_f32_e32 v9, v10, v9
	v_mul_f32_e32 v10, v6, v9
	v_fma_f32 v11, -v5, v10, v6
	v_fmac_f32_e32 v10, v11, v9
	v_fma_f32 v5, -v5, v10, v6
	v_div_fmas_f32 v5, v5, v9, v10
	v_div_fixup_f32 v5, v5, v4, v3
	v_fma_f32 v6, v3, v5, v4
	v_div_scale_f32 v9, s[8:9], v6, v6, 1.0
	v_div_scale_f32 v10, vcc, 1.0, v6, 1.0
	s_mov_b64 s[8:9], 0
	v_rcp_f32_e32 v11, v9
	v_fma_f32 v12, -v9, v11, 1.0
	v_fmac_f32_e32 v11, v12, v11
	v_mul_f32_e32 v12, v10, v11
	v_fma_f32 v14, -v9, v12, v10
	v_fmac_f32_e32 v12, v14, v11
	v_fma_f32 v9, -v9, v12, v10
	v_div_fmas_f32 v9, v9, v11, v12
	v_fma_f32 v10, v1, v5, v2
	v_fma_f32 v11, v2, v5, -v1
	v_div_fixup_f32 v6, v9, v6, 1.0
	v_mul_f32_e32 v5, v10, v6
	v_mul_f32_e32 v6, v11, v6
.LBB172_144:                            ;   in Loop: Header=BB172_140 Depth=1
	s_andn2_b64 vcc, exec, s[8:9]
	s_cbranch_vccnz .LBB172_139
; %bb.145:                              ;   in Loop: Header=BB172_140 Depth=1
	v_div_scale_f32 v5, s[8:9], v3, v3, v4
	v_div_scale_f32 v6, vcc, v4, v3, v4
	v_rcp_f32_e32 v9, v5
	v_fma_f32 v10, -v5, v9, 1.0
	v_fmac_f32_e32 v9, v10, v9
	v_mul_f32_e32 v10, v6, v9
	v_fma_f32 v11, -v5, v10, v6
	v_fmac_f32_e32 v10, v11, v9
	v_fma_f32 v5, -v5, v10, v6
	v_div_fmas_f32 v5, v5, v9, v10
	v_div_fixup_f32 v5, v5, v3, v4
	v_fmac_f32_e32 v3, v4, v5
	v_div_scale_f32 v4, s[8:9], v3, v3, 1.0
	v_div_scale_f32 v6, vcc, 1.0, v3, 1.0
	v_rcp_f32_e32 v9, v4
	v_fma_f32 v10, -v4, v9, 1.0
	v_fmac_f32_e32 v9, v10, v9
	v_mul_f32_e32 v10, v6, v9
	v_fma_f32 v11, -v4, v10, v6
	v_fmac_f32_e32 v10, v11, v9
	v_fma_f32 v4, -v4, v10, v6
	v_div_fmas_f32 v4, v4, v9, v10
	v_fma_f32 v6, v2, v5, v1
	v_fma_f32 v1, -v1, v5, v2
	v_div_fixup_f32 v2, v4, v3, 1.0
	v_mul_f32_e32 v5, v6, v2
	v_mul_f32_e32 v6, v1, v2
	s_branch .LBB172_139
.LBB172_146:
	s_and_saveexec_b64 s[8:9], s[0:1]
	s_cbranch_execz .LBB172_150
; %bb.147:
	s_cmp_lt_i32 s12, 1
	s_cbranch_scc1 .LBB172_150
; %bb.148:
	s_lshl_b64 s[0:1], s[4:5], 3
	s_add_u32 s2, s2, s0
	s_addc_u32 s3, s3, s1
	s_lshl_b64 s[0:1], s[16:17], 3
	s_add_u32 s0, s2, s0
	s_addc_u32 s1, s3, s1
	s_add_u32 s0, s0, s6
	s_addc_u32 s1, s1, s7
	s_ashr_i32 s11, s10, 31
	v_lshlrev_b32_e32 v2, 3, v0
	v_mov_b32_e32 v1, s1
	v_add_co_u32_e32 v0, vcc, s0, v2
	s_lshl_b64 s[0:1], s[10:11], 3
	v_addc_co_u32_e32 v1, vcc, 0, v1, vcc
	v_or_b32_e32 v2, 0x2000, v2
	v_mov_b32_e32 v3, s1
.LBB172_149:                            ; =>This Inner Loop Header: Depth=1
	ds_read_b64 v[4:5], v2
	s_add_i32 s12, s12, -1
	v_add_u32_e32 v2, 0x100, v2
	s_cmp_lg_u32 s12, 0
	s_waitcnt lgkmcnt(0)
	global_store_dwordx2 v[0:1], v[4:5], off
	v_add_co_u32_e32 v0, vcc, s0, v0
	v_addc_co_u32_e32 v1, vcc, v1, v3, vcc
	s_cbranch_scc1 .LBB172_149
.LBB172_150:
	s_endpgm
	.section	.rodata,"a",@progbits
	.p2align	6, 0x0
	.amdhsa_kernel _ZL31rocblas_trsm_small_right_deviceI19rocblas_complex_numIfES1_PKS1_PS1_Li32EEv13rocblas_fill_18rocblas_operation_17rocblas_diagonal_iiT0_T1_lilT2_lili
		.amdhsa_group_segment_fixed_size 16384
		.amdhsa_private_segment_fixed_size 0
		.amdhsa_kernarg_size 360
		.amdhsa_user_sgpr_count 6
		.amdhsa_user_sgpr_private_segment_buffer 1
		.amdhsa_user_sgpr_dispatch_ptr 0
		.amdhsa_user_sgpr_queue_ptr 0
		.amdhsa_user_sgpr_kernarg_segment_ptr 1
		.amdhsa_user_sgpr_dispatch_id 0
		.amdhsa_user_sgpr_flat_scratch_init 0
		.amdhsa_user_sgpr_private_segment_size 0
		.amdhsa_uses_dynamic_stack 0
		.amdhsa_system_sgpr_private_segment_wavefront_offset 0
		.amdhsa_system_sgpr_workgroup_id_x 1
		.amdhsa_system_sgpr_workgroup_id_y 0
		.amdhsa_system_sgpr_workgroup_id_z 1
		.amdhsa_system_sgpr_workgroup_info 0
		.amdhsa_system_vgpr_workitem_id 0
		.amdhsa_next_free_vgpr 129
		.amdhsa_next_free_sgpr 98
		.amdhsa_reserve_vcc 1
		.amdhsa_reserve_flat_scratch 0
		.amdhsa_float_round_mode_32 0
		.amdhsa_float_round_mode_16_64 0
		.amdhsa_float_denorm_mode_32 3
		.amdhsa_float_denorm_mode_16_64 3
		.amdhsa_dx10_clamp 1
		.amdhsa_ieee_mode 1
		.amdhsa_fp16_overflow 0
		.amdhsa_exception_fp_ieee_invalid_op 0
		.amdhsa_exception_fp_denorm_src 0
		.amdhsa_exception_fp_ieee_div_zero 0
		.amdhsa_exception_fp_ieee_overflow 0
		.amdhsa_exception_fp_ieee_underflow 0
		.amdhsa_exception_fp_ieee_inexact 0
		.amdhsa_exception_int_div_zero 0
	.end_amdhsa_kernel
	.section	.text._ZL31rocblas_trsm_small_right_deviceI19rocblas_complex_numIfES1_PKS1_PS1_Li32EEv13rocblas_fill_18rocblas_operation_17rocblas_diagonal_iiT0_T1_lilT2_lili,"axG",@progbits,_ZL31rocblas_trsm_small_right_deviceI19rocblas_complex_numIfES1_PKS1_PS1_Li32EEv13rocblas_fill_18rocblas_operation_17rocblas_diagonal_iiT0_T1_lilT2_lili,comdat
.Lfunc_end172:
	.size	_ZL31rocblas_trsm_small_right_deviceI19rocblas_complex_numIfES1_PKS1_PS1_Li32EEv13rocblas_fill_18rocblas_operation_17rocblas_diagonal_iiT0_T1_lilT2_lili, .Lfunc_end172-_ZL31rocblas_trsm_small_right_deviceI19rocblas_complex_numIfES1_PKS1_PS1_Li32EEv13rocblas_fill_18rocblas_operation_17rocblas_diagonal_iiT0_T1_lilT2_lili
                                        ; -- End function
	.set _ZL31rocblas_trsm_small_right_deviceI19rocblas_complex_numIfES1_PKS1_PS1_Li32EEv13rocblas_fill_18rocblas_operation_17rocblas_diagonal_iiT0_T1_lilT2_lili.num_vgpr, 31
	.set _ZL31rocblas_trsm_small_right_deviceI19rocblas_complex_numIfES1_PKS1_PS1_Li32EEv13rocblas_fill_18rocblas_operation_17rocblas_diagonal_iiT0_T1_lilT2_lili.num_agpr, 0
	.set _ZL31rocblas_trsm_small_right_deviceI19rocblas_complex_numIfES1_PKS1_PS1_Li32EEv13rocblas_fill_18rocblas_operation_17rocblas_diagonal_iiT0_T1_lilT2_lili.numbered_sgpr, 32
	.set _ZL31rocblas_trsm_small_right_deviceI19rocblas_complex_numIfES1_PKS1_PS1_Li32EEv13rocblas_fill_18rocblas_operation_17rocblas_diagonal_iiT0_T1_lilT2_lili.num_named_barrier, 0
	.set _ZL31rocblas_trsm_small_right_deviceI19rocblas_complex_numIfES1_PKS1_PS1_Li32EEv13rocblas_fill_18rocblas_operation_17rocblas_diagonal_iiT0_T1_lilT2_lili.private_seg_size, 0
	.set _ZL31rocblas_trsm_small_right_deviceI19rocblas_complex_numIfES1_PKS1_PS1_Li32EEv13rocblas_fill_18rocblas_operation_17rocblas_diagonal_iiT0_T1_lilT2_lili.uses_vcc, 1
	.set _ZL31rocblas_trsm_small_right_deviceI19rocblas_complex_numIfES1_PKS1_PS1_Li32EEv13rocblas_fill_18rocblas_operation_17rocblas_diagonal_iiT0_T1_lilT2_lili.uses_flat_scratch, 0
	.set _ZL31rocblas_trsm_small_right_deviceI19rocblas_complex_numIfES1_PKS1_PS1_Li32EEv13rocblas_fill_18rocblas_operation_17rocblas_diagonal_iiT0_T1_lilT2_lili.has_dyn_sized_stack, 0
	.set _ZL31rocblas_trsm_small_right_deviceI19rocblas_complex_numIfES1_PKS1_PS1_Li32EEv13rocblas_fill_18rocblas_operation_17rocblas_diagonal_iiT0_T1_lilT2_lili.has_recursion, 0
	.set _ZL31rocblas_trsm_small_right_deviceI19rocblas_complex_numIfES1_PKS1_PS1_Li32EEv13rocblas_fill_18rocblas_operation_17rocblas_diagonal_iiT0_T1_lilT2_lili.has_indirect_call, 0
	.section	.AMDGPU.csdata,"",@progbits
; Kernel info:
; codeLenInByte = 12120
; TotalNumSgprs: 36
; NumVgprs: 31
; ScratchSize: 0
; MemoryBound: 0
; FloatMode: 240
; IeeeMode: 1
; LDSByteSize: 16384 bytes/workgroup (compile time only)
; SGPRBlocks: 12
; VGPRBlocks: 32
; NumSGPRsForWavesPerEU: 102
; NumVGPRsForWavesPerEU: 129
; Occupancy: 1
; WaveLimiterHint : 0
; COMPUTE_PGM_RSRC2:SCRATCH_EN: 0
; COMPUTE_PGM_RSRC2:USER_SGPR: 6
; COMPUTE_PGM_RSRC2:TRAP_HANDLER: 0
; COMPUTE_PGM_RSRC2:TGID_X_EN: 1
; COMPUTE_PGM_RSRC2:TGID_Y_EN: 0
; COMPUTE_PGM_RSRC2:TGID_Z_EN: 1
; COMPUTE_PGM_RSRC2:TIDIG_COMP_CNT: 0
	.section	.text._ZL38rocblas_trsm_small_left_device_sharedBILi64ELi32ELb0E19rocblas_complex_numIfES1_PKS1_PS1_Ev13rocblas_fill_18rocblas_operation_17rocblas_diagonal_iiT3_T4_lilT5_lili,"axG",@progbits,_ZL38rocblas_trsm_small_left_device_sharedBILi64ELi32ELb0E19rocblas_complex_numIfES1_PKS1_PS1_Ev13rocblas_fill_18rocblas_operation_17rocblas_diagonal_iiT3_T4_lilT5_lili,comdat
	.globl	_ZL38rocblas_trsm_small_left_device_sharedBILi64ELi32ELb0E19rocblas_complex_numIfES1_PKS1_PS1_Ev13rocblas_fill_18rocblas_operation_17rocblas_diagonal_iiT3_T4_lilT5_lili ; -- Begin function _ZL38rocblas_trsm_small_left_device_sharedBILi64ELi32ELb0E19rocblas_complex_numIfES1_PKS1_PS1_Ev13rocblas_fill_18rocblas_operation_17rocblas_diagonal_iiT3_T4_lilT5_lili
	.p2align	8
	.type	_ZL38rocblas_trsm_small_left_device_sharedBILi64ELi32ELb0E19rocblas_complex_numIfES1_PKS1_PS1_Ev13rocblas_fill_18rocblas_operation_17rocblas_diagonal_iiT3_T4_lilT5_lili,@function
_ZL38rocblas_trsm_small_left_device_sharedBILi64ELi32ELb0E19rocblas_complex_numIfES1_PKS1_PS1_Ev13rocblas_fill_18rocblas_operation_17rocblas_diagonal_iiT3_T4_lilT5_lili: ; @_ZL38rocblas_trsm_small_left_device_sharedBILi64ELi32ELb0E19rocblas_complex_numIfES1_PKS1_PS1_Ev13rocblas_fill_18rocblas_operation_17rocblas_diagonal_iiT3_T4_lilT5_lili
; %bb.0:
	s_add_u32 s0, s0, s8
	s_load_dwordx4 s[12:15], s[4:5], 0x4
	s_load_dwordx2 s[20:21], s[4:5], 0x14
	s_load_dwordx4 s[8:11], s[4:5], 0x38
	s_load_dwordx2 s[16:17], s[4:5], 0x48
	s_load_dword s27, s[4:5], 0x68
	s_addc_u32 s1, s1, 0
	s_waitcnt lgkmcnt(0)
	s_min_i32 s26, s14, 64
	v_cmp_gt_i32_e32 vcc, s26, v0
	s_and_saveexec_b64 s[18:19], vcc
	s_cbranch_execz .LBB173_15
; %bb.1:
	s_load_dword s24, s[4:5], 0x30
	s_load_dwordx4 s[28:31], s[4:5], 0x20
	s_mul_i32 s9, s9, s7
	s_mul_hi_u32 s33, s8, s7
	s_mul_i32 s8, s8, s7
	s_waitcnt lgkmcnt(0)
	s_ashr_i32 s25, s24, 31
	s_cmpk_lg_i32 s12, 0x71
	s_cselect_b64 s[22:23], -1, 0
	s_add_i32 s9, s33, s9
	s_lshl_b64 s[8:9], s[8:9], 3
	s_lshl_b64 s[30:31], s[30:31], 3
	s_add_u32 s8, s8, s30
	s_addc_u32 s9, s9, s31
	s_add_u32 s8, s28, s8
	v_lshlrev_b32_e32 v5, 3, v0
	s_addc_u32 s9, s29, s9
	v_mov_b32_e32 v1, s9
	v_add_co_u32_e32 v2, vcc, s8, v5
	v_addc_co_u32_e32 v3, vcc, 0, v1, vcc
	v_add_co_u32_e32 v1, vcc, 4, v2
	s_lshl_b64 s[8:9], s[24:25], 3
	v_addc_co_u32_e32 v2, vcc, 0, v3, vcc
	v_mov_b32_e32 v6, s9
	v_mov_b32_e32 v7, v5
	s_mov_b32 s9, s26
	s_branch .LBB173_3
.LBB173_2:                              ;   in Loop: Header=BB173_3 Depth=1
	global_load_dword v3, v[1:2], off offset:-4
	s_add_i32 s9, s9, -1
	v_add_co_u32_e32 v1, vcc, s8, v1
	v_addc_co_u32_e32 v2, vcc, v2, v6, vcc
	s_cmp_eq_u32 s9, 0
	s_waitcnt vmcnt(0)
	ds_write_b64 v7, v[3:4]
	v_add_u32_e32 v7, 0x200, v7
	s_cbranch_scc1 .LBB173_7
.LBB173_3:                              ; =>This Inner Loop Header: Depth=1
	s_mov_b64 s[24:25], -1
	s_and_b64 vcc, exec, s[22:23]
                                        ; implicit-def: $vgpr4
	s_cbranch_vccz .LBB173_5
; %bb.4:                                ;   in Loop: Header=BB173_3 Depth=1
	global_load_dword v4, v[1:2], off
	s_mov_b64 s[24:25], 0
.LBB173_5:                              ;   in Loop: Header=BB173_3 Depth=1
	s_andn2_b64 vcc, exec, s[24:25]
	s_cbranch_vccnz .LBB173_2
; %bb.6:                                ;   in Loop: Header=BB173_3 Depth=1
	global_load_dword v3, v[1:2], off
	s_waitcnt vmcnt(0)
	v_xor_b32_e32 v4, 0x80000000, v3
	s_branch .LBB173_2
.LBB173_7:
	v_lshlrev_b32_e32 v1, 9, v0
	s_cmpk_lg_i32 s13, 0x84
	s_mov_b64 s[8:9], -1
	v_add_u32_e32 v5, v5, v1
	s_cbranch_scc0 .LBB173_13
; %bb.8:
	ds_read_b64 v[1:2], v5
                                        ; implicit-def: $vgpr3
	s_waitcnt lgkmcnt(0)
	v_cmp_ngt_f32_e64 s[8:9], |v1|, |v2|
	s_and_saveexec_b64 s[22:23], s[8:9]
	s_xor_b64 s[8:9], exec, s[22:23]
	s_cbranch_execz .LBB173_10
; %bb.9:
	v_div_scale_f32 v3, s[22:23], v2, v2, v1
	v_div_scale_f32 v4, vcc, v1, v2, v1
	v_rcp_f32_e32 v6, v3
	v_fma_f32 v7, -v3, v6, 1.0
	v_fmac_f32_e32 v6, v7, v6
	v_mul_f32_e32 v7, v4, v6
	v_fma_f32 v8, -v3, v7, v4
	v_fmac_f32_e32 v7, v8, v6
	v_fma_f32 v3, -v3, v7, v4
	v_div_fmas_f32 v3, v3, v6, v7
	v_div_fixup_f32 v3, v3, v2, v1
	v_fmac_f32_e32 v2, v1, v3
	v_div_scale_f32 v1, s[22:23], v2, v2, 1.0
	v_div_scale_f32 v4, vcc, 1.0, v2, 1.0
	v_rcp_f32_e32 v6, v1
	v_fma_f32 v7, -v1, v6, 1.0
	v_fmac_f32_e32 v6, v7, v6
	v_mul_f32_e32 v7, v4, v6
	v_fma_f32 v8, -v1, v7, v4
	v_fmac_f32_e32 v7, v8, v6
	v_fma_f32 v1, -v1, v7, v4
	v_div_fmas_f32 v1, v1, v6, v7
	v_add_f32_e32 v4, 0, v3
	v_fma_f32 v6, v3, 0, -1.0
	v_div_fixup_f32 v1, v1, v2, 1.0
	v_mul_f32_e32 v3, v4, v1
	v_mul_f32_e32 v4, v6, v1
                                        ; implicit-def: $vgpr1_vgpr2
.LBB173_10:
	s_andn2_saveexec_b64 s[8:9], s[8:9]
	s_cbranch_execz .LBB173_12
; %bb.11:
	v_div_scale_f32 v3, s[22:23], v1, v1, v2
	v_div_scale_f32 v4, vcc, v2, v1, v2
	v_rcp_f32_e32 v6, v3
	v_fma_f32 v7, -v3, v6, 1.0
	v_fmac_f32_e32 v6, v7, v6
	v_mul_f32_e32 v7, v4, v6
	v_fma_f32 v8, -v3, v7, v4
	v_fmac_f32_e32 v7, v8, v6
	v_fma_f32 v3, -v3, v7, v4
	v_div_fmas_f32 v3, v3, v6, v7
	v_div_fixup_f32 v4, v3, v1, v2
	v_fmac_f32_e32 v1, v2, v4
	v_div_scale_f32 v2, s[22:23], v1, v1, 1.0
	v_div_scale_f32 v3, vcc, 1.0, v1, 1.0
	v_rcp_f32_e32 v6, v2
	v_fma_f32 v7, -v2, v6, 1.0
	v_fmac_f32_e32 v6, v7, v6
	v_mul_f32_e32 v7, v3, v6
	v_fma_f32 v8, -v2, v7, v3
	v_fmac_f32_e32 v7, v8, v6
	v_fma_f32 v2, -v2, v7, v3
	v_div_fmas_f32 v2, v2, v6, v7
	v_fma_f32 v3, v4, 0, 1.0
	v_div_fixup_f32 v1, v2, v1, 1.0
	v_mul_f32_e32 v3, v3, v1
	v_mul_f32_e64 v4, -v4, v1
.LBB173_12:
	s_or_b64 exec, exec, s[8:9]
	s_mov_b64 s[8:9], 0
	ds_write_b64 v5, v[3:4]
.LBB173_13:
	s_and_b64 vcc, exec, s[8:9]
	s_cbranch_vccz .LBB173_15
; %bb.14:
	v_mov_b32_e32 v1, 1.0
	v_mov_b32_e32 v2, 0
	ds_write_b64 v5, v[1:2]
.LBB173_15:
	s_or_b64 exec, exec, s[18:19]
	s_load_dword s24, s[4:5], 0x50
	s_load_dwordx2 s[8:9], s[4:5], 0x58
	s_add_i32 s27, s27, -1
	s_waitcnt lgkmcnt(0)
	s_ashr_i32 s13, s24, 31
	s_mul_i32 s4, s9, s7
	s_mul_hi_u32 s5, s8, s7
	s_mul_i32 s18, s8, s7
	s_lshl_b32 s8, s6, 6
	s_add_i32 s19, s5, s4
	s_sub_i32 s4, s15, s8
	s_cmp_ge_u32 s6, s27
	s_cselect_b32 s4, s4, 64
	s_ashr_i32 s9, s8, 31
	s_cmp_gt_i32 s14, 0
	v_cmp_gt_i32_e64 s[4:5], s4, v0
	s_cselect_b64 s[6:7], -1, 0
	s_and_b64 s[28:29], s[4:5], s[6:7]
	s_and_saveexec_b64 s[22:23], s[28:29]
	s_cbranch_execz .LBB173_18
; %bb.16:
	v_lshlrev_b32_e32 v3, 3, v0
	s_lshl_b64 s[30:31], s[8:9], 3
	s_lshl_b64 s[28:29], s[18:19], 3
	v_mov_b32_e32 v1, s31
	v_add_co_u32_e32 v4, vcc, s30, v3
	s_lshl_b64 s[30:31], s[16:17], 3
	s_add_u32 s9, s10, s30
	s_addc_u32 s15, s11, s31
	s_add_u32 s28, s9, s28
	v_addc_co_u32_e32 v5, vcc, 0, v1, vcc
	s_addc_u32 s29, s15, s29
	v_mov_b32_e32 v1, s28
	v_mov_b32_e32 v2, s29
	v_mad_u64_u32 v[1:2], s[28:29], v4, s24, v[1:2]
	v_mul_lo_u32 v4, v4, s13
	v_mul_lo_u32 v5, v5, s24
	v_add_co_u32_e32 v1, vcc, 4, v1
	v_or_b32_e32 v3, 0x8000, v3
	v_add3_u32 v2, v5, v2, v4
	v_addc_co_u32_e32 v2, vcc, 0, v2, vcc
	s_mov_b32 s9, s26
.LBB173_17:                             ; =>This Inner Loop Header: Depth=1
	global_load_dwordx2 v[4:5], v[1:2], off offset:-4
	s_add_i32 s9, s9, -1
	v_add_co_u32_e32 v1, vcc, 8, v1
	v_addc_co_u32_e32 v2, vcc, 0, v2, vcc
	s_cmp_lg_u32 s9, 0
	s_waitcnt vmcnt(0)
	v_mul_f32_e32 v7, s21, v5
	v_mul_f32_e32 v6, s20, v5
	v_fma_f32 v5, s20, v4, -v7
	v_fmac_f32_e32 v6, s21, v4
	ds_write_b64 v3, v[5:6]
	v_add_u32_e32 v3, 0x200, v3
	s_cbranch_scc1 .LBB173_17
.LBB173_18:
	s_or_b64 exec, exec, s[22:23]
	v_mov_b32_e32 v1, 0x8000
	s_cmpk_eq_i32 s12, 0x6f
	v_lshl_or_b32 v73, v0, 3, v1
	s_mov_b64 s[12:13], -1
	s_waitcnt lgkmcnt(0)
	; wave barrier
	s_cbranch_scc1 .LBB173_40
; %bb.19:
	s_mov_b32 s13, 0
	s_mov_b32 s12, s13
	;; [unrolled: 1-line block ×3, first 2 shown]
	s_branch .LBB173_21
.LBB173_20:                             ;   in Loop: Header=BB173_21 Depth=1
	s_cmp_ge_i32 s9, s26
	s_cselect_b64 s[20:21], -1, 0
	s_add_i32 s12, s12, 1
	s_cmp_eq_u32 s12, 3
	s_cselect_b64 s[22:23], -1, 0
	s_or_b64 s[20:21], s[20:21], s[22:23]
	s_andn2_b64 vcc, exec, s[20:21]
	s_cbranch_vccz .LBB173_39
.LBB173_21:                             ; =>This Loop Header: Depth=1
                                        ;     Child Loop BB173_24 Depth 2
                                        ;       Child Loop BB173_25 Depth 3
                                        ;       Child Loop BB173_28 Depth 3
                                        ;         Child Loop BB173_29 Depth 4
                                        ;       Child Loop BB173_33 Depth 3
                                        ;         Child Loop BB173_35 Depth 4
	s_lshl_b64 s[20:21], s[12:13], 2
	s_getpc_b64 s[22:23]
	s_add_u32 s22, s22, __const._ZL38rocblas_trsm_small_left_device_sharedBILi64ELi32ELb0E19rocblas_complex_numIfES1_PKS1_PS1_Ev13rocblas_fill_18rocblas_operation_17rocblas_diagonal_iiT3_T4_lilT5_lili.step_sizes@rel32@lo+4
	s_addc_u32 s23, s23, __const._ZL38rocblas_trsm_small_left_device_sharedBILi64ELi32ELb0E19rocblas_complex_numIfES1_PKS1_PS1_Ev13rocblas_fill_18rocblas_operation_17rocblas_diagonal_iiT3_T4_lilT5_lili.step_sizes@rel32@hi+12
	s_add_u32 s20, s22, s20
	s_addc_u32 s21, s23, s21
	s_load_dword s15, s[20:21], 0x0
	s_waitcnt lgkmcnt(0)
	s_add_i32 s22, s15, -1
	s_add_i32 s20, s22, s9
	s_cmp_ge_i32 s20, s26
	s_cbranch_scc1 .LBB173_20
; %bb.22:                               ;   in Loop: Header=BB173_21 Depth=1
	s_lshl_b32 s25, s9, 9
	s_max_i32 s23, s15, 1
	v_add_u32_e32 v3, s25, v73
	s_lshl_b32 s27, s15, 9
	s_mul_i32 s28, s9, 0x208
	s_mul_i32 s29, s15, 0x208
	s_branch .LBB173_24
.LBB173_23:                             ;   in Loop: Header=BB173_24 Depth=2
	s_add_i32 s9, s9, s15
	s_add_i32 s20, s22, s9
	;; [unrolled: 1-line block ×4, first 2 shown]
	s_cmp_ge_i32 s20, s26
	v_add_u32_e32 v3, s27, v3
	s_cbranch_scc1 .LBB173_20
.LBB173_24:                             ;   Parent Loop BB173_21 Depth=1
                                        ; =>  This Loop Header: Depth=2
                                        ;       Child Loop BB173_25 Depth 3
                                        ;       Child Loop BB173_28 Depth 3
                                        ;         Child Loop BB173_29 Depth 4
                                        ;       Child Loop BB173_33 Depth 3
                                        ;         Child Loop BB173_35 Depth 4
	s_mov_b32 s20, 0
	v_mov_b32_e32 v1, v3
	s_mov_b32 s21, s23
.LBB173_25:                             ;   Parent Loop BB173_21 Depth=1
                                        ;     Parent Loop BB173_24 Depth=2
                                        ; =>    This Inner Loop Header: Depth=3
	ds_read_b64 v[4:5], v1
	v_mov_b32_e32 v2, s20
	s_add_i32 s21, s21, -1
	s_add_i32 s20, s20, 8
	v_add_u32_e32 v1, 0x200, v1
	s_cmp_eq_u32 s21, 0
	s_waitcnt lgkmcnt(0)
	buffer_store_dword v5, v2, s[0:3], 0 offen offset:4
	buffer_store_dword v4, v2, s[0:3], 0 offen
	s_cbranch_scc0 .LBB173_25
; %bb.26:                               ;   in Loop: Header=BB173_24 Depth=2
	s_cmp_lt_i32 s9, 1
	s_cbranch_scc1 .LBB173_31
; %bb.27:                               ;   in Loop: Header=BB173_24 Depth=2
	s_mov_b32 s20, 0
	s_mov_b32 s21, s25
.LBB173_28:                             ;   Parent Loop BB173_21 Depth=1
                                        ;     Parent Loop BB173_24 Depth=2
                                        ; =>    This Loop Header: Depth=3
                                        ;         Child Loop BB173_29 Depth 4
	v_lshl_add_u32 v1, s20, 9, v73
	ds_read_b64 v[1:2], v1
	s_mov_b32 s30, 0
	s_mov_b32 s31, s21
	s_mov_b32 s33, s23
.LBB173_29:                             ;   Parent Loop BB173_21 Depth=1
                                        ;     Parent Loop BB173_24 Depth=2
                                        ;       Parent Loop BB173_28 Depth=3
                                        ; =>      This Inner Loop Header: Depth=4
	v_mov_b32_e32 v6, s30
	buffer_load_dword v7, v6, s[0:3], 0 offen
	buffer_load_dword v8, v6, s[0:3], 0 offen offset:4
	v_mov_b32_e32 v4, s31
	ds_read_b64 v[4:5], v4
	s_add_i32 s33, s33, -1
	s_addk_i32 s31, 0x200
	s_add_i32 s30, s30, 8
	s_cmp_eq_u32 s33, 0
	s_waitcnt lgkmcnt(0)
	v_mul_f32_e32 v9, v5, v2
	v_mul_f32_e32 v5, v5, v1
	v_fma_f32 v9, v4, v1, -v9
	v_fmac_f32_e32 v5, v4, v2
	s_waitcnt vmcnt(1)
	v_sub_f32_e32 v4, v7, v9
	s_waitcnt vmcnt(0)
	v_sub_f32_e32 v5, v8, v5
	buffer_store_dword v4, v6, s[0:3], 0 offen
	buffer_store_dword v5, v6, s[0:3], 0 offen offset:4
	s_cbranch_scc0 .LBB173_29
; %bb.30:                               ;   in Loop: Header=BB173_28 Depth=3
	s_add_i32 s20, s20, 1
	s_add_i32 s21, s21, 8
	s_cmp_eq_u32 s20, s9
	s_cbranch_scc0 .LBB173_28
.LBB173_31:                             ;   in Loop: Header=BB173_24 Depth=2
	s_lshl_b32 s30, s9, 9
	s_mov_b32 s31, 0
	s_mov_b32 s33, s28
	s_branch .LBB173_33
.LBB173_32:                             ;   in Loop: Header=BB173_33 Depth=3
	s_mul_i32 s20, s35, 0x208
	v_mov_b32_e32 v4, s20
	ds_read_b64 v[4:5], v4
	s_lshl_b32 s20, s31, 3
	s_add_i32 s31, s31, 1
	s_addk_i32 s33, 0x200
	v_mov_b32_e32 v8, s20
	s_waitcnt vmcnt(0) lgkmcnt(0)
	v_mul_f32_e32 v6, v5, v2
	v_mul_f32_e32 v7, v4, v2
	v_fma_f32 v6, v4, v1, -v6
	v_fmac_f32_e32 v7, v5, v1
	v_add_u32_e32 v1, s34, v73
	s_cmp_eq_u32 s31, s23
	buffer_store_dword v6, v8, s[0:3], 0 offen
	buffer_store_dword v7, v8, s[0:3], 0 offen offset:4
	ds_write_b64 v1, v[6:7]
	s_cbranch_scc1 .LBB173_23
.LBB173_33:                             ;   Parent Loop BB173_21 Depth=1
                                        ;     Parent Loop BB173_24 Depth=2
                                        ; =>    This Loop Header: Depth=3
                                        ;         Child Loop BB173_35 Depth 4
	s_cmp_lg_u32 s31, 0
	s_cbranch_scc0 .LBB173_37
; %bb.34:                               ;   in Loop: Header=BB173_33 Depth=3
	s_lshl_b32 s20, s31, 3
	v_mov_b32_e32 v4, s20
	buffer_load_dword v1, v4, s[0:3], 0 offen
	buffer_load_dword v2, v4, s[0:3], 0 offen offset:4
	s_add_i32 s35, s31, s9
	s_lshl_b32 s34, s35, 9
	s_mov_b32 s20, 0
	s_mov_b32 s21, s33
	;; [unrolled: 1-line block ×3, first 2 shown]
.LBB173_35:                             ;   Parent Loop BB173_21 Depth=1
                                        ;     Parent Loop BB173_24 Depth=2
                                        ;       Parent Loop BB173_33 Depth=3
                                        ; =>      This Inner Loop Header: Depth=4
	v_mov_b32_e32 v5, s20
	buffer_load_dword v7, v5, s[0:3], 0 offen offset:4
	buffer_load_dword v8, v5, s[0:3], 0 offen
	v_mov_b32_e32 v5, s21
	ds_read_b64 v[5:6], v5
	s_add_i32 s36, s36, -1
	s_add_i32 s20, s20, 8
	s_add_i32 s21, s21, 8
	s_cmp_eq_u32 s36, 0
	s_waitcnt vmcnt(1) lgkmcnt(0)
	v_mul_f32_e32 v9, v6, v7
	v_mul_f32_e32 v7, v5, v7
	s_waitcnt vmcnt(0)
	v_fma_f32 v5, v5, v8, -v9
	v_fmac_f32_e32 v7, v6, v8
	v_sub_f32_e32 v1, v1, v5
	v_sub_f32_e32 v2, v2, v7
	buffer_store_dword v1, v4, s[0:3], 0 offen
	buffer_store_dword v2, v4, s[0:3], 0 offen offset:4
	s_cbranch_scc0 .LBB173_35
; %bb.36:                               ;   in Loop: Header=BB173_33 Depth=3
	s_branch .LBB173_32
.LBB173_37:                             ;   in Loop: Header=BB173_33 Depth=3
                                        ; implicit-def: $vgpr1
                                        ; implicit-def: $vgpr2
                                        ; implicit-def: $sgpr35
                                        ; implicit-def: $sgpr34
	s_cbranch_execz .LBB173_32
; %bb.38:                               ;   in Loop: Header=BB173_33 Depth=3
	buffer_load_dword v1, off, s[0:3], 0
	buffer_load_dword v2, off, s[0:3], 0 offset:4
	s_mov_b32 s34, s30
	s_mov_b32 s35, s9
	s_branch .LBB173_32
.LBB173_39:
	s_mov_b64 s[12:13], 0
.LBB173_40:
	s_and_b64 vcc, exec, s[12:13]
	s_cbranch_vccz .LBB173_75
; %bb.41:
	s_add_i32 s9, s26, -1
	s_cmp_gt_i32 s14, 31
	s_mov_b32 s12, s9
	s_cbranch_scc0 .LBB173_49
; %bb.42:
	s_lshl_b32 s12, s26, 9
	v_lshl_or_b32 v1, v0, 3, s12
	v_add_u32_e32 v74, 0x7e00, v1
	s_addk_i32 s12, 0xfd08
	s_mov_b32 s51, s9
	s_branch .LBB173_44
.LBB173_43:                             ;   in Loop: Header=BB173_44 Depth=1
	buffer_load_dword v29, off, s[0:3], 0 offset:24
	buffer_load_dword v30, off, s[0:3], 0 offset:28
	s_add_i32 s20, s13, -1
	s_add_i32 s22, s13, -3
	s_add_i32 s15, s14, 0xfffffc00
	s_lshl_b32 s23, s20, 3
	s_lshl_b32 s21, s20, 9
	s_lshl_b32 s25, s22, 3
	s_lshl_b32 s20, s22, 9
	s_add_i32 s22, s23, s14
	s_add_i32 s23, s23, s21
	;; [unrolled: 1-line block ×6, first 2 shown]
	v_mov_b32_e32 v7, s22
	v_mov_b32_e32 v11, s23
	v_mov_b32_e32 v15, s27
	v_mov_b32_e32 v19, s28
	v_mov_b32_e32 v23, s29
	v_mov_b32_e32 v27, s25
	buffer_load_dword v31, off, s[0:3], 0 offset:32
	buffer_load_dword v32, off, s[0:3], 0 offset:36
	;; [unrolled: 1-line block ×6, first 2 shown]
	ds_read2_b64 v[7:10], v7 offset1:1
	ds_read_b64 v[11:12], v11
	ds_read2_b64 v[15:18], v15 offset1:1
	ds_read2_b64 v[19:22], v19 offset1:1
	;; [unrolled: 1-line block ×3, first 2 shown]
	ds_read_b64 v[27:28], v27
	s_waitcnt lgkmcnt(5)
	v_mul_f32_e32 v34, v9, v2
	v_mul_f32_e32 v33, v10, v2
	v_fmac_f32_e32 v34, v10, v1
	v_fma_f32 v33, v9, v1, -v33
	v_mul_f32_e32 v2, v7, v34
	v_mul_f32_e32 v1, v8, v34
	v_fmac_f32_e32 v2, v8, v33
	v_fma_f32 v1, v7, v33, -v1
	s_waitcnt vmcnt(48)
	v_sub_f32_e32 v2, v6, v2
	v_sub_f32_e32 v1, v5, v1
	s_waitcnt lgkmcnt(4)
	v_mul_f32_e32 v36, v11, v2
	s_waitcnt lgkmcnt(3)
	v_mul_f32_e32 v10, v17, v34
	v_mul_f32_e32 v35, v16, v34
	;; [unrolled: 1-line block ×3, first 2 shown]
	v_fmac_f32_e32 v36, v12, v1
	v_mul_f32_e32 v9, v18, v34
	v_fmac_f32_e32 v10, v18, v33
	v_fma_f32 v8, v15, v33, -v35
	v_fma_f32 v35, v11, v1, -v5
	s_waitcnt lgkmcnt(2)
	v_mul_f32_e32 v2, v21, v36
	v_fma_f32 v7, v17, v33, -v9
	v_sub_f32_e32 v4, v4, v10
	v_mul_f32_e32 v1, v22, v36
	v_fmac_f32_e32 v2, v22, v35
	v_sub_f32_e32 v3, v3, v7
	v_fma_f32 v1, v21, v35, -v1
	v_sub_f32_e32 v2, v4, v2
	v_mul_f32_e32 v39, v15, v34
	v_sub_f32_e32 v1, v3, v1
	s_waitcnt lgkmcnt(1)
	v_mul_f32_e32 v38, v25, v2
	v_fmac_f32_e32 v39, v16, v33
	v_mul_f32_e32 v6, v19, v36
	v_mul_f32_e32 v3, v26, v2
	v_fmac_f32_e32 v38, v26, v1
	v_mul_f32_e32 v5, v20, v36
	v_fmac_f32_e32 v6, v20, v35
	v_fma_f32 v37, v25, v1, -v3
	v_mul_f32_e32 v2, v23, v38
	v_fma_f32 v5, v19, v35, -v5
	v_mul_f32_e32 v1, v24, v38
	v_fmac_f32_e32 v2, v24, v37
	v_fma_f32 v1, v23, v37, -v1
	s_add_i32 s22, s13, -5
	s_add_i32 s23, s14, 0xfffff800
	s_lshl_b32 s25, s22, 3
	s_lshl_b32 s22, s22, 9
	s_add_i32 s27, s25, s14
	s_add_i32 s28, s25, s21
	;; [unrolled: 1-line block ×6, first 2 shown]
	v_mov_b32_e32 v9, s31
	v_mov_b32_e32 v10, s25
	s_add_i32 s25, s13, -7
	s_sub_i32 s39, s13, 17
	s_sub_i32 s41, s13, 19
	s_waitcnt vmcnt(7)
	v_sub_f32_e32 v3, v29, v8
	s_waitcnt vmcnt(6)
	v_sub_f32_e32 v4, v30, v39
	v_sub_f32_e32 v4, v4, v6
	;; [unrolled: 1-line block ×5, first 2 shown]
	s_waitcnt lgkmcnt(0)
	v_mul_f32_e32 v1, v28, v12
	v_fma_f32 v1, v27, v11, -v1
	buffer_store_dword v1, off, s[0:3], 0 offset:24
	buffer_load_dword v39, off, s[0:3], 0 offset:24
	v_mov_b32_e32 v1, s27
	v_mov_b32_e32 v2, s28
	v_mov_b32_e32 v3, s29
	v_mov_b32_e32 v4, s30
	ds_read2_b64 v[15:18], v1 offset1:1
	ds_read2_b64 v[19:22], v2 offset1:1
	;; [unrolled: 1-line block ×5, first 2 shown]
	ds_read_b64 v[9:10], v10
	s_waitcnt lgkmcnt(5)
	v_mul_f32_e32 v30, v17, v34
	v_mul_f32_e32 v29, v18, v34
	;; [unrolled: 1-line block ×4, first 2 shown]
	v_fmac_f32_e32 v30, v18, v33
	s_waitcnt lgkmcnt(4)
	v_mul_f32_e32 v18, v21, v36
	v_fma_f32 v17, v17, v33, -v29
	v_fma_f32 v15, v15, v33, -v42
	v_fmac_f32_e32 v43, v16, v33
	v_mul_f32_e32 v16, v22, v36
	v_mul_f32_e32 v29, v20, v36
	;; [unrolled: 1-line block ×3, first 2 shown]
	v_fmac_f32_e32 v18, v22, v35
	s_waitcnt lgkmcnt(3)
	v_mul_f32_e32 v22, v24, v38
	v_fma_f32 v16, v21, v35, -v16
	v_fma_f32 v19, v19, v35, -v29
	v_fmac_f32_e32 v42, v20, v35
	v_mul_f32_e32 v20, v26, v38
	v_mul_f32_e32 v21, v25, v38
	;; [unrolled: 1-line block ×3, first 2 shown]
	v_fma_f32 v22, v23, v37, -v22
	s_waitcnt vmcnt(7)
	v_sub_f32_e32 v17, v31, v17
	s_waitcnt vmcnt(6)
	v_sub_f32_e32 v23, v32, v30
	;; [unrolled: 2-line block ×3, first 2 shown]
	v_mul_f32_e32 v40, v27, v12
	v_fma_f32 v20, v25, v37, -v20
	v_fmac_f32_e32 v21, v26, v37
	v_sub_f32_e32 v16, v17, v16
	v_sub_f32_e32 v17, v23, v18
	;; [unrolled: 1-line block ×3, first 2 shown]
	v_fmac_f32_e32 v40, v28, v11
	v_sub_f32_e32 v15, v16, v20
	v_sub_f32_e32 v16, v17, v21
	;; [unrolled: 1-line block ×3, first 2 shown]
	s_waitcnt lgkmcnt(2)
	v_mul_f32_e32 v22, v8, v40
	v_mul_f32_e32 v20, v7, v40
	v_mul_f32_e32 v21, v5, v40
	v_fmac_f32_e32 v29, v24, v37
	s_waitcnt vmcnt(4)
	v_sub_f32_e32 v24, v41, v43
	v_mul_f32_e32 v23, v6, v40
	v_sub_f32_e32 v19, v24, v42
	v_sub_f32_e32 v18, v19, v29
	buffer_load_dword v11, off, s[0:3], 0 offset:24
	buffer_load_dword v12, off, s[0:3], 0 offset:24
	;; [unrolled: 1-line block ×7, first 2 shown]
	s_lshl_b32 s28, s25, 3
	s_add_i32 s27, s14, 0xfffff400
	s_add_i32 s29, s28, s14
	;; [unrolled: 1-line block ×8, first 2 shown]
	v_mov_b32_e32 v24, s34
	v_mov_b32_e32 v28, s35
	;; [unrolled: 1-line block ×3, first 2 shown]
	s_lshl_b32 s25, s25, 9
	s_add_i32 s28, s28, s25
	s_lshl_b32 s42, s41, 3
	s_sub_i32 s43, s13, 21
	s_lshl_b32 s44, s43, 3
	s_lshl_b32 s41, s41, 9
	s_sub_i32 s45, s13, 23
	s_lshl_b32 s46, s45, 3
	;; [unrolled: 3-line block ×5, first 2 shown]
	s_waitcnt vmcnt(7)
	v_fma_f32 v7, v7, v39, -v22
	v_fmac_f32_e32 v20, v8, v39
	v_fmac_f32_e32 v21, v6, v39
	v_sub_f32_e32 v6, v15, v7
	v_sub_f32_e32 v7, v16, v20
	s_waitcnt lgkmcnt(1)
	v_mul_f32_e32 v42, v3, v7
	v_mul_f32_e32 v15, v4, v7
	v_fmac_f32_e32 v42, v4, v6
	v_fma_f32 v41, v3, v6, -v15
	v_mul_f32_e32 v4, v1, v42
	v_fma_f32 v5, v5, v39, -v23
	v_sub_f32_e32 v8, v18, v21
	v_mul_f32_e32 v3, v2, v42
	v_fmac_f32_e32 v4, v2, v41
	v_sub_f32_e32 v5, v17, v5
	v_fma_f32 v1, v1, v41, -v3
	v_sub_f32_e32 v2, v8, v4
	v_sub_f32_e32 v1, v5, v1
	s_waitcnt lgkmcnt(0)
	v_mul_f32_e32 v3, v10, v2
	v_mul_f32_e32 v2, v9, v2
	v_fmac_f32_e32 v2, v10, v1
	v_fma_f32 v3, v9, v1, -v3
	buffer_store_dword v2, off, s[0:3], 0 offset:44
	buffer_load_dword v44, off, s[0:3], 0 offset:44
	v_mov_b32_e32 v1, s29
	buffer_store_dword v3, off, s[0:3], 0 offset:40
	buffer_load_dword v43, off, s[0:3], 0 offset:40
	v_mov_b32_e32 v2, s30
	v_mov_b32_e32 v15, s31
	;; [unrolled: 1-line block ×3, first 2 shown]
	buffer_load_dword v32, off, s[0:3], 0 offset:56
	buffer_load_dword v51, off, s[0:3], 0 offset:60
	ds_read2_b64 v[3:6], v1 offset1:1
	ds_read2_b64 v[7:10], v2 offset1:1
	;; [unrolled: 1-line block ×7, first 2 shown]
	s_waitcnt lgkmcnt(6)
	v_mul_f32_e32 v2, v5, v34
	v_mul_f32_e32 v1, v6, v34
	v_fmac_f32_e32 v2, v6, v33
	s_waitcnt lgkmcnt(5)
	v_mul_f32_e32 v6, v9, v36
	v_fma_f32 v1, v5, v33, -v1
	v_mul_f32_e32 v5, v10, v36
	v_fmac_f32_e32 v6, v10, v35
	s_waitcnt lgkmcnt(4)
	v_mul_f32_e32 v10, v17, v38
	v_sub_f32_e32 v2, v14, v2
	v_fma_f32 v5, v9, v35, -v5
	v_mul_f32_e32 v9, v18, v38
	v_fmac_f32_e32 v10, v18, v37
	v_sub_f32_e32 v1, v13, v1
	v_sub_f32_e32 v2, v2, v6
	s_waitcnt lgkmcnt(3)
	v_mul_f32_e32 v6, v22, v40
	v_fma_f32 v9, v17, v37, -v9
	v_sub_f32_e32 v1, v1, v5
	v_sub_f32_e32 v2, v2, v10
	v_mul_f32_e32 v5, v23, v40
	v_fmac_f32_e32 v6, v23, v39
	v_sub_f32_e32 v1, v1, v9
	v_fma_f32 v5, v22, v39, -v5
	v_sub_f32_e32 v2, v2, v6
	s_waitcnt lgkmcnt(2)
	v_mul_f32_e32 v6, v26, v42
	v_sub_f32_e32 v1, v1, v5
	v_mul_f32_e32 v5, v27, v42
	v_fmac_f32_e32 v6, v27, v41
	v_fma_f32 v5, v26, v41, -v5
	v_sub_f32_e32 v6, v2, v6
	v_sub_f32_e32 v5, v1, v5
	buffer_load_dword v26, off, s[0:3], 0 offset:40
	buffer_load_dword v52, off, s[0:3], 0 offset:40
	;; [unrolled: 1-line block ×14, first 2 shown]
	s_waitcnt vmcnt(18) lgkmcnt(1)
	v_mul_f32_e32 v10, v30, v44
	v_mul_f32_e32 v9, v31, v44
	s_waitcnt vmcnt(16)
	v_fmac_f32_e32 v10, v31, v43
	v_fma_f32 v9, v30, v43, -v9
	v_sub_f32_e32 v10, v6, v10
	v_sub_f32_e32 v9, v5, v9
	s_waitcnt lgkmcnt(0)
	v_mul_f32_e32 v13, v50, v10
	v_mul_f32_e32 v10, v49, v10
	v_fmac_f32_e32 v10, v50, v9
	buffer_store_dword v10, off, s[0:3], 0 offset:52
	buffer_load_dword v46, off, s[0:3], 0 offset:52
	v_fma_f32 v13, v49, v9, -v13
	v_mov_b32_e32 v5, s28
	buffer_store_dword v13, off, s[0:3], 0 offset:48
	ds_read_b64 v[5:6], v5
	buffer_load_dword v45, off, s[0:3], 0 offset:48
	buffer_load_dword v13, off, s[0:3], 0 offset:64
	buffer_load_dword v14, off, s[0:3], 0 offset:68
	buffer_load_dword v110, off, s[0:3], 0 offset:72
	buffer_load_dword v127, off, s[0:3], 0 offset:76
	buffer_load_dword v140, off, s[0:3], 0 offset:80
	buffer_load_dword v141, off, s[0:3], 0 offset:84
	s_nop 0
	buffer_store_dword v33, off, s[0:3], 0
	buffer_store_dword v34, off, s[0:3], 0 offset:4
	v_mul_f32_e32 v9, v4, v34
	v_mul_f32_e32 v10, v3, v34
	v_fma_f32 v3, v3, v33, -v9
	v_fmac_f32_e32 v10, v4, v33
	buffer_load_dword v17, off, s[0:3], 0
	buffer_load_dword v18, off, s[0:3], 0 offset:4
	v_mul_f32_e32 v4, v8, v36
	v_mul_f32_e32 v9, v7, v36
	buffer_store_dword v35, off, s[0:3], 0 offset:8
	buffer_store_dword v36, off, s[0:3], 0 offset:12
	v_fma_f32 v4, v7, v35, -v4
	v_fmac_f32_e32 v9, v8, v35
	v_mul_f32_e32 v8, v15, v38
	s_waitcnt vmcnt(31)
	v_sub_f32_e32 v3, v32, v3
	s_waitcnt vmcnt(30)
	v_sub_f32_e32 v10, v51, v10
	buffer_load_dword v22, off, s[0:3], 0 offset:8
	buffer_load_dword v23, off, s[0:3], 0 offset:12
	v_mul_f32_e32 v7, v16, v38
	v_fmac_f32_e32 v8, v16, v37
	v_sub_f32_e32 v3, v3, v4
	v_sub_f32_e32 v4, v10, v9
	v_fma_f32 v7, v15, v37, -v7
	v_sub_f32_e32 v4, v4, v8
	v_mul_f32_e32 v8, v20, v40
	v_sub_f32_e32 v3, v3, v7
	v_mul_f32_e32 v7, v21, v40
	v_fmac_f32_e32 v8, v21, v39
	v_fma_f32 v7, v20, v39, -v7
	v_sub_f32_e32 v4, v4, v8
	v_mul_f32_e32 v8, v24, v42
	v_sub_f32_e32 v3, v3, v7
	v_mul_f32_e32 v7, v25, v42
	v_fmac_f32_e32 v8, v25, v41
	;; [unrolled: 6-line block ×3, first 2 shown]
	buffer_store_dword v37, off, s[0:3], 0 offset:16
	buffer_store_dword v38, off, s[0:3], 0 offset:20
	v_fma_f32 v7, v28, v43, -v7
	v_sub_f32_e32 v4, v4, v8
	buffer_load_dword v30, off, s[0:3], 0 offset:20
	v_sub_f32_e32 v3, v3, v7
	buffer_store_dword v40, off, s[0:3], 0 offset:28
	buffer_store_dword v41, off, s[0:3], 0 offset:32
	;; [unrolled: 1-line block ×3, first 2 shown]
	buffer_load_dword v32, off, s[0:3], 0 offset:48
	buffer_load_dword v142, off, s[0:3], 0 offset:48
	buffer_load_dword v124, off, s[0:3], 0 offset:48
	buffer_load_dword v80, off, s[0:3], 0 offset:48
	buffer_load_dword v89, off, s[0:3], 0 offset:48
	buffer_load_dword v70, off, s[0:3], 0 offset:48
	buffer_load_dword v53, off, s[0:3], 0 offset:48
	buffer_load_dword v51, off, s[0:3], 0 offset:52
	buffer_load_dword v143, off, s[0:3], 0 offset:52
	buffer_load_dword v125, off, s[0:3], 0 offset:52
	buffer_load_dword v81, off, s[0:3], 0 offset:52
	buffer_load_dword v92, off, s[0:3], 0 offset:52
	buffer_load_dword v72, off, s[0:3], 0 offset:52
	buffer_load_dword v54, off, s[0:3], 0 offset:52
	buffer_load_dword v24, off, s[0:3], 0 offset:16
	s_add_i32 s28, s13, -9
	s_lshl_b32 s30, s28, 3
	s_add_i32 s29, s30, s14
	s_lshl_b32 s28, s28, 9
	s_waitcnt vmcnt(37)
	v_mul_f32_e32 v8, v47, v46
	v_mul_f32_e32 v7, v48, v46
	s_waitcnt vmcnt(35)
	v_fmac_f32_e32 v8, v48, v45
	v_fma_f32 v7, v47, v45, -v7
	v_sub_f32_e32 v4, v4, v8
	v_sub_f32_e32 v3, v3, v7
	s_waitcnt lgkmcnt(0)
	v_mul_f32_e32 v7, v6, v4
	v_fma_f32 v7, v5, v3, -v7
	v_mul_f32_e32 v4, v5, v4
	v_fmac_f32_e32 v4, v6, v3
	buffer_store_dword v7, off, s[0:3], 0 offset:56
	buffer_store_dword v4, off, s[0:3], 0 offset:60
	buffer_load_dword v47, off, s[0:3], 0 offset:56
	buffer_load_dword v48, off, s[0:3], 0 offset:60
	;; [unrolled: 1-line block ×5, first 2 shown]
	v_mov_b32_e32 v3, s29
	s_add_i32 s29, s30, s21
	v_mov_b32_e32 v7, s29
	ds_read2_b64 v[3:6], v3 offset1:1
	ds_read2_b64 v[7:10], v7 offset1:1
	s_add_i32 s29, s30, s15
	buffer_load_dword v144, off, s[0:3], 0 offset:4
	buffer_load_dword v145, off, s[0:3], 0 offset:4
	;; [unrolled: 1-line block ×7, first 2 shown]
	buffer_load_dword v146, off, s[0:3], 0
	buffer_load_dword v147, off, s[0:3], 0
	;; [unrolled: 1-line block ×7, first 2 shown]
	s_waitcnt vmcnt(46) lgkmcnt(1)
	v_mul_f32_e32 v15, v6, v18
	v_fma_f32 v15, v5, v17, -v15
	v_mul_f32_e32 v5, v5, v18
	v_fmac_f32_e32 v5, v6, v17
	v_sub_f32_e32 v6, v13, v15
	s_waitcnt vmcnt(42) lgkmcnt(0)
	v_mul_f32_e32 v13, v10, v23
	v_fma_f32 v13, v9, v22, -v13
	v_mul_f32_e32 v9, v9, v23
	v_sub_f32_e32 v5, v14, v5
	v_fmac_f32_e32 v9, v10, v22
	v_sub_f32_e32 v5, v5, v9
	v_mov_b32_e32 v9, s29
	s_add_i32 s29, s30, s20
	buffer_load_dword v148, off, s[0:3], 0 offset:12
	buffer_load_dword v149, off, s[0:3], 0 offset:12
	;; [unrolled: 1-line block ×14, first 2 shown]
	v_sub_f32_e32 v6, v6, v13
	v_mov_b32_e32 v10, s29
	ds_read2_b64 v[13:16], v9 offset1:1
	ds_read2_b64 v[20:23], v10 offset1:1
	s_add_i32 s29, s30, s23
	buffer_load_dword v9, off, s[0:3], 0 offset:20
	buffer_load_dword v152, off, s[0:3], 0 offset:20
	;; [unrolled: 1-line block ×14, first 2 shown]
	s_waitcnt vmcnt(62) lgkmcnt(1)
	v_mul_f32_e32 v10, v16, v30
	s_waitcnt vmcnt(49)
	v_fma_f32 v10, v15, v24, -v10
	v_mul_f32_e32 v15, v15, v30
	v_fmac_f32_e32 v15, v16, v24
	v_sub_f32_e32 v5, v5, v15
	v_sub_f32_e32 v6, v6, v10
	buffer_load_dword v10, off, s[0:3], 0 offset:28
	buffer_load_dword v155, off, s[0:3], 0 offset:28
	buffer_load_dword v131, off, s[0:3], 0 offset:28
	buffer_load_dword v119, off, s[0:3], 0 offset:28
	buffer_load_dword v103, off, s[0:3], 0 offset:28
	buffer_load_dword v91, off, s[0:3], 0 offset:28
	buffer_load_dword v55, off, s[0:3], 0 offset:28
	s_waitcnt vmcnt(51) lgkmcnt(0)
	v_mul_f32_e32 v15, v23, v25
	v_mul_f32_e32 v16, v22, v25
	v_fma_f32 v15, v22, v11, -v15
	v_fmac_f32_e32 v16, v23, v11
	v_mov_b32_e32 v11, s29
	s_add_i32 s29, s30, s22
	v_mov_b32_e32 v22, s29
	v_sub_f32_e32 v6, v6, v15
	v_sub_f32_e32 v5, v5, v16
	ds_read2_b64 v[15:18], v11 offset1:1
	ds_read2_b64 v[22:25], v22 offset1:1
	s_add_i32 s29, s30, s27
	buffer_load_dword v11, off, s[0:3], 0 offset:36
	buffer_load_dword v156, off, s[0:3], 0 offset:36
	;; [unrolled: 1-line block ×14, first 2 shown]
	s_waitcnt vmcnt(62) lgkmcnt(1)
	v_mul_f32_e32 v30, v18, v29
	v_fma_f32 v30, v17, v28, -v30
	v_mul_f32_e32 v17, v17, v29
	v_fmac_f32_e32 v17, v18, v28
	v_sub_f32_e32 v5, v5, v17
	s_waitcnt lgkmcnt(0)
	v_mul_f32_e32 v17, v25, v27
	v_sub_f32_e32 v6, v6, v30
	v_fma_f32 v17, v24, v26, -v17
	v_mul_f32_e32 v18, v24, v27
	v_sub_f32_e32 v6, v6, v17
	v_mov_b32_e32 v17, s29
	s_add_i32 s29, s30, s25
	v_fmac_f32_e32 v18, v25, v26
	ds_read2_b64 v[24:27], v17 offset1:1
	v_mov_b32_e32 v17, s29
	v_sub_f32_e32 v5, v5, v18
	ds_read2_b64 v[28:31], v17 offset1:1
	buffer_load_dword v18, off, s[0:3], 0 offset:60
	buffer_load_dword v159, off, s[0:3], 0 offset:56
	s_waitcnt lgkmcnt(1)
	v_mul_f32_e32 v17, v27, v46
	v_fma_f32 v17, v26, v45, -v17
	v_mul_f32_e32 v26, v26, v46
	v_fmac_f32_e32 v26, v27, v45
	v_sub_f32_e32 v5, v5, v26
	s_waitcnt lgkmcnt(0)
	v_mul_f32_e32 v26, v30, v48
	s_add_i32 s29, s14, 0xfffff000
	v_fmac_f32_e32 v26, v31, v47
	s_add_i32 s31, s30, s29
	v_sub_f32_e32 v26, v5, v26
	v_mov_b32_e32 v5, s31
	buffer_load_dword v160, off, s[0:3], 0 offset:60
	buffer_load_dword v134, off, s[0:3], 0 offset:60
	;; [unrolled: 1-line block ×12, first 2 shown]
	ds_read2_b64 v[136:139], v5 offset1:1
	v_sub_f32_e32 v6, v6, v17
	v_mul_f32_e32 v17, v31, v48
	v_fma_f32 v17, v30, v47, -v17
	v_sub_f32_e32 v17, v6, v17
	s_waitcnt lgkmcnt(0)
	v_mul_f32_e32 v27, v139, v26
	v_mul_f32_e32 v50, v138, v26
	v_fma_f32 v49, v138, v17, -v27
	v_fmac_f32_e32 v50, v139, v17
	v_mul_f32_e32 v17, v4, v144
	s_waitcnt vmcnt(62)
	v_fma_f32 v17, v3, v146, -v17
	v_mul_f32_e32 v3, v3, v144
	v_fmac_f32_e32 v3, v4, v146
	v_sub_f32_e32 v4, v110, v17
	v_mul_f32_e32 v17, v8, v148
	s_waitcnt vmcnt(55)
	v_fma_f32 v17, v7, v150, -v17
	v_mul_f32_e32 v7, v7, v148
	v_sub_f32_e32 v3, v127, v3
	v_fmac_f32_e32 v7, v8, v150
	v_sub_f32_e32 v3, v3, v7
	s_waitcnt vmcnt(48)
	v_mul_f32_e32 v7, v14, v9
	v_sub_f32_e32 v4, v4, v17
	s_waitcnt vmcnt(41)
	v_fma_f32 v7, v13, v153, -v7
	v_mul_f32_e32 v8, v13, v9
	v_fmac_f32_e32 v8, v14, v153
	v_sub_f32_e32 v4, v4, v7
	s_waitcnt vmcnt(34)
	v_mul_f32_e32 v7, v21, v10
	v_sub_f32_e32 v3, v3, v8
	v_fma_f32 v7, v20, v12, -v7
	v_mul_f32_e32 v8, v20, v10
	v_fmac_f32_e32 v8, v21, v12
	v_sub_f32_e32 v4, v4, v7
	v_sub_f32_e32 v3, v3, v8
	s_add_i32 s30, s30, s28
	v_mov_b32_e32 v5, s30
	ds_read_b64 v[5:6], v5
	buffer_store_dword v49, off, s[0:3], 0 offset:64
	buffer_store_dword v50, off, s[0:3], 0 offset:68
	buffer_load_dword v138, off, s[0:3], 0 offset:64
	s_add_i32 s30, s13, -11
	s_lshl_b32 s33, s30, 3
	s_add_i32 s31, s33, s14
	s_waitcnt vmcnt(30)
	v_mul_f32_e32 v7, v16, v11
	s_waitcnt vmcnt(23)
	v_fma_f32 v7, v15, v157, -v7
	v_mul_f32_e32 v8, v15, v11
	v_fmac_f32_e32 v8, v16, v157
	v_sub_f32_e32 v4, v4, v7
	v_mul_f32_e32 v7, v23, v109
	v_sub_f32_e32 v3, v3, v8
	v_fma_f32 v7, v22, v52, -v7
	v_mul_f32_e32 v8, v22, v109
	v_fmac_f32_e32 v8, v23, v52
	v_sub_f32_e32 v4, v4, v7
	v_mul_f32_e32 v7, v25, v51
	v_sub_f32_e32 v3, v3, v8
	v_fma_f32 v7, v24, v32, -v7
	v_mul_f32_e32 v8, v24, v51
	v_fmac_f32_e32 v8, v25, v32
	v_sub_f32_e32 v4, v4, v7
	v_sub_f32_e32 v3, v3, v8
	s_lshl_b32 s30, s30, 9
	s_waitcnt vmcnt(16)
	v_mul_f32_e32 v7, v29, v18
	s_waitcnt vmcnt(15)
	v_fma_f32 v7, v28, v159, -v7
	v_mul_f32_e32 v8, v28, v18
	v_fmac_f32_e32 v8, v29, v159
	v_sub_f32_e32 v4, v4, v7
	v_mul_f32_e32 v7, v137, v50
	v_sub_f32_e32 v3, v3, v8
	v_fma_f32 v7, v136, v49, -v7
	v_mul_f32_e32 v8, v136, v50
	buffer_load_dword v136, off, s[0:3], 0 offset:68
	v_fmac_f32_e32 v8, v137, v49
	v_sub_f32_e32 v3, v3, v8
	v_sub_f32_e32 v4, v4, v7
	s_waitcnt lgkmcnt(0)
	v_mul_f32_e32 v7, v6, v3
	v_mul_f32_e32 v52, v5, v3
	v_mov_b32_e32 v3, s31
	s_add_i32 s31, s33, s21
	ds_read2_b64 v[9:12], v3 offset1:1
	v_mov_b32_e32 v3, s31
	v_fma_f32 v51, v5, v4, -v7
	v_fmac_f32_e32 v52, v6, v4
	ds_read2_b64 v[5:8], v3 offset1:1
	s_waitcnt lgkmcnt(1)
	v_mul_f32_e32 v3, v12, v145
	v_fma_f32 v3, v11, v147, -v3
	v_mul_f32_e32 v4, v11, v145
	v_fmac_f32_e32 v4, v12, v147
	s_waitcnt lgkmcnt(0)
	v_mul_f32_e32 v11, v8, v149
	v_fma_f32 v11, v7, v151, -v11
	v_mul_f32_e32 v7, v7, v149
	v_sub_f32_e32 v4, v141, v4
	v_fmac_f32_e32 v7, v8, v151
	s_add_i32 s31, s33, s15
	buffer_store_dword v4, off, s[0:3], 0 offset:84
	v_sub_f32_e32 v4, v4, v7
	v_mov_b32_e32 v7, s31
	ds_read2_b64 v[15:18], v7 offset1:1
	s_add_i32 s31, s33, s20
	v_sub_f32_e32 v3, v140, v3
	v_mov_b32_e32 v7, s31
	v_sub_f32_e32 v3, v3, v11
	ds_read2_b64 v[11:14], v7 offset1:1
	s_waitcnt lgkmcnt(1)
	v_mul_f32_e32 v7, v18, v152
	v_fma_f32 v7, v17, v154, -v7
	buffer_store_dword v3, off, s[0:3], 0 offset:80
	v_sub_f32_e32 v3, v3, v7
	s_waitcnt lgkmcnt(0)
	v_mul_f32_e32 v7, v14, v155
	v_fma_f32 v7, v13, v19, -v7
	s_add_i32 s31, s33, s23
	v_mul_f32_e32 v8, v17, v152
	v_sub_f32_e32 v3, v3, v7
	v_mov_b32_e32 v7, s31
	v_fmac_f32_e32 v8, v18, v154
	ds_read2_b64 v[21:24], v7 offset1:1
	s_add_i32 s31, s33, s22
	v_sub_f32_e32 v4, v4, v8
	v_mul_f32_e32 v8, v13, v155
	v_mov_b32_e32 v7, s31
	v_fmac_f32_e32 v8, v14, v19
	ds_read2_b64 v[17:20], v7 offset1:1
	s_waitcnt lgkmcnt(1)
	v_mul_f32_e32 v7, v24, v156
	v_fma_f32 v7, v23, v158, -v7
	v_sub_f32_e32 v3, v3, v7
	s_add_i32 s31, s33, s27
	s_waitcnt lgkmcnt(0)
	v_mul_f32_e32 v7, v20, v2
	v_fma_f32 v7, v19, v1, -v7
	v_mul_f32_e32 v2, v19, v2
	buffer_store_dword v51, off, s[0:3], 0 offset:72
	buffer_store_dword v52, off, s[0:3], 0 offset:76
	v_fmac_f32_e32 v2, v20, v1
	v_sub_f32_e32 v1, v3, v7
	v_mov_b32_e32 v3, s31
	buffer_load_dword v144, off, s[0:3], 0 offset:88
	buffer_load_dword v145, off, s[0:3], 0 offset:92
	ds_read2_b64 v[27:30], v3 offset1:1
	s_add_i32 s31, s33, s25
	v_sub_f32_e32 v4, v4, v8
	v_mul_f32_e32 v8, v23, v156
	v_mov_b32_e32 v3, s31
	v_fmac_f32_e32 v8, v24, v158
	ds_read2_b64 v[23:26], v3 offset1:1
	v_sub_f32_e32 v4, v4, v8
	s_waitcnt lgkmcnt(1)
	v_mul_f32_e32 v3, v30, v143
	v_sub_f32_e32 v2, v4, v2
	v_fma_f32 v3, v29, v142, -v3
	v_mul_f32_e32 v4, v29, v143
	v_fmac_f32_e32 v4, v30, v142
	v_sub_f32_e32 v1, v1, v3
	s_waitcnt vmcnt(21) lgkmcnt(0)
	v_mul_f32_e32 v3, v26, v160
	v_sub_f32_e32 v2, v2, v4
	s_waitcnt vmcnt(15)
	v_fma_f32 v3, v25, v161, -v3
	v_mul_f32_e32 v4, v25, v160
	s_add_i32 s31, s33, s29
	v_fmac_f32_e32 v4, v26, v161
	v_sub_f32_e32 v139, v1, v3
	v_mov_b32_e32 v1, s31
	s_add_i32 s31, s33, s28
	v_sub_f32_e32 v140, v2, v4
	v_mov_b32_e32 v2, s31
	ds_read2_b64 v[29:32], v1 offset1:1
	ds_read2_b64 v[1:4], v2 offset1:1
	s_add_i32 s31, s14, 0xffffec00
	s_add_i32 s34, s33, s31
	buffer_load_dword v137, off, s[0:3], 0 offset:68
	buffer_load_dword v26, off, s[0:3], 0 offset:68
	;; [unrolled: 1-line block ×7, first 2 shown]
	s_waitcnt vmcnt(13) lgkmcnt(1)
	v_mul_f32_e32 v141, v32, v136
	v_fma_f32 v141, v31, v138, -v141
	v_mul_f32_e32 v31, v31, v136
	s_waitcnt lgkmcnt(0)
	v_mul_f32_e32 v136, v4, v52
	v_fma_f32 v136, v3, v51, -v136
	v_mul_f32_e32 v3, v3, v52
	v_fmac_f32_e32 v31, v32, v138
	v_fmac_f32_e32 v3, v4, v51
	v_mov_b32_e32 v4, s34
	buffer_load_dword v146, off, s[0:3], 0 offset:64
	buffer_load_dword v159, off, s[0:3], 0 offset:64
	;; [unrolled: 1-line block ×7, first 2 shown]
	v_sub_f32_e32 v32, v139, v141
	v_sub_f32_e32 v31, v140, v31
	ds_read2_b64 v[138:141], v4 offset1:1
	s_add_i32 s33, s33, s30
	v_sub_f32_e32 v3, v31, v3
	v_mov_b32_e32 v4, s33
	v_sub_f32_e32 v32, v32, v136
	buffer_load_dword v147, off, s[0:3], 0 offset:76
	ds_read_b64 v[142:143], v4
	s_waitcnt lgkmcnt(1)
	v_mul_f32_e32 v4, v141, v3
	v_fma_f32 v31, v140, v32, -v4
	v_mul_f32_e32 v4, v140, v3
	buffer_load_dword v140, off, s[0:3], 0 offset:72
	v_fmac_f32_e32 v4, v141, v32
	buffer_store_dword v31, off, s[0:3], 0 offset:80
	buffer_store_dword v4, off, s[0:3], 0 offset:84
	buffer_load_dword v3, off, s[0:3], 0 offset:80
	v_mul_f32_e32 v31, v10, v117
	v_fma_f32 v32, v9, v118, -v31
	v_mul_f32_e32 v9, v9, v117
	v_fmac_f32_e32 v9, v10, v118
	buffer_load_dword v141, off, s[0:3], 0 offset:96
	buffer_load_dword v148, off, s[0:3], 0 offset:100
	;; [unrolled: 1-line block ×6, first 2 shown]
	s_add_i32 s33, s13, -13
	s_lshl_b32 s35, s33, 3
	s_add_i32 s34, s35, s14
	s_lshl_b32 s33, s33, 9
	s_waitcnt vmcnt(26)
	v_sub_f32_e32 v10, v144, v32
	v_mul_f32_e32 v32, v6, v126
	v_fma_f32 v32, v5, v128, -v32
	v_mul_f32_e32 v5, v5, v126
	s_waitcnt vmcnt(25)
	v_sub_f32_e32 v9, v145, v9
	v_fmac_f32_e32 v5, v6, v128
	v_sub_f32_e32 v6, v10, v32
	v_mul_f32_e32 v10, v15, v129
	v_sub_f32_e32 v5, v9, v5
	v_mul_f32_e32 v9, v16, v129
	v_fmac_f32_e32 v10, v16, v130
	v_fma_f32 v9, v15, v130, -v9
	v_sub_f32_e32 v5, v5, v10
	v_mul_f32_e32 v10, v11, v131
	v_sub_f32_e32 v6, v6, v9
	v_mul_f32_e32 v9, v12, v131
	v_fmac_f32_e32 v10, v12, v75
	v_fma_f32 v9, v11, v75, -v9
	;; [unrolled: 6-line block ×6, first 2 shown]
	v_sub_f32_e32 v5, v5, v10
	s_waitcnt vmcnt(24)
	v_mul_f32_e32 v10, v29, v137
	v_sub_f32_e32 v6, v6, v9
	v_mul_f32_e32 v9, v30, v137
	s_waitcnt vmcnt(17)
	v_fmac_f32_e32 v10, v30, v146
	v_fma_f32 v9, v29, v146, -v9
	s_waitcnt vmcnt(10)
	v_mul_f32_e32 v17, v2, v147
	v_sub_f32_e32 v15, v5, v10
	v_mul_f32_e32 v22, v138, v4
	v_sub_f32_e32 v11, v6, v9
	buffer_load_dword v18, off, s[0:3], 0 offset:76
	buffer_load_dword v23, off, s[0:3], 0 offset:76
	;; [unrolled: 1-line block ×7, first 2 shown]
	s_waitcnt vmcnt(16)
	v_fma_f32 v17, v1, v140, -v17
	v_mul_f32_e32 v1, v1, v147
	v_fmac_f32_e32 v1, v2, v140
	v_sub_f32_e32 v1, v15, v1
	v_mul_f32_e32 v15, v139, v4
	s_waitcnt vmcnt(13)
	v_fmac_f32_e32 v22, v139, v3
	v_sub_f32_e32 v2, v11, v17
	v_fma_f32 v15, v138, v3, -v15
	v_sub_f32_e32 v1, v1, v22
	v_sub_f32_e32 v2, v2, v15
	s_waitcnt lgkmcnt(0)
	v_mul_f32_e32 v15, v143, v1
	v_fma_f32 v15, v142, v2, -v15
	v_mul_f32_e32 v1, v142, v1
	buffer_load_dword v21, off, s[0:3], 0 offset:72
	buffer_load_dword v27, off, s[0:3], 0 offset:72
	;; [unrolled: 1-line block ×14, first 2 shown]
	v_fmac_f32_e32 v1, v143, v2
	buffer_store_dword v15, off, s[0:3], 0 offset:88
	buffer_store_dword v1, off, s[0:3], 0 offset:92
	v_mov_b32_e32 v2, s34
	s_add_i32 s34, s35, s21
	ds_read2_b64 v[128:131], v2 offset1:1
	v_mov_b32_e32 v15, s34
	ds_read2_b64 v[132:135], v15 offset1:1
	buffer_load_dword v2, off, s[0:3], 0 offset:92
	buffer_load_dword v1, off, s[0:3], 0 offset:88
	s_waitcnt lgkmcnt(1)
	v_mul_f32_e32 v22, v130, v108
	v_fmac_f32_e32 v22, v131, v111
	s_waitcnt lgkmcnt(0)
	v_mul_f32_e32 v82, v134, v113
	s_waitcnt vmcnt(29)
	v_sub_f32_e32 v22, v148, v22
	v_fmac_f32_e32 v82, v135, v114
	v_sub_f32_e32 v22, v22, v82
	buffer_load_dword v82, off, s[0:3], 0 offset:84
	v_mul_f32_e32 v15, v131, v108
	v_fma_f32 v15, v130, v111, -v15
	v_mul_f32_e32 v28, v135, v113
	v_sub_f32_e32 v15, v141, v15
	v_fma_f32 v28, v134, v114, -v28
	s_add_i32 s34, s35, s15
	v_sub_f32_e32 v15, v15, v28
	v_mov_b32_e32 v28, s34
	ds_read2_b64 v[137:140], v28 offset1:1
	s_add_i32 s34, s35, s20
	v_mov_b32_e32 v28, s34
	ds_read2_b64 v[141:144], v28 offset1:1
	s_add_i32 s34, s35, s23
	s_waitcnt lgkmcnt(1)
	v_mul_f32_e32 v28, v140, v115
	v_mul_f32_e32 v108, v139, v115
	v_fma_f32 v28, v139, v116, -v28
	v_fmac_f32_e32 v108, v140, v116
	v_sub_f32_e32 v15, v15, v28
	v_sub_f32_e32 v28, v22, v108
	s_waitcnt lgkmcnt(0)
	v_mul_f32_e32 v22, v144, v119
	v_mul_f32_e32 v108, v143, v119
	v_fma_f32 v22, v143, v76, -v22
	v_fmac_f32_e32 v108, v144, v76
	v_mov_b32_e32 v76, s34
	ds_read2_b64 v[143:146], v76 offset1:1
	s_add_i32 s34, s35, s22
	v_mov_b32_e32 v76, s34
	ds_read2_b64 v[147:150], v76 offset1:1
	v_sub_f32_e32 v15, v15, v22
	s_waitcnt lgkmcnt(1)
	v_mul_f32_e32 v76, v146, v120
	v_fma_f32 v76, v145, v121, -v76
	buffer_store_dword v15, off, s[0:3], 0 offset:96
	v_sub_f32_e32 v15, v15, v76
	s_waitcnt lgkmcnt(0)
	v_mul_f32_e32 v76, v150, v78
	v_fma_f32 v76, v149, v77, -v76
	s_add_i32 s34, s35, s27
	v_mul_f32_e32 v78, v149, v78
	v_sub_f32_e32 v15, v15, v76
	v_mov_b32_e32 v76, s34
	v_fmac_f32_e32 v78, v150, v77
	ds_read2_b64 v[149:152], v76 offset1:1
	s_add_i32 s34, s35, s25
	v_mov_b32_e32 v76, s34
	ds_read2_b64 v[153:156], v76 offset1:1
	v_sub_f32_e32 v22, v28, v108
	s_waitcnt lgkmcnt(1)
	v_mul_f32_e32 v76, v152, v81
	v_mul_f32_e32 v108, v145, v120
	v_fma_f32 v76, v151, v80, -v76
	v_fmac_f32_e32 v108, v146, v121
	v_sub_f32_e32 v15, v15, v76
	s_waitcnt lgkmcnt(0)
	v_mul_f32_e32 v76, v156, v122
	v_sub_f32_e32 v22, v22, v108
	v_mul_f32_e32 v77, v151, v81
	v_fma_f32 v76, v155, v123, -v76
	s_add_i32 s34, s35, s29
	v_sub_f32_e32 v22, v22, v78
	v_fmac_f32_e32 v77, v152, v80
	v_sub_f32_e32 v15, v15, v76
	v_mov_b32_e32 v76, s34
	v_sub_f32_e32 v22, v22, v77
	v_mul_f32_e32 v77, v155, v122
	ds_read2_b64 v[119:122], v76 offset1:1
	s_add_i32 s34, s35, s28
	v_mov_b32_e32 v76, s34
	v_fmac_f32_e32 v77, v156, v123
	ds_read2_b64 v[155:158], v76 offset1:1
	s_waitcnt lgkmcnt(1)
	v_mul_f32_e32 v76, v122, v26
	v_mul_f32_e32 v26, v121, v26
	v_sub_f32_e32 v22, v22, v77
	v_fmac_f32_e32 v26, v122, v159
	v_fma_f32 v76, v121, v159, -v76
	v_sub_f32_e32 v22, v22, v26
	s_waitcnt vmcnt(26) lgkmcnt(0)
	v_mul_f32_e32 v26, v158, v18
	v_sub_f32_e32 v15, v15, v76
	s_waitcnt vmcnt(19)
	v_fma_f32 v26, v157, v21, -v26
	v_mul_f32_e32 v18, v157, v18
	s_add_i32 s34, s35, s31
	v_fmac_f32_e32 v18, v158, v21
	v_sub_f32_e32 v21, v15, v26
	v_mov_b32_e32 v15, s34
	s_add_i32 s34, s35, s30
	v_sub_f32_e32 v18, v22, v18
	v_mov_b32_e32 v22, s34
	ds_read2_b64 v[157:160], v15 offset1:1
	ds_read2_b64 v[161:164], v22 offset1:1
	s_add_i32 s34, s14, 0xffffe800
	s_add_i32 s36, s35, s34
	buffer_load_dword v116, off, s[0:3], 0 offset:84
	buffer_load_dword v113, off, s[0:3], 0 offset:84
	;; [unrolled: 1-line block ×7, first 2 shown]
	s_waitcnt vmcnt(8) lgkmcnt(1)
	v_mul_f32_e32 v26, v160, v82
	v_fma_f32 v26, v159, v24, -v26
	s_waitcnt lgkmcnt(0)
	v_mul_f32_e32 v130, v164, v2
	v_mul_f32_e32 v77, v159, v82
	v_sub_f32_e32 v121, v21, v26
	v_fma_f32 v130, v163, v1, -v130
	v_fmac_f32_e32 v77, v160, v24
	v_mul_f32_e32 v131, v163, v2
	v_sub_f32_e32 v130, v121, v130
	v_mov_b32_e32 v121, s36
	v_sub_f32_e32 v122, v18, v77
	buffer_load_dword v123, off, s[0:3], 0 offset:92
	buffer_load_dword v114, off, s[0:3], 0 offset:92
	buffer_load_dword v111, off, s[0:3], 0 offset:92
	buffer_load_dword v24, off, s[0:3], 0 offset:92
	buffer_load_dword v18, off, s[0:3], 0 offset:92
	buffer_load_dword v77, off, s[0:3], 0 offset:92
	buffer_load_dword v81, off, s[0:3], 0 offset:92
	buffer_load_dword v134, off, s[0:3], 0 offset:88
	buffer_load_dword v151, off, s[0:3], 0 offset:88
	buffer_load_dword v115, off, s[0:3], 0 offset:88
	buffer_load_dword v26, off, s[0:3], 0 offset:88
	buffer_load_dword v21, off, s[0:3], 0 offset:88
	buffer_load_dword v78, off, s[0:3], 0 offset:88
	buffer_load_dword v82, off, s[0:3], 0 offset:88
	v_fmac_f32_e32 v131, v164, v1
	ds_read2_b64 v[163:166], v121 offset1:1
	v_sub_f32_e32 v131, v122, v131
	s_add_i32 s35, s35, s33
	v_mov_b32_e32 v121, s35
	ds_read_b64 v[121:122], v121
	s_waitcnt lgkmcnt(1)
	v_mul_f32_e32 v135, v166, v131
	v_fma_f32 v135, v165, v130, -v135
	v_mul_f32_e32 v131, v165, v131
	buffer_store_dword v135, off, s[0:3], 0 offset:96
	v_fmac_f32_e32 v131, v166, v130
	buffer_load_dword v130, off, s[0:3], 0 offset:96
	v_mul_f32_e32 v135, v129, v94
	v_mul_f32_e32 v94, v128, v94
	v_fma_f32 v135, v128, v95, -v135
	v_fmac_f32_e32 v94, v129, v95
	v_mul_f32_e32 v95, v133, v97
	v_mul_f32_e32 v97, v132, v97
	v_sub_f32_e32 v94, v136, v94
	v_fmac_f32_e32 v97, v133, v100
	v_sub_f32_e32 v31, v31, v135
	v_fma_f32 v95, v132, v100, -v95
	v_sub_f32_e32 v94, v94, v97
	v_mul_f32_e32 v97, v137, v101
	v_sub_f32_e32 v31, v31, v95
	v_mul_f32_e32 v95, v138, v101
	v_fmac_f32_e32 v97, v138, v102
	v_fma_f32 v95, v137, v102, -v95
	v_sub_f32_e32 v94, v94, v97
	v_mul_f32_e32 v97, v141, v103
	v_sub_f32_e32 v31, v31, v95
	v_mul_f32_e32 v95, v142, v103
	v_fmac_f32_e32 v97, v142, v71
	v_fma_f32 v95, v141, v71, -v95
	v_sub_f32_e32 v71, v94, v97
	v_mul_f32_e32 v94, v144, v104
	v_sub_f32_e32 v31, v31, v95
	v_fma_f32 v94, v143, v105, -v94
	v_mul_f32_e32 v95, v143, v104
	v_fmac_f32_e32 v95, v144, v105
	v_sub_f32_e32 v31, v31, v94
	v_mul_f32_e32 v94, v148, v83
	v_mul_f32_e32 v83, v147, v83
	v_sub_f32_e32 v71, v71, v95
	v_fma_f32 v94, v147, v79, -v94
	v_fmac_f32_e32 v83, v148, v79
	v_mul_f32_e32 v79, v150, v92
	v_sub_f32_e32 v31, v31, v94
	v_sub_f32_e32 v71, v71, v83
	v_fma_f32 v79, v149, v89, -v79
	v_mul_f32_e32 v83, v149, v92
	v_fmac_f32_e32 v83, v150, v89
	v_sub_f32_e32 v31, v31, v79
	v_mul_f32_e32 v79, v154, v106
	v_sub_f32_e32 v71, v71, v83
	v_fma_f32 v79, v153, v107, -v79
	v_mul_f32_e32 v83, v153, v106
	v_fmac_f32_e32 v83, v154, v107
	v_sub_f32_e32 v31, v31, v79
	v_mul_f32_e32 v79, v120, v109
	;; [unrolled: 6-line block ×3, first 2 shown]
	v_mul_f32_e32 v23, v155, v23
	v_sub_f32_e32 v71, v71, v83
	v_fmac_f32_e32 v23, v156, v27
	v_fma_f32 v79, v155, v27, -v79
	v_sub_f32_e32 v23, v71, v23
	s_waitcnt vmcnt(22)
	v_mul_f32_e32 v71, v157, v116
	v_sub_f32_e32 v27, v31, v79
	v_mul_f32_e32 v31, v158, v116
	v_fmac_f32_e32 v71, v158, v126
	v_fma_f32 v31, v157, v126, -v31
	v_sub_f32_e32 v23, v23, v71
	s_waitcnt vmcnt(15)
	v_mul_f32_e32 v71, v161, v123
	v_sub_f32_e32 v27, v27, v31
	v_mul_f32_e32 v31, v162, v123
	s_waitcnt vmcnt(8)
	v_fmac_f32_e32 v71, v162, v134
	v_mul_f32_e32 v95, v163, v131
	v_fma_f32 v31, v161, v134, -v31
	v_sub_f32_e32 v92, v23, v71
	v_mul_f32_e32 v94, v164, v131
	v_sub_f32_e32 v31, v27, v31
	buffer_load_dword v71, off, s[0:3], 0 offset:96
	buffer_load_dword v100, off, s[0:3], 0 offset:96
	;; [unrolled: 1-line block ×7, first 2 shown]
	s_add_i32 s35, s13, -15
	s_lshl_b32 s37, s35, 3
	s_add_i32 s36, s37, s14
	s_lshl_b32 s35, s35, 9
	s_waitcnt vmcnt(7)
	v_fmac_f32_e32 v95, v164, v130
	v_fma_f32 v94, v163, v130, -v94
	v_sub_f32_e32 v92, v92, v95
	v_sub_f32_e32 v31, v31, v94
	s_waitcnt lgkmcnt(0)
	v_mul_f32_e32 v94, v122, v92
	v_fma_f32 v94, v121, v31, -v94
	v_mul_f32_e32 v92, v121, v92
	v_fmac_f32_e32 v92, v122, v31
	buffer_store_dword v94, off, s[0:3], 0 offset:104
	buffer_store_dword v92, off, s[0:3], 0 offset:108
	buffer_load_dword v101, off, s[0:3], 0 offset:104
	buffer_load_dword v102, off, s[0:3], 0 offset:108
	v_add_u32_e32 v31, s21, v73
	ds_write_b64 v31, v[35:36]
	v_add_u32_e32 v31, s15, v73
	ds_write_b64 v31, v[37:38]
	;; [unrolled: 2-line block ×12, first 2 shown]
	buffer_store_dword v28, off, s[0:3], 0 offset:100
	buffer_store_dword v131, off, s[0:3], 0 offset:100
	ds_write_b64 v1, v[130:131]
	v_add_u32_e32 v1, s33, v73
	v_mov_b32_e32 v2, s36
	s_add_i32 s36, s37, s21
	ds_read2_b64 v[35:38], v2 offset1:1
	buffer_load_dword v39, off, s[0:3], 0 offset:104
	buffer_load_dword v49, off, s[0:3], 0 offset:104
	;; [unrolled: 1-line block ×14, first 2 shown]
	s_waitcnt lgkmcnt(0)
	v_mul_f32_e32 v2, v37, v84
	v_fmac_f32_e32 v2, v38, v85
	v_sub_f32_e32 v2, v118, v2
	s_waitcnt vmcnt(16)
	ds_write_b64 v1, v[101:102]
	v_mov_b32_e32 v1, s36
	ds_read2_b64 v[101:104], v1 offset1:1
	v_mul_f32_e32 v1, v38, v84
	v_fma_f32 v1, v37, v85, -v1
	v_sub_f32_e32 v1, v117, v1
	s_add_i32 s36, s37, s15
	s_waitcnt lgkmcnt(0)
	v_mul_f32_e32 v3, v104, v86
	v_fma_f32 v3, v103, v87, -v3
	v_mul_f32_e32 v4, v103, v86
	v_sub_f32_e32 v1, v1, v3
	v_mov_b32_e32 v3, s36
	v_fmac_f32_e32 v4, v104, v87
	ds_read2_b64 v[84:87], v3 offset1:1
	s_add_i32 s36, s37, s20
	v_mov_b32_e32 v3, s36
	ds_read2_b64 v[103:106], v3 offset1:1
	v_sub_f32_e32 v2, v2, v4
	s_waitcnt lgkmcnt(1)
	v_mul_f32_e32 v3, v87, v88
	v_fma_f32 v3, v86, v90, -v3
	v_sub_f32_e32 v1, v1, v3
	s_waitcnt lgkmcnt(0)
	v_mul_f32_e32 v3, v106, v91
	v_mul_f32_e32 v4, v86, v88
	v_fma_f32 v3, v105, v60, -v3
	s_add_i32 s36, s37, s23
	v_fmac_f32_e32 v4, v87, v90
	v_sub_f32_e32 v37, v1, v3
	v_mov_b32_e32 v1, s36
	v_sub_f32_e32 v2, v2, v4
	v_mul_f32_e32 v4, v105, v91
	ds_read2_b64 v[116:119], v1 offset1:1
	s_add_i32 s36, s37, s22
	v_fmac_f32_e32 v4, v106, v60
	v_mov_b32_e32 v1, s36
	v_sub_f32_e32 v38, v2, v4
	ds_read2_b64 v[1:4], v1 offset1:1
	s_waitcnt lgkmcnt(1)
	v_mul_f32_e32 v43, v119, v93
	v_fma_f32 v43, v118, v96, -v43
	v_sub_f32_e32 v37, v37, v43
	s_add_i32 s36, s37, s27
	s_waitcnt lgkmcnt(0)
	v_mul_f32_e32 v43, v4, v69
	v_fma_f32 v43, v3, v68, -v43
	v_mul_f32_e32 v3, v3, v69
	v_fmac_f32_e32 v3, v4, v68
	v_sub_f32_e32 v4, v37, v43
	v_mov_b32_e32 v37, s36
	ds_read2_b64 v[126:129], v37 offset1:1
	s_add_i32 s36, s37, s25
	v_mov_b32_e32 v37, s36
	ds_read2_b64 v[130:133], v37 offset1:1
	v_mul_f32_e32 v44, v118, v93
	v_fmac_f32_e32 v44, v119, v96
	s_waitcnt lgkmcnt(1)
	v_mul_f32_e32 v37, v129, v72
	v_sub_f32_e32 v38, v38, v44
	v_fma_f32 v37, v128, v70, -v37
	buffer_store_dword v38, off, s[0:3], 0 offset:116
	v_sub_f32_e32 v3, v38, v3
	buffer_store_dword v4, off, s[0:3], 0 offset:112
	v_mul_f32_e32 v38, v128, v72
	v_sub_f32_e32 v4, v4, v37
	s_waitcnt lgkmcnt(0)
	v_mul_f32_e32 v37, v133, v98
	v_fmac_f32_e32 v38, v129, v70
	v_fma_f32 v37, v132, v99, -v37
	s_add_i32 s36, s37, s29
	v_sub_f32_e32 v3, v3, v38
	v_mul_f32_e32 v38, v132, v98
	v_sub_f32_e32 v4, v4, v37
	v_mov_b32_e32 v37, s36
	buffer_load_dword v44, off, s[0:3], 0 offset:100
	v_fmac_f32_e32 v38, v133, v99
	ds_read2_b64 v[132:135], v37 offset1:1
	s_add_i32 s36, s37, s28
	v_mov_b32_e32 v37, s36
	ds_read2_b64 v[136:139], v37 offset1:1
	v_sub_f32_e32 v3, v3, v38
	s_waitcnt lgkmcnt(1)
	v_mul_f32_e32 v37, v135, v25
	v_mul_f32_e32 v25, v134, v25
	v_fmac_f32_e32 v25, v135, v110
	v_fma_f32 v37, v134, v110, -v37
	v_sub_f32_e32 v3, v3, v25
	s_waitcnt lgkmcnt(0)
	v_mul_f32_e32 v25, v139, v112
	v_sub_f32_e32 v4, v4, v37
	v_fma_f32 v25, v138, v124, -v25
	s_add_i32 s36, s37, s31
	v_mul_f32_e32 v37, v138, v112
	v_sub_f32_e32 v4, v4, v25
	v_mov_b32_e32 v25, s36
	buffer_load_dword v46, off, s[0:3], 0 offset:120
	buffer_load_dword v47, off, s[0:3], 0 offset:124
	v_fmac_f32_e32 v37, v139, v124
	ds_read2_b64 v[138:141], v25 offset1:1
	s_add_i32 s36, s37, s30
	v_mov_b32_e32 v25, s36
	ds_read2_b64 v[144:147], v25 offset1:1
	v_sub_f32_e32 v3, v3, v37
	s_waitcnt lgkmcnt(1)
	v_mul_f32_e32 v25, v141, v113
	v_fma_f32 v25, v140, v125, -v25
	v_mul_f32_e32 v37, v140, v113
	v_fmac_f32_e32 v37, v141, v125
	v_sub_f32_e32 v4, v4, v25
	s_waitcnt lgkmcnt(0)
	v_mul_f32_e32 v25, v147, v114
	buffer_load_dword v48, off, s[0:3], 0 offset:24
	v_sub_f32_e32 v3, v3, v37
	v_fma_f32 v25, v146, v151, -v25
	v_mul_f32_e32 v37, v146, v114
	s_add_i32 s36, s37, s34
	v_fmac_f32_e32 v37, v147, v151
	v_sub_f32_e32 v4, v4, v25
	v_mov_b32_e32 v25, s36
	s_add_i32 s36, s37, s33
	v_sub_f32_e32 v3, v3, v37
	v_mov_b32_e32 v37, s36
	ds_read2_b64 v[146:149], v25 offset1:1
	ds_read2_b64 v[150:153], v37 offset1:1
	buffer_load_dword v58, off, s[0:3], 0 offset:44
	buffer_load_dword v88, off, s[0:3], 0 offset:100
	buffer_load_dword v38, off, s[0:3], 0 offset:100
	buffer_load_dword v25, off, s[0:3], 0 offset:100
	buffer_load_dword v43, off, s[0:3], 0 offset:100
	buffer_load_dword v119, off, s[0:3], 0 offset:100
	buffer_load_dword v113, off, s[0:3], 0 offset:100
	buffer_load_dword v93, off, s[0:3], 0 offset:100
	buffer_load_dword v90, off, s[0:3], 0 offset:40
	s_add_i32 s36, s14, 0xffffe400
	s_add_i32 s38, s37, s36
	;; [unrolled: 1-line block ×3, first 2 shown]
	s_waitcnt vmcnt(12) lgkmcnt(1)
	v_mul_f32_e32 v37, v149, v44
	v_fma_f32 v37, v148, v71, -v37
	v_mul_f32_e32 v44, v148, v44
	v_fmac_f32_e32 v44, v149, v71
	v_sub_f32_e32 v4, v4, v37
	s_waitcnt lgkmcnt(0)
	v_mul_f32_e32 v37, v153, v40
	v_mul_f32_e32 v40, v152, v40
	v_sub_f32_e32 v3, v3, v44
	v_fmac_f32_e32 v40, v153, v39
	v_fma_f32 v37, v152, v39, -v37
	v_sub_f32_e32 v39, v3, v40
	v_mov_b32_e32 v3, s38
	ds_read2_b64 v[68:71], v3 offset1:1
	v_sub_f32_e32 v37, v4, v37
	v_mov_b32_e32 v3, s37
	ds_read_b64 v[3:4], v3
	s_lshl_b32 s37, s39, 3
	s_waitcnt lgkmcnt(1)
	v_mul_f32_e32 v40, v71, v39
	v_mul_f32_e32 v87, v70, v39
	v_fma_f32 v86, v70, v37, -v40
	v_fmac_f32_e32 v87, v71, v37
	v_add_u32_e32 v37, s36, v73
	buffer_store_dword v86, off, s[0:3], 0 offset:112
	buffer_store_dword v87, off, s[0:3], 0 offset:116
	ds_write_b64 v37, v[86:87]
	v_mul_f32_e32 v37, v36, v62
	v_fma_f32 v39, v35, v63, -v37
	v_mul_f32_e32 v40, v102, v64
	v_mul_f32_e32 v35, v35, v62
	s_waitcnt vmcnt(13)
	v_sub_f32_e32 v39, v46, v39
	v_fma_f32 v40, v101, v65, -v40
	v_fmac_f32_e32 v35, v36, v63
	v_mul_f32_e32 v46, v101, v64
	v_sub_f32_e32 v39, v39, v40
	v_mul_f32_e32 v40, v85, v66
	s_waitcnt vmcnt(12)
	v_sub_f32_e32 v35, v47, v35
	v_fmac_f32_e32 v46, v102, v65
	v_fma_f32 v40, v84, v67, -v40
	v_mul_f32_e32 v47, v104, v55
	v_sub_f32_e32 v35, v35, v46
	v_mul_f32_e32 v46, v84, v66
	v_sub_f32_e32 v39, v39, v40
	s_waitcnt vmcnt(11)
	v_fma_f32 v47, v103, v48, -v47
	v_mul_f32_e32 v55, v103, v55
	v_fmac_f32_e32 v46, v85, v67
	v_fmac_f32_e32 v55, v104, v48
	v_sub_f32_e32 v39, v39, v47
	v_mul_f32_e32 v47, v117, v56
	v_mul_f32_e32 v48, v116, v56
	v_sub_f32_e32 v40, v35, v46
	v_fma_f32 v47, v116, v59, -v47
	v_fmac_f32_e32 v48, v117, v59
	s_waitcnt vmcnt(10)
	v_mul_f32_e32 v59, v2, v58
	v_sub_f32_e32 v40, v40, v55
	v_sub_f32_e32 v55, v39, v47
	s_waitcnt vmcnt(2)
	v_fma_f32 v59, v1, v90, -v59
	v_mul_f32_e32 v1, v1, v58
	v_fmac_f32_e32 v1, v2, v90
	v_sub_f32_e32 v2, v55, v59
	v_mul_f32_e32 v55, v127, v54
	v_mul_f32_e32 v54, v126, v54
	v_sub_f32_e32 v56, v40, v48
	v_fma_f32 v55, v126, v53, -v55
	v_fmac_f32_e32 v54, v127, v53
	v_mul_f32_e32 v53, v131, v57
	v_sub_f32_e32 v1, v56, v1
	v_sub_f32_e32 v2, v2, v55
	v_fma_f32 v53, v130, v61, -v53
	v_mul_f32_e32 v55, v130, v57
	buffer_load_dword v52, off, s[0:3], 0 offset:128
	buffer_load_dword v60, off, s[0:3], 0 offset:132
	;; [unrolled: 1-line block ×27, first 2 shown]
	v_sub_f32_e32 v1, v1, v54
	buffer_load_dword v54, off, s[0:3], 0 offset:4
	v_fmac_f32_e32 v55, v131, v61
	v_sub_f32_e32 v2, v2, v53
	v_mul_f32_e32 v53, v133, v7
	v_mul_f32_e32 v7, v132, v7
	v_sub_f32_e32 v1, v1, v55
	v_fma_f32 v53, v132, v8, -v53
	buffer_load_dword v55, off, s[0:3], 0
	v_fmac_f32_e32 v7, v133, v8
	v_sub_f32_e32 v2, v2, v53
	v_sub_f32_e32 v1, v1, v7
	v_mul_f32_e32 v7, v137, v5
	v_mul_f32_e32 v5, v136, v5
	buffer_load_dword v53, off, s[0:3], 0 offset:12
	v_fmac_f32_e32 v5, v137, v6
	buffer_load_dword v56, off, s[0:3], 0 offset:8
	v_fma_f32 v7, v136, v6, -v7
	v_sub_f32_e32 v1, v1, v5
	v_mul_f32_e32 v5, v139, v108
	v_mul_f32_e32 v6, v138, v108
	v_sub_f32_e32 v2, v2, v7
	v_fma_f32 v5, v138, v32, -v5
	v_fmac_f32_e32 v6, v139, v32
	v_sub_f32_e32 v2, v2, v5
	v_sub_f32_e32 v1, v1, v6
	v_mul_f32_e32 v5, v145, v111
	v_mul_f32_e32 v6, v144, v111
	v_fma_f32 v5, v144, v115, -v5
	v_fmac_f32_e32 v6, v145, v115
	v_sub_f32_e32 v2, v2, v5
	v_sub_f32_e32 v1, v1, v6
	v_mul_f32_e32 v5, v147, v88
	v_mul_f32_e32 v6, v146, v88
	;; [unrolled: 6-line block ×3, first 2 shown]
	buffer_load_dword v50, off, s[0:3], 0 offset:20
	buffer_load_dword v63, off, s[0:3], 0 offset:16
	v_fma_f32 v5, v150, v49, -v5
	v_fmac_f32_e32 v6, v151, v49
	v_sub_f32_e32 v2, v2, v5
	v_sub_f32_e32 v1, v1, v6
	v_mul_f32_e32 v5, v69, v87
	v_mul_f32_e32 v6, v68, v87
	v_fma_f32 v5, v68, v86, -v5
	v_fmac_f32_e32 v6, v69, v86
	v_sub_f32_e32 v5, v2, v5
	v_sub_f32_e32 v2, v1, v6
	s_waitcnt lgkmcnt(1)
	v_mul_f32_e32 v1, v4, v2
	v_mul_f32_e32 v2, v3, v2
	v_fma_f32 v1, v3, v5, -v1
	v_fmac_f32_e32 v2, v4, v5
	v_add_u32_e32 v3, s35, v73
	buffer_store_dword v1, off, s[0:3], 0 offset:120
	buffer_store_dword v2, off, s[0:3], 0 offset:124
	ds_write_b64 v3, v[1:2]
	buffer_load_dword v64, off, s[0:3], 0 offset:28
	buffer_load_dword v68, off, s[0:3], 0 offset:32
	buffer_load_dword v69, off, s[0:3], 0 offset:36
	buffer_load_dword v85, off, s[0:3], 0 offset:48
	buffer_load_dword v86, off, s[0:3], 0 offset:52
	s_add_i32 s38, s37, s14
	v_mov_b32_e32 v1, s38
	s_add_i32 s38, s37, s21
	v_mov_b32_e32 v2, s38
	ds_read2_b64 v[5:8], v1 offset1:1
	ds_read2_b64 v[1:4], v2 offset1:1
	s_add_i32 s38, s37, s15
	buffer_load_dword v49, off, s[0:3], 0 offset:4
	buffer_load_dword v32, off, s[0:3], 0 offset:4
	;; [unrolled: 1-line block ×7, first 2 shown]
	buffer_load_dword v96, off, s[0:3], 0
	buffer_load_dword v84, off, s[0:3], 0
	;; [unrolled: 1-line block ×7, first 2 shown]
	s_lshl_b32 s39, s39, 9
	s_waitcnt vmcnt(26) lgkmcnt(1)
	v_mul_f32_e32 v59, v8, v54
	s_waitcnt vmcnt(25)
	v_fma_f32 v59, v7, v55, -v59
	v_mul_f32_e32 v7, v7, v54
	v_fmac_f32_e32 v7, v8, v55
	v_sub_f32_e32 v8, v52, v59
	v_sub_f32_e32 v7, v60, v7
	buffer_load_dword v55, off, s[0:3], 0 offset:12
	buffer_load_dword v99, off, s[0:3], 0 offset:12
	;; [unrolled: 1-line block ×7, first 2 shown]
	s_waitcnt vmcnt(31) lgkmcnt(0)
	v_mul_f32_e32 v52, v4, v53
	buffer_load_dword v100, off, s[0:3], 0 offset:8
	buffer_load_dword v101, off, s[0:3], 0 offset:8
	;; [unrolled: 1-line block ×7, first 2 shown]
	s_waitcnt vmcnt(37)
	v_fma_f32 v52, v3, v56, -v52
	v_mul_f32_e32 v3, v3, v53
	v_fmac_f32_e32 v3, v4, v56
	v_sub_f32_e32 v3, v7, v3
	v_mov_b32_e32 v7, s38
	s_add_i32 s38, s37, s20
	v_sub_f32_e32 v4, v8, v52
	v_mov_b32_e32 v8, s38
	ds_read2_b64 v[145:148], v7 offset1:1
	ds_read2_b64 v[176:179], v8 offset1:1
	buffer_load_dword v7, off, s[0:3], 0 offset:20
	buffer_load_dword v103, off, s[0:3], 0 offset:20
	;; [unrolled: 1-line block ×14, first 2 shown]
	s_add_i32 s38, s37, s23
	s_waitcnt vmcnt(50) lgkmcnt(1)
	v_mul_f32_e32 v8, v148, v50
	s_waitcnt vmcnt(49)
	v_fma_f32 v8, v147, v63, -v8
	v_mul_f32_e32 v50, v147, v50
	v_fmac_f32_e32 v50, v148, v63
	v_sub_f32_e32 v4, v4, v8
	buffer_load_dword v8, off, s[0:3], 0 offset:60
	buffer_load_dword v133, off, s[0:3], 0 offset:28
	;; [unrolled: 1-line block ×9, first 2 shown]
	v_sub_f32_e32 v3, v3, v50
	s_waitcnt vmcnt(55) lgkmcnt(0)
	v_mul_f32_e32 v50, v179, v64
	v_fma_f32 v50, v178, v51, -v50
	v_mul_f32_e32 v52, v178, v64
	v_fmac_f32_e32 v52, v179, v51
	v_sub_f32_e32 v4, v4, v50
	v_mov_b32_e32 v50, s38
	s_add_i32 s38, s37, s22
	v_sub_f32_e32 v3, v3, v52
	v_mov_b32_e32 v64, s38
	ds_read2_b64 v[51:54], v50 offset1:1
	ds_read2_b64 v[193:196], v64 offset1:1
	s_add_i32 s38, s37, s27
	buffer_load_dword v149, off, s[0:3], 0 offset:36
	buffer_load_dword v153, off, s[0:3], 0 offset:36
	;; [unrolled: 1-line block ×14, first 2 shown]
	s_waitcnt vmcnt(62) lgkmcnt(1)
	v_mul_f32_e32 v50, v54, v69
	v_fma_f32 v50, v53, v68, -v50
	v_mul_f32_e32 v53, v53, v69
	v_fmac_f32_e32 v53, v54, v68
	v_sub_f32_e32 v4, v4, v50
	s_waitcnt lgkmcnt(0)
	v_mul_f32_e32 v50, v196, v66
	v_sub_f32_e32 v3, v3, v53
	v_fma_f32 v50, v195, v67, -v50
	v_mul_f32_e32 v53, v195, v66
	v_fmac_f32_e32 v53, v196, v67
	v_sub_f32_e32 v4, v4, v50
	v_mov_b32_e32 v50, s38
	s_add_i32 s38, s37, s25
	v_sub_f32_e32 v3, v3, v53
	v_mov_b32_e32 v53, s38
	ds_read2_b64 v[195:198], v50 offset1:1
	ds_read2_b64 v[199:202], v53 offset1:1
	buffer_load_dword v181, off, s[0:3], 0 offset:52
	buffer_load_dword v189, off, s[0:3], 0 offset:52
	;; [unrolled: 1-line block ×14, first 2 shown]
	s_add_i32 s38, s37, s29
	s_waitcnt lgkmcnt(1)
	v_mul_f32_e32 v53, v197, v86
	v_fmac_f32_e32 v53, v198, v85
	v_sub_f32_e32 v3, v3, v53
	v_mul_f32_e32 v50, v198, v86
	buffer_store_dword v3, off, s[0:3], 0 offset:132
	v_fma_f32 v50, v197, v85, -v50
	buffer_load_dword v53, off, s[0:3], 0 offset:112
	buffer_load_dword v54, off, s[0:3], 0 offset:116
	;; [unrolled: 1-line block ×9, first 2 shown]
	v_sub_f32_e32 v4, v4, v50
	buffer_load_dword v198, off, s[0:3], 0 offset:56
	buffer_load_dword v231, off, s[0:3], 0 offset:56
	;; [unrolled: 1-line block ×7, first 2 shown]
	s_waitcnt vmcnt(53) lgkmcnt(0)
	v_mul_f32_e32 v50, v202, v8
	v_mul_f32_e32 v8, v201, v8
	s_waitcnt vmcnt(45)
	v_fmac_f32_e32 v8, v202, v87
	v_sub_f32_e32 v3, v3, v8
	v_mov_b32_e32 v8, s38
	v_fma_f32 v50, v201, v87, -v50
	ds_read2_b64 v[201:204], v8 offset1:1
	s_add_i32 s38, s37, s28
	v_mov_b32_e32 v8, s38
	ds_read2_b64 v[205:208], v8 offset1:1
	v_sub_f32_e32 v4, v4, v50
	s_waitcnt lgkmcnt(1)
	v_mul_f32_e32 v8, v204, v19
	v_fma_f32 v8, v203, v20, -v8
	buffer_store_dword v4, off, s[0:3], 0 offset:128
	v_mul_f32_e32 v19, v203, v19
	buffer_load_dword v203, off, s[0:3], 0 offset:124
	v_sub_f32_e32 v4, v4, v8
	s_waitcnt lgkmcnt(0)
	v_mul_f32_e32 v8, v208, v12
	v_mul_f32_e32 v12, v207, v12
	v_fma_f32 v8, v207, v16, -v8
	v_fmac_f32_e32 v12, v208, v16
	buffer_load_dword v16, off, s[0:3], 0 offset:120
	s_add_i32 s38, s37, s31
	v_sub_f32_e32 v4, v4, v8
	v_mov_b32_e32 v8, s38
	ds_read2_b64 v[207:210], v8 offset1:1
	s_add_i32 s38, s37, s30
	v_mov_b32_e32 v8, s38
	ds_read2_b64 v[211:214], v8 offset1:1
	v_fmac_f32_e32 v19, v204, v20
	s_waitcnt lgkmcnt(1)
	v_mul_f32_e32 v8, v210, v22
	v_sub_f32_e32 v3, v3, v19
	v_fma_f32 v8, v209, v17, -v8
	v_sub_f32_e32 v3, v3, v12
	v_mul_f32_e32 v12, v209, v22
	v_sub_f32_e32 v4, v4, v8
	s_waitcnt lgkmcnt(0)
	v_mul_f32_e32 v8, v214, v24
	v_fmac_f32_e32 v12, v210, v17
	v_fma_f32 v8, v213, v26, -v8
	s_add_i32 s38, s37, s34
	v_sub_f32_e32 v3, v3, v12
	v_mul_f32_e32 v12, v213, v24
	v_sub_f32_e32 v4, v4, v8
	v_mov_b32_e32 v8, s38
	v_fmac_f32_e32 v12, v214, v26
	ds_read2_b64 v[213:216], v8 offset1:1
	s_add_i32 s38, s37, s33
	v_mov_b32_e32 v8, s38
	ds_read2_b64 v[217:220], v8 offset1:1
	v_sub_f32_e32 v3, v3, v12
	s_waitcnt lgkmcnt(1)
	v_mul_f32_e32 v8, v216, v38
	v_fma_f32 v8, v215, v27, -v8
	v_mul_f32_e32 v12, v215, v38
	v_fmac_f32_e32 v12, v216, v27
	v_sub_f32_e32 v4, v4, v8
	s_waitcnt lgkmcnt(0)
	v_mul_f32_e32 v8, v220, v34
	v_sub_f32_e32 v3, v3, v12
	v_fma_f32 v8, v219, v33, -v8
	v_mul_f32_e32 v12, v219, v34
	s_add_i32 s38, s37, s36
	v_fmac_f32_e32 v12, v220, v33
	v_sub_f32_e32 v4, v4, v8
	v_mov_b32_e32 v8, s38
	s_add_i32 s38, s37, s35
	v_sub_f32_e32 v3, v3, v12
	v_mov_b32_e32 v12, s38
	ds_read2_b64 v[219:222], v8 offset1:1
	ds_read2_b64 v[223:226], v12 offset1:1
	buffer_load_dword v8, off, s[0:3], 0 offset:116
	buffer_load_dword v50, off, s[0:3], 0 offset:116
	;; [unrolled: 1-line block ×14, first 2 shown]
	s_add_i32 s38, s14, 0xffffe000
	s_waitcnt vmcnt(31) lgkmcnt(1)
	v_mul_f32_e32 v12, v222, v54
	v_fma_f32 v12, v221, v53, -v12
	v_sub_f32_e32 v4, v4, v12
	buffer_load_dword v12, off, s[0:3], 0 offset:124
	buffer_load_dword v209, off, s[0:3], 0 offset:124
	;; [unrolled: 1-line block ×14, first 2 shown]
	v_mul_f32_e32 v19, v221, v54
	v_fmac_f32_e32 v19, v222, v53
	v_sub_f32_e32 v3, v3, v19
	s_add_i32 s37, s37, s38
	s_waitcnt vmcnt(29) lgkmcnt(0)
	v_mul_f32_e32 v19, v226, v203
	v_mul_f32_e32 v22, v225, v203
	s_waitcnt vmcnt(28)
	v_fma_f32 v19, v225, v16, -v19
	v_fmac_f32_e32 v22, v226, v16
	v_sub_f32_e32 v16, v4, v19
	v_sub_f32_e32 v19, v3, v22
	v_mov_b32_e32 v3, s37
	ds_read2_b64 v[225:228], v3 offset1:1
	s_mul_i32 s37, s13, 0x208
	s_add_i32 s40, s37, 0xffffdd78
	v_mov_b32_e32 v3, s40
	ds_read_b64 v[3:4], v3
	s_waitcnt lgkmcnt(1)
	v_mul_f32_e32 v22, v228, v19
	v_mul_f32_e32 v54, v227, v19
	v_fma_f32 v53, v227, v16, -v22
	v_fmac_f32_e32 v54, v228, v16
	v_mul_f32_e32 v16, v6, v49
	v_fma_f32 v16, v5, v96, -v16
	v_mul_f32_e32 v5, v5, v49
	v_fmac_f32_e32 v5, v6, v96
	v_sub_f32_e32 v6, v44, v16
	v_mul_f32_e32 v16, v2, v55
	v_fma_f32 v16, v1, v100, -v16
	v_mul_f32_e32 v1, v1, v55
	v_sub_f32_e32 v5, v45, v5
	v_fmac_f32_e32 v1, v2, v100
	v_sub_f32_e32 v2, v6, v16
	v_mul_f32_e32 v6, v145, v7
	v_sub_f32_e32 v1, v5, v1
	v_mul_f32_e32 v5, v146, v7
	v_fmac_f32_e32 v6, v146, v56
	v_fma_f32 v5, v145, v56, -v5
	v_sub_f32_e32 v1, v1, v6
	v_mul_f32_e32 v6, v176, v133
	v_sub_f32_e32 v2, v2, v5
	v_mul_f32_e32 v5, v177, v133
	v_fmac_f32_e32 v6, v177, v46
	v_fma_f32 v5, v176, v46, -v5
	;; [unrolled: 6-line block ×6, first 2 shown]
	v_sub_f32_e32 v1, v1, v6
	v_mul_f32_e32 v6, v201, v13
	v_sub_f32_e32 v2, v2, v5
	v_mul_f32_e32 v5, v202, v13
	v_fmac_f32_e32 v6, v202, v14
	buffer_store_dword v53, off, s[0:3], 0 offset:128
	buffer_store_dword v54, off, s[0:3], 0 offset:132
	;; [unrolled: 1-line block ×3, first 2 shown]
	v_fma_f32 v5, v201, v14, -v5
	v_sub_f32_e32 v1, v1, v6
	v_mul_f32_e32 v6, v205, v9
	v_sub_f32_e32 v2, v2, v5
	v_mul_f32_e32 v5, v206, v9
	v_fmac_f32_e32 v6, v206, v10
	v_fma_f32 v5, v205, v10, -v5
	v_sub_f32_e32 v1, v1, v6
	v_mul_f32_e32 v6, v207, v15
	buffer_store_dword v2, off, s[0:3], 0 offset:136
	v_sub_f32_e32 v2, v2, v5
	v_mul_f32_e32 v5, v208, v15
	v_fmac_f32_e32 v6, v208, v11
	v_fma_f32 v5, v207, v11, -v5
	v_sub_f32_e32 v1, v1, v6
	v_mul_f32_e32 v6, v211, v18
	v_sub_f32_e32 v2, v2, v5
	v_mul_f32_e32 v5, v212, v18
	v_fmac_f32_e32 v6, v212, v21
	v_fma_f32 v5, v211, v21, -v5
	v_sub_f32_e32 v1, v1, v6
	v_mul_f32_e32 v6, v213, v25
	;; [unrolled: 6-line block ×3, first 2 shown]
	v_sub_f32_e32 v2, v2, v5
	v_mul_f32_e32 v5, v218, v31
	v_fmac_f32_e32 v6, v218, v28
	v_fma_f32 v5, v217, v28, -v5
	v_sub_f32_e32 v1, v1, v6
	s_waitcnt vmcnt(31)
	v_mul_f32_e32 v6, v219, v8
	v_sub_f32_e32 v2, v2, v5
	v_mul_f32_e32 v5, v220, v8
	s_waitcnt vmcnt(24)
	v_fmac_f32_e32 v6, v220, v17
	v_fma_f32 v5, v219, v17, -v5
	v_sub_f32_e32 v1, v1, v6
	s_waitcnt vmcnt(17)
	v_mul_f32_e32 v6, v223, v12
	v_sub_f32_e32 v2, v2, v5
	v_mul_f32_e32 v5, v224, v12
	s_waitcnt vmcnt(10)
	v_fmac_f32_e32 v6, v224, v20
	v_fma_f32 v5, v223, v20, -v5
	v_sub_f32_e32 v1, v1, v6
	v_mul_f32_e32 v6, v225, v54
	v_sub_f32_e32 v2, v2, v5
	v_mul_f32_e32 v5, v226, v54
	v_fmac_f32_e32 v6, v226, v53
	v_fma_f32 v5, v225, v53, -v5
	v_sub_f32_e32 v1, v1, v6
	v_sub_f32_e32 v2, v2, v5
	s_waitcnt lgkmcnt(0)
	v_mul_f32_e32 v5, v4, v1
	v_fma_f32 v55, v3, v2, -v5
	v_mul_f32_e32 v56, v3, v1
	s_add_i32 s40, s42, s14
	v_fmac_f32_e32 v56, v4, v2
	buffer_store_dword v55, off, s[0:3], 0 offset:136
	buffer_store_dword v56, off, s[0:3], 0 offset:140
	v_mov_b32_e32 v1, s40
	ds_read2_b64 v[7:10], v1 offset1:1
	buffer_load_dword v31, off, s[0:3], 0 offset:68
	s_add_i32 s40, s42, s21
	v_mov_b32_e32 v1, s40
	ds_read2_b64 v[1:4], v1 offset1:1
	s_waitcnt lgkmcnt(1)
	v_mul_f32_e32 v5, v10, v32
	v_mul_f32_e32 v6, v9, v32
	buffer_load_dword v32, off, s[0:3], 0 offset:64
	v_fma_f32 v5, v9, v84, -v5
	s_waitcnt lgkmcnt(0)
	v_mul_f32_e32 v9, v4, v99
	v_fma_f32 v9, v3, v101, -v9
	v_mul_f32_e32 v3, v3, v99
	s_add_i32 s40, s42, s15
	v_fmac_f32_e32 v6, v10, v84
	v_sub_f32_e32 v5, v36, v5
	v_fmac_f32_e32 v3, v4, v101
	v_mov_b32_e32 v4, s40
	v_sub_f32_e32 v6, v37, v6
	v_sub_f32_e32 v13, v5, v9
	ds_read2_b64 v[9:12], v4 offset1:1
	s_add_i32 s40, s42, s20
	v_sub_f32_e32 v14, v6, v3
	v_mov_b32_e32 v3, s40
	ds_read2_b64 v[3:6], v3 offset1:1
	s_waitcnt lgkmcnt(1)
	v_mul_f32_e32 v15, v12, v103
	v_fma_f32 v15, v11, v123, -v15
	v_mul_f32_e32 v11, v11, v103
	v_fmac_f32_e32 v11, v12, v123
	v_sub_f32_e32 v12, v13, v15
	s_waitcnt lgkmcnt(0)
	v_mul_f32_e32 v13, v6, v135
	v_fma_f32 v13, v5, v35, -v13
	v_mul_f32_e32 v5, v5, v135
	s_add_i32 s40, s42, s23
	v_fmac_f32_e32 v5, v6, v35
	v_sub_f32_e32 v6, v12, v13
	v_mov_b32_e32 v12, s40
	v_sub_f32_e32 v11, v14, v11
	ds_read2_b64 v[17:20], v12 offset1:1
	s_add_i32 s40, s42, s22
	v_sub_f32_e32 v5, v11, v5
	v_mov_b32_e32 v11, s40
	ds_read2_b64 v[11:14], v11 offset1:1
	s_waitcnt lgkmcnt(1)
	v_mul_f32_e32 v15, v20, v153
	v_fma_f32 v15, v19, v174, -v15
	v_sub_f32_e32 v6, v6, v15
	v_mul_f32_e32 v16, v19, v153
	s_waitcnt lgkmcnt(0)
	v_mul_f32_e32 v15, v14, v39
	v_fma_f32 v15, v13, v40, -v15
	v_mul_f32_e32 v13, v13, v39
	s_add_i32 s40, s42, s27
	v_fmac_f32_e32 v16, v20, v174
	v_fmac_f32_e32 v13, v14, v40
	v_mov_b32_e32 v14, s40
	v_sub_f32_e32 v5, v5, v16
	ds_read2_b64 v[23:26], v14 offset1:1
	s_add_i32 s40, s42, s25
	v_sub_f32_e32 v5, v5, v13
	v_mov_b32_e32 v13, s40
	ds_read2_b64 v[19:22], v13 offset1:1
	s_waitcnt lgkmcnt(1)
	v_mul_f32_e32 v14, v25, v189
	v_mul_f32_e32 v13, v26, v189
	v_fmac_f32_e32 v14, v26, v230
	v_sub_f32_e32 v6, v6, v15
	v_fma_f32 v13, v25, v230, -v13
	v_sub_f32_e32 v5, v5, v14
	s_waitcnt lgkmcnt(0)
	v_mul_f32_e32 v14, v21, v197
	v_sub_f32_e32 v6, v6, v13
	v_mul_f32_e32 v13, v22, v197
	v_fmac_f32_e32 v14, v22, v231
	s_add_i32 s40, s42, s29
	v_fma_f32 v13, v21, v231, -v13
	v_sub_f32_e32 v34, v5, v14
	v_mov_b32_e32 v5, s40
	s_add_i32 s40, s42, s28
	v_sub_f32_e32 v33, v6, v13
	v_mov_b32_e32 v6, s40
	ds_read2_b64 v[25:28], v5 offset1:1
	ds_read2_b64 v[13:16], v6 offset1:1
	s_add_i32 s40, s42, s31
	buffer_load_dword v5, off, s[0:3], 0 offset:68
	buffer_load_dword v181, off, s[0:3], 0 offset:68
	buffer_load_dword v21, off, s[0:3], 0 offset:68
	buffer_load_dword v135, off, s[0:3], 0 offset:68
	buffer_load_dword v100, off, s[0:3], 0 offset:68
	buffer_load_dword v84, off, s[0:3], 0 offset:68
	buffer_load_dword v6, off, s[0:3], 0 offset:64
	buffer_load_dword v189, off, s[0:3], 0 offset:64
	buffer_load_dword v22, off, s[0:3], 0 offset:64
	buffer_load_dword v153, off, s[0:3], 0 offset:64
	buffer_load_dword v123, off, s[0:3], 0 offset:64
	buffer_load_dword v85, off, s[0:3], 0 offset:64
	s_waitcnt vmcnt(13) lgkmcnt(1)
	v_mul_f32_e32 v35, v28, v31
	s_waitcnt vmcnt(12)
	v_fma_f32 v35, v27, v32, -v35
	v_mul_f32_e32 v27, v27, v31
	s_waitcnt lgkmcnt(0)
	v_mul_f32_e32 v31, v16, v29
	v_fmac_f32_e32 v27, v28, v32
	v_fma_f32 v31, v15, v30, -v31
	v_mul_f32_e32 v15, v15, v29
	v_sub_f32_e32 v27, v34, v27
	v_fmac_f32_e32 v15, v16, v30
	v_sub_f32_e32 v28, v33, v35
	buffer_store_dword v27, off, s[0:3], 0 offset:148
	v_sub_f32_e32 v15, v27, v15
	v_mov_b32_e32 v27, s40
	buffer_load_dword v101, off, s[0:3], 0 offset:128
	buffer_load_dword v103, off, s[0:3], 0 offset:132
	v_sub_f32_e32 v16, v28, v31
	ds_read2_b64 v[31:34], v27 offset1:1
	s_add_i32 s40, s42, s30
	v_mov_b32_e32 v27, s40
	ds_read2_b64 v[27:30], v27 offset1:1
	s_add_i32 s40, s42, s34
	s_waitcnt lgkmcnt(1)
	v_mul_f32_e32 v35, v34, v76
	v_fma_f32 v35, v33, v75, -v35
	v_mul_f32_e32 v33, v33, v76
	v_fmac_f32_e32 v33, v34, v75
	v_sub_f32_e32 v15, v15, v33
	s_waitcnt lgkmcnt(0)
	v_mul_f32_e32 v33, v30, v77
	v_fma_f32 v33, v29, v78, -v33
	v_mul_f32_e32 v29, v29, v77
	v_fmac_f32_e32 v29, v30, v78
	v_mov_b32_e32 v30, s40
	buffer_load_dword v196, off, s[0:3], 0 offset:140
	buffer_load_dword v197, off, s[0:3], 0 offset:136
	ds_read2_b64 v[37:40], v30 offset1:1
	s_add_i32 s40, s42, s33
	buffer_store_dword v16, off, s[0:3], 0 offset:144
	v_sub_f32_e32 v16, v16, v35
	v_sub_f32_e32 v15, v15, v29
	v_mov_b32_e32 v29, s40
	v_sub_f32_e32 v16, v16, v33
	ds_read2_b64 v[33:36], v29 offset1:1
	s_waitcnt lgkmcnt(1)
	v_mul_f32_e32 v29, v40, v43
	v_fma_f32 v29, v39, v79, -v29
	v_sub_f32_e32 v16, v16, v29
	v_mul_f32_e32 v30, v39, v43
	s_waitcnt lgkmcnt(0)
	v_mul_f32_e32 v29, v36, v42
	v_fma_f32 v29, v35, v41, -v29
	s_add_i32 s40, s42, s36
	v_fmac_f32_e32 v30, v40, v79
	v_sub_f32_e32 v16, v16, v29
	v_mov_b32_e32 v29, s40
	s_add_i32 s40, s42, s35
	v_sub_f32_e32 v15, v15, v30
	v_mul_f32_e32 v30, v35, v42
	ds_read2_b64 v[43:46], v29 offset1:1
	v_mov_b32_e32 v29, s40
	v_fmac_f32_e32 v30, v36, v41
	ds_read2_b64 v[39:42], v29 offset1:1
	buffer_load_dword v35, off, s[0:3], 0 offset:152
	buffer_load_dword v36, off, s[0:3], 0 offset:156
	s_waitcnt lgkmcnt(1)
	v_mul_f32_e32 v29, v46, v50
	v_sub_f32_e32 v15, v15, v30
	v_fma_f32 v29, v45, v204, -v29
	v_mul_f32_e32 v30, v45, v50
	v_fmac_f32_e32 v30, v46, v204
	v_sub_f32_e32 v16, v16, v29
	s_waitcnt lgkmcnt(0)
	v_mul_f32_e32 v29, v42, v209
	v_sub_f32_e32 v15, v15, v30
	v_fma_f32 v29, v41, v210, -v29
	v_mul_f32_e32 v30, v41, v209
	s_add_i32 s40, s42, s38
	v_fmac_f32_e32 v30, v42, v210
	v_sub_f32_e32 v16, v16, v29
	v_mov_b32_e32 v29, s40
	s_add_i32 s40, s42, s39
	v_sub_f32_e32 v15, v15, v30
	v_mov_b32_e32 v30, s40
	ds_read2_b64 v[49:52], v29 offset1:1
	ds_read2_b64 v[45:48], v30 offset1:1
	s_add_i32 s40, s14, 0xffffdc00
	s_add_i32 s42, s42, s40
	buffer_load_dword v79, off, s[0:3], 0 offset:64
	buffer_load_dword v204, off, s[0:3], 0 offset:132
	;; [unrolled: 1-line block ×15, first 2 shown]
	s_waitcnt vmcnt(20) lgkmcnt(1)
	v_mul_f32_e32 v41, v52, v103
	v_fma_f32 v41, v51, v101, -v41
	v_sub_f32_e32 v16, v16, v41
	v_mul_f32_e32 v42, v51, v103
	v_fmac_f32_e32 v42, v52, v101
	v_sub_f32_e32 v15, v15, v42
	buffer_load_dword v206, off, s[0:3], 0 offset:140
	buffer_load_dword v52, off, s[0:3], 0 offset:140
	;; [unrolled: 1-line block ×16, first 2 shown]
	s_waitcnt vmcnt(35) lgkmcnt(0)
	v_mul_f32_e32 v41, v48, v196
	s_waitcnt vmcnt(34)
	v_fma_f32 v41, v47, v197, -v41
	v_mul_f32_e32 v47, v47, v196
	v_sub_f32_e32 v16, v16, v41
	v_mov_b32_e32 v41, s42
	v_fmac_f32_e32 v47, v48, v197
	ds_read2_b64 v[196:199], v41 offset1:1
	s_add_i32 s42, s37, 0xffffd968
	v_sub_f32_e32 v15, v15, v47
	v_mov_b32_e32 v41, s42
	ds_read_b64 v[200:201], v41
	s_waitcnt lgkmcnt(1)
	v_mul_f32_e32 v41, v199, v15
	v_mul_f32_e32 v203, v198, v15
	;; [unrolled: 1-line block ×3, first 2 shown]
	v_fma_f32 v202, v198, v16, -v41
	v_fma_f32 v41, v7, v130, -v15
	v_mul_f32_e32 v7, v7, v128
	v_fmac_f32_e32 v7, v8, v130
	v_fmac_f32_e32 v203, v199, v16
	buffer_store_dword v202, off, s[0:3], 0 offset:144
	buffer_store_dword v203, off, s[0:3], 0 offset:148
	buffer_load_dword v8, off, s[0:3], 0 offset:80
	buffer_load_dword v198, off, s[0:3], 0 offset:160
	;; [unrolled: 1-line block ×7, first 2 shown]
	s_add_i32 s42, s44, s14
	s_waitcnt vmcnt(41)
	v_sub_f32_e32 v35, v35, v41
	s_waitcnt vmcnt(40)
	v_sub_f32_e32 v7, v36, v7
	v_mul_f32_e32 v36, v2, v155
	v_fma_f32 v36, v1, v157, -v36
	v_mul_f32_e32 v1, v1, v155
	v_fmac_f32_e32 v1, v2, v157
	v_sub_f32_e32 v1, v7, v1
	v_mul_f32_e32 v7, v10, v158
	v_sub_f32_e32 v2, v35, v36
	v_fma_f32 v7, v9, v160, -v7
	v_mul_f32_e32 v9, v9, v158
	v_sub_f32_e32 v2, v2, v7
	v_mul_f32_e32 v7, v4, v170
	v_fmac_f32_e32 v9, v10, v160
	v_fma_f32 v7, v3, v120, -v7
	v_mul_f32_e32 v3, v3, v170
	v_sub_f32_e32 v1, v1, v9
	v_fmac_f32_e32 v3, v4, v120
	v_sub_f32_e32 v1, v1, v3
	v_mul_f32_e32 v3, v18, v182
	v_sub_f32_e32 v2, v2, v7
	v_fma_f32 v3, v17, v183, -v3
	v_sub_f32_e32 v2, v2, v3
	v_mul_f32_e32 v3, v12, v121
	v_fma_f32 v3, v11, v122, -v3
	v_sub_f32_e32 v2, v2, v3
	v_mul_f32_e32 v3, v24, v184
	;; [unrolled: 3-line block ×3, first 2 shown]
	v_fma_f32 v3, v19, v187, -v3
	v_mul_f32_e32 v4, v17, v182
	v_sub_f32_e32 v2, v2, v3
	v_mul_f32_e32 v3, v26, v5
	v_fmac_f32_e32 v4, v18, v183
	v_fma_f32 v3, v25, v6, -v3
	v_sub_f32_e32 v1, v1, v4
	v_mul_f32_e32 v4, v11, v121
	v_sub_f32_e32 v2, v2, v3
	buffer_load_dword v3, off, s[0:3], 0 offset:148
	v_fmac_f32_e32 v4, v12, v122
	v_sub_f32_e32 v1, v1, v4
	v_mul_f32_e32 v4, v23, v184
	v_fmac_f32_e32 v4, v24, v185
	v_sub_f32_e32 v1, v1, v4
	v_mul_f32_e32 v4, v19, v186
	;; [unrolled: 3-line block ×3, first 2 shown]
	buffer_load_dword v20, off, s[0:3], 0 offset:76
	buffer_load_dword v11, off, s[0:3], 0 offset:76
	;; [unrolled: 1-line block ×11, first 2 shown]
	v_fmac_f32_e32 v4, v26, v6
	v_sub_f32_e32 v1, v1, v4
	s_waitcnt vmcnt(22)
	v_mul_f32_e32 v4, v14, v208
	s_waitcnt vmcnt(21)
	v_fma_f32 v4, v13, v209, -v4
	v_mul_f32_e32 v6, v13, v208
	v_fmac_f32_e32 v6, v14, v209
	v_sub_f32_e32 v2, v2, v4
	v_mul_f32_e32 v4, v32, v80
	v_sub_f32_e32 v1, v1, v6
	v_mul_f32_e32 v6, v31, v80
	buffer_store_dword v1, off, s[0:3], 0 offset:156
	buffer_load_dword v208, off, s[0:3], 0 offset:80
	buffer_load_dword v14, off, s[0:3], 0 offset:80
	;; [unrolled: 1-line block ×5, first 2 shown]
	v_add_u32_e32 v7, s41, v73
	s_waitcnt vmcnt(24)
	v_fma_f32 v4, v31, v8, -v4
	v_fmac_f32_e32 v6, v32, v8
	v_sub_f32_e32 v2, v2, v4
	v_mul_f32_e32 v4, v28, v81
	v_sub_f32_e32 v1, v1, v6
	v_fma_f32 v4, v27, v82, -v4
	v_mul_f32_e32 v6, v27, v81
	v_fmac_f32_e32 v6, v28, v82
	v_sub_f32_e32 v2, v2, v4
	v_mul_f32_e32 v4, v38, v119
	v_sub_f32_e32 v1, v1, v6
	v_fma_f32 v4, v37, v83, -v4
	v_mul_f32_e32 v6, v37, v119
	;; [unrolled: 6-line block ×7, first 2 shown]
	v_fmac_f32_e32 v6, v46, v207
	v_sub_f32_e32 v2, v2, v4
	v_sub_f32_e32 v1, v1, v6
	buffer_load_dword v19, off, s[0:3], 0 offset:148
	buffer_load_dword v13, off, s[0:3], 0 offset:148
	;; [unrolled: 1-line block ×14, first 2 shown]
	s_waitcnt vmcnt(31)
	v_mul_f32_e32 v4, v197, v3
	v_mul_f32_e32 v3, v196, v3
	s_waitcnt vmcnt(25)
	v_fmac_f32_e32 v3, v197, v5
	v_fma_f32 v4, v196, v5, -v4
	v_sub_f32_e32 v1, v1, v3
	v_sub_f32_e32 v2, v2, v4
	s_waitcnt lgkmcnt(0)
	v_mul_f32_e32 v3, v200, v1
	v_fmac_f32_e32 v3, v201, v2
	buffer_store_dword v3, off, s[0:3], 0 offset:156
	buffer_load_dword v6, off, s[0:3], 0 offset:156
	v_add_u32_e32 v3, s38, v73
	ds_write_b64 v3, v[53:54]
	v_add_u32_e32 v3, s39, v73
	v_mul_f32_e32 v1, v201, v1
	ds_write_b64 v3, v[55:56]
	v_add_u32_e32 v3, s40, v73
	v_fma_f32 v5, v200, v2, -v1
	ds_write_b64 v3, v[202:203]
	buffer_store_dword v5, off, s[0:3], 0 offset:152
	v_mov_b32_e32 v1, s42
	ds_read2_b64 v[1:4], v1 offset1:1
	buffer_load_dword v32, off, s[0:3], 0 offset:156
	buffer_load_dword v18, off, s[0:3], 0 offset:156
	;; [unrolled: 1-line block ×10, first 2 shown]
	s_add_i32 s42, s44, s21
	s_waitcnt lgkmcnt(0)
	v_mul_f32_e32 v9, v4, v151
	v_fma_f32 v9, v3, v152, -v9
	v_mul_f32_e32 v3, v3, v151
	v_fmac_f32_e32 v3, v4, v152
	v_sub_f32_e32 v4, v198, v9
	v_sub_f32_e32 v3, v199, v3
	s_waitcnt vmcnt(11)
	ds_write_b64 v7, v[5:6]
	v_mov_b32_e32 v5, s42
	ds_read2_b64 v[5:8], v5 offset1:1
	s_add_i32 s42, s44, s15
	s_waitcnt lgkmcnt(0)
	v_mul_f32_e32 v9, v8, v162
	v_fma_f32 v9, v7, v163, -v9
	v_mul_f32_e32 v7, v7, v162
	v_fmac_f32_e32 v7, v8, v163
	v_sub_f32_e32 v3, v3, v7
	v_mov_b32_e32 v7, s42
	ds_read2_b64 v[23:26], v7 offset1:1
	s_add_i32 s42, s44, s20
	v_mov_b32_e32 v7, s42
	v_sub_f32_e32 v4, v4, v9
	ds_read2_b64 v[7:10], v7 offset1:1
	s_waitcnt lgkmcnt(1)
	v_mul_f32_e32 v27, v26, v164
	v_fma_f32 v27, v25, v165, -v27
	v_mul_f32_e32 v25, v25, v164
	v_fmac_f32_e32 v25, v26, v165
	v_sub_f32_e32 v3, v3, v25
	s_waitcnt lgkmcnt(0)
	v_mul_f32_e32 v25, v10, v166
	v_fma_f32 v25, v9, v129, -v25
	v_mul_f32_e32 v9, v9, v166
	s_add_i32 s42, s44, s23
	v_fmac_f32_e32 v9, v10, v129
	v_mov_b32_e32 v10, s42
	s_add_i32 s42, s44, s22
	v_sub_f32_e32 v4, v4, v27
	v_sub_f32_e32 v3, v3, v9
	v_mov_b32_e32 v9, s42
	v_sub_f32_e32 v4, v4, v25
	ds_read2_b64 v[37:40], v9 offset1:1
	ds_read2_b64 v[25:28], v10 offset1:1
	s_add_i32 s42, s44, s27
	s_waitcnt lgkmcnt(0)
	v_mul_f32_e32 v9, v28, v167
	v_fma_f32 v9, v27, v168, -v9
	v_sub_f32_e32 v4, v4, v9
	v_mul_f32_e32 v9, v40, v141
	v_fma_f32 v9, v39, v143, -v9
	v_mul_f32_e32 v10, v27, v167
	v_sub_f32_e32 v4, v4, v9
	v_mov_b32_e32 v9, s42
	v_fmac_f32_e32 v10, v28, v168
	ds_read2_b64 v[165:168], v9 offset1:1
	s_add_i32 s42, s44, s25
	v_mov_b32_e32 v9, s42
	ds_read2_b64 v[183:186], v9 offset1:1
	v_sub_f32_e32 v3, v3, v10
	v_mul_f32_e32 v10, v39, v141
	s_waitcnt lgkmcnt(1)
	v_mul_f32_e32 v9, v168, v169
	v_fmac_f32_e32 v10, v40, v143
	v_fma_f32 v9, v167, v171, -v9
	v_sub_f32_e32 v3, v3, v10
	v_mul_f32_e32 v10, v167, v169
	v_sub_f32_e32 v4, v4, v9
	s_waitcnt lgkmcnt(0)
	v_mul_f32_e32 v9, v186, v172
	v_fmac_f32_e32 v10, v168, v171
	v_fma_f32 v9, v185, v175, -v9
	s_add_i32 s42, s44, s29
	v_sub_f32_e32 v3, v3, v10
	v_mul_f32_e32 v10, v185, v172
	v_sub_f32_e32 v4, v4, v9
	v_mov_b32_e32 v9, s42
	v_fmac_f32_e32 v10, v186, v175
	ds_read2_b64 v[185:188], v9 offset1:1
	s_add_i32 s42, s44, s28
	v_mov_b32_e32 v9, s42
	ds_read2_b64 v[196:199], v9 offset1:1
	v_sub_f32_e32 v3, v3, v10
	s_waitcnt lgkmcnt(1)
	v_mul_f32_e32 v9, v188, v181
	v_fma_f32 v9, v187, v189, -v9
	v_mul_f32_e32 v10, v187, v181
	v_fmac_f32_e32 v10, v188, v189
	v_sub_f32_e32 v4, v4, v9
	s_waitcnt lgkmcnt(0)
	v_mul_f32_e32 v9, v199, v20
	v_sub_f32_e32 v3, v3, v10
	v_fma_f32 v9, v198, v210, -v9
	v_mul_f32_e32 v10, v198, v20
	s_add_i32 s42, s44, s31
	v_fmac_f32_e32 v10, v199, v210
	v_sub_f32_e32 v4, v4, v9
	v_mov_b32_e32 v9, s42
	s_add_i32 s42, s44, s30
	v_sub_f32_e32 v3, v3, v10
	v_mov_b32_e32 v10, s42
	ds_read2_b64 v[187:190], v9 offset1:1
	ds_read2_b64 v[198:201], v10 offset1:1
	buffer_load_dword v20, off, s[0:3], 0 offset:84
	buffer_load_dword v39, off, s[0:3], 0 offset:84
	;; [unrolled: 1-line block ×4, first 2 shown]
	s_add_i32 s42, s44, s34
	s_waitcnt vmcnt(6) lgkmcnt(1)
	v_mul_f32_e32 v10, v189, v43
	v_fmac_f32_e32 v10, v190, v208
	v_sub_f32_e32 v3, v3, v10
	buffer_store_dword v3, off, s[0:3], 0 offset:164
	v_mul_f32_e32 v9, v190, v43
	buffer_load_dword v27, off, s[0:3], 0 offset:92
	buffer_load_dword v40, off, s[0:3], 0 offset:92
	;; [unrolled: 1-line block ×9, first 2 shown]
	v_fma_f32 v9, v189, v208, -v9
	v_sub_f32_e32 v4, v4, v9
	s_waitcnt vmcnt(15) lgkmcnt(0)
	v_mul_f32_e32 v9, v201, v44
	s_waitcnt vmcnt(14)
	v_fma_f32 v9, v200, v45, -v9
	v_sub_f32_e32 v4, v4, v9
	v_mov_b32_e32 v9, s42
	ds_read2_b64 v[189:192], v9 offset1:1
	s_add_i32 s42, s44, s33
	v_mul_f32_e32 v44, v200, v44
	v_mov_b32_e32 v9, s42
	v_fmac_f32_e32 v44, v201, v45
	ds_read2_b64 v[200:203], v9 offset1:1
	s_waitcnt lgkmcnt(1)
	v_mul_f32_e32 v9, v192, v113
	v_fma_f32 v9, v191, v89, -v9
	v_sub_f32_e32 v3, v3, v44
	buffer_store_dword v4, off, s[0:3], 0 offset:160
	v_mul_f32_e32 v44, v191, v113
	v_sub_f32_e32 v4, v4, v9
	s_waitcnt lgkmcnt(0)
	v_mul_f32_e32 v9, v203, v97
	v_fmac_f32_e32 v44, v192, v89
	v_fma_f32 v9, v202, v92, -v9
	s_add_i32 s42, s44, s36
	v_sub_f32_e32 v3, v3, v44
	v_mul_f32_e32 v44, v202, v97
	v_sub_f32_e32 v4, v4, v9
	v_mov_b32_e32 v9, s42
	v_fmac_f32_e32 v44, v203, v92
	ds_read2_b64 v[202:205], v9 offset1:1
	s_add_i32 s42, s44, s35
	v_mov_b32_e32 v9, s42
	ds_read2_b64 v[206:209], v9 offset1:1
	v_sub_f32_e32 v3, v3, v44
	s_waitcnt lgkmcnt(1)
	v_mul_f32_e32 v9, v205, v173
	v_fma_f32 v9, v204, v178, -v9
	v_mul_f32_e32 v44, v204, v173
	v_sub_f32_e32 v4, v4, v9
	s_waitcnt lgkmcnt(0)
	v_mul_f32_e32 v9, v209, v179
	v_fmac_f32_e32 v44, v205, v178
	v_fma_f32 v9, v208, v180, -v9
	s_add_i32 s42, s44, s38
	v_sub_f32_e32 v3, v3, v44
	v_mul_f32_e32 v44, v208, v179
	v_sub_f32_e32 v4, v4, v9
	v_mov_b32_e32 v9, s42
	v_fmac_f32_e32 v44, v209, v180
	ds_read2_b64 v[178:181], v9 offset1:1
	s_add_i32 s42, s44, s39
	v_mov_b32_e32 v9, s42
	ds_read2_b64 v[208:211], v9 offset1:1
	s_add_i32 s42, s44, s40
	s_waitcnt lgkmcnt(1)
	v_mul_f32_e32 v9, v181, v193
	v_fma_f32 v9, v180, v194, -v9
	v_sub_f32_e32 v4, v4, v9
	s_waitcnt lgkmcnt(0)
	v_mul_f32_e32 v9, v211, v52
	v_fma_f32 v9, v210, v195, -v9
	v_sub_f32_e32 v3, v3, v44
	v_mul_f32_e32 v44, v180, v193
	v_sub_f32_e32 v4, v4, v9
	v_mov_b32_e32 v9, s42
	v_fmac_f32_e32 v44, v181, v194
	ds_read2_b64 v[191:194], v9 offset1:1
	s_add_i32 s42, s44, s41
	v_sub_f32_e32 v3, v3, v44
	v_mul_f32_e32 v44, v210, v52
	v_mov_b32_e32 v9, s42
	v_fmac_f32_e32 v44, v211, v195
	ds_read2_b64 v[210:213], v9 offset1:1
	s_waitcnt lgkmcnt(1)
	v_mul_f32_e32 v9, v194, v19
	v_fma_f32 v9, v193, v31, -v9
	v_sub_f32_e32 v4, v4, v9
	s_add_i32 s42, s14, 0xffffd800
	s_waitcnt lgkmcnt(0)
	v_mul_f32_e32 v9, v213, v32
	v_mul_f32_e32 v19, v193, v19
	s_add_i32 s44, s44, s42
	v_sub_f32_e32 v3, v3, v44
	v_fmac_f32_e32 v19, v194, v31
	v_mul_f32_e32 v31, v212, v32
	v_sub_f32_e32 v3, v3, v19
	buffer_load_dword v19, off, s[0:3], 0 offset:152
	buffer_load_dword v164, off, s[0:3], 0 offset:152
	;; [unrolled: 1-line block ×7, first 2 shown]
	s_waitcnt vmcnt(8)
	v_fma_f32 v9, v212, v10, -v9
	v_sub_f32_e32 v32, v4, v9
	v_mov_b32_e32 v4, s44
	v_fmac_f32_e32 v31, v213, v10
	ds_read2_b64 v[212:215], v4 offset1:1
	v_sub_f32_e32 v10, v3, v31
	s_add_i32 s44, s37, 0xffffd558
	v_mov_b32_e32 v3, s44
	v_add_u32_e32 v31, s42, v73
	s_waitcnt lgkmcnt(0)
	v_mul_f32_e32 v9, v215, v10
	v_mul_f32_e32 v10, v214, v10
	v_fma_f32 v9, v214, v32, -v9
	v_fmac_f32_e32 v10, v215, v32
	ds_read_b64 v[3:4], v3
	buffer_store_dword v9, off, s[0:3], 0 offset:160
	buffer_store_dword v10, off, s[0:3], 0 offset:164
	ds_write_b64 v31, v[9:10]
	v_mul_f32_e32 v9, v2, v125
	v_fma_f32 v9, v1, v131, -v9
	v_mul_f32_e32 v1, v1, v125
	v_fmac_f32_e32 v1, v2, v131
	v_sub_f32_e32 v2, v47, v9
	v_mul_f32_e32 v9, v6, v132
	v_fma_f32 v9, v5, v134, -v9
	v_mul_f32_e32 v5, v5, v132
	v_sub_f32_e32 v1, v48, v1
	v_fmac_f32_e32 v5, v6, v134
	v_sub_f32_e32 v1, v1, v5
	v_mul_f32_e32 v5, v24, v136
	v_sub_f32_e32 v2, v2, v9
	v_fma_f32 v5, v23, v137, -v5
	buffer_load_dword v10, off, s[0:3], 0 offset:96
	buffer_load_dword v31, off, s[0:3], 0 offset:108
	v_sub_f32_e32 v2, v2, v5
	v_mul_f32_e32 v5, v8, v138
	v_fma_f32 v5, v7, v98, -v5
	buffer_load_dword v6, off, s[0:3], 0 offset:104
	v_sub_f32_e32 v2, v2, v5
	v_mul_f32_e32 v5, v26, v139
	v_fma_f32 v5, v25, v140, -v5
	v_sub_f32_e32 v2, v2, v5
	v_mul_f32_e32 v5, v38, v114
	v_fma_f32 v5, v37, v117, -v5
	;; [unrolled: 3-line block ×6, first 2 shown]
	v_mul_f32_e32 v7, v7, v138
	v_sub_f32_e32 v2, v2, v5
	v_mul_f32_e32 v5, v188, v20
	v_fmac_f32_e32 v7, v8, v98
	buffer_load_dword v8, off, s[0:3], 0 offset:164
	v_fma_f32 v5, v187, v14, -v5
	v_sub_f32_e32 v2, v2, v5
	buffer_load_dword v5, off, s[0:3], 0 offset:160
	v_mul_f32_e32 v9, v23, v136
	v_fmac_f32_e32 v9, v24, v137
	v_sub_f32_e32 v1, v1, v9
	v_sub_f32_e32 v1, v1, v7
	v_mul_f32_e32 v7, v25, v139
	v_fmac_f32_e32 v7, v26, v140
	v_sub_f32_e32 v1, v1, v7
	v_mul_f32_e32 v7, v37, v114
	v_fmac_f32_e32 v7, v38, v117
	v_sub_f32_e32 v1, v1, v7
	v_mul_f32_e32 v7, v165, v142
	v_fmac_f32_e32 v7, v166, v144
	v_sub_f32_e32 v1, v1, v7
	v_mul_f32_e32 v7, v183, v147
	v_fmac_f32_e32 v7, v184, v148
	v_sub_f32_e32 v1, v1, v7
	v_mul_f32_e32 v7, v185, v21
	v_fmac_f32_e32 v7, v186, v22
	v_sub_f32_e32 v1, v1, v7
	v_mul_f32_e32 v7, v196, v11
	v_fmac_f32_e32 v7, v197, v12
	v_sub_f32_e32 v1, v1, v7
	v_mul_f32_e32 v7, v187, v20
	v_fmac_f32_e32 v7, v188, v14
	v_sub_f32_e32 v1, v1, v7
	v_mul_f32_e32 v7, v199, v27
	v_fma_f32 v7, v198, v28, -v7
	v_mul_f32_e32 v9, v198, v27
	v_fmac_f32_e32 v9, v199, v28
	v_sub_f32_e32 v2, v2, v7
	v_mul_f32_e32 v7, v190, v93
	v_sub_f32_e32 v1, v1, v9
	v_mul_f32_e32 v9, v189, v93
	buffer_load_dword v45, off, s[0:3], 0 offset:96
	buffer_load_dword v144, off, s[0:3], 0 offset:96
	;; [unrolled: 1-line block ×16, first 2 shown]
	s_add_i32 s44, s46, s14
	s_waitcnt vmcnt(20)
	v_fma_f32 v7, v189, v10, -v7
	v_fmac_f32_e32 v9, v190, v10
	v_sub_f32_e32 v2, v2, v7
	s_waitcnt vmcnt(19)
	v_mul_f32_e32 v7, v201, v31
	v_sub_f32_e32 v1, v1, v9
	s_waitcnt vmcnt(18)
	v_fma_f32 v7, v200, v6, -v7
	v_mul_f32_e32 v9, v200, v31
	v_fmac_f32_e32 v9, v201, v6
	v_sub_f32_e32 v2, v2, v7
	v_mul_f32_e32 v6, v203, v150
	v_mul_f32_e32 v7, v202, v150
	v_sub_f32_e32 v1, v1, v9
	v_fma_f32 v6, v202, v154, -v6
	v_fmac_f32_e32 v7, v203, v154
	v_sub_f32_e32 v2, v2, v6
	v_sub_f32_e32 v1, v1, v7
	v_mul_f32_e32 v6, v207, v156
	v_mul_f32_e32 v7, v206, v156
	v_fma_f32 v6, v206, v159, -v6
	v_fmac_f32_e32 v7, v207, v159
	v_sub_f32_e32 v2, v2, v6
	v_sub_f32_e32 v1, v1, v7
	v_mul_f32_e32 v6, v179, v29
	v_mul_f32_e32 v7, v178, v29
	v_fma_f32 v6, v178, v30, -v6
	v_fmac_f32_e32 v7, v179, v30
	v_sub_f32_e32 v2, v2, v6
	v_sub_f32_e32 v1, v1, v7
	v_mul_f32_e32 v6, v209, v42
	v_mul_f32_e32 v7, v208, v42
	v_fma_f32 v6, v208, v51, -v6
	v_fmac_f32_e32 v7, v209, v51
	v_sub_f32_e32 v2, v2, v6
	v_sub_f32_e32 v1, v1, v7
	v_mul_f32_e32 v6, v192, v13
	v_mul_f32_e32 v7, v191, v13
	v_fma_f32 v6, v191, v17, -v6
	v_fmac_f32_e32 v7, v192, v17
	v_sub_f32_e32 v2, v2, v6
	v_sub_f32_e32 v1, v1, v7
	v_mul_f32_e32 v6, v211, v18
	v_mul_f32_e32 v7, v210, v18
	v_fma_f32 v6, v210, v19, -v6
	v_fmac_f32_e32 v7, v211, v19
	v_sub_f32_e32 v2, v2, v6
	v_sub_f32_e32 v1, v1, v7
	s_waitcnt vmcnt(17)
	v_mul_f32_e32 v6, v213, v8
	v_mul_f32_e32 v7, v212, v8
	s_waitcnt vmcnt(16)
	v_fma_f32 v6, v212, v5, -v6
	v_fmac_f32_e32 v7, v213, v5
	v_sub_f32_e32 v5, v2, v6
	v_sub_f32_e32 v2, v1, v7
	s_waitcnt lgkmcnt(1)
	v_mul_f32_e32 v1, v4, v2
	v_fma_f32 v1, v3, v5, -v1
	v_mul_f32_e32 v2, v3, v2
	buffer_load_dword v140, off, s[0:3], 0 offset:160
	buffer_load_dword v154, off, s[0:3], 0 offset:160
	;; [unrolled: 1-line block ×7, first 2 shown]
	v_fmac_f32_e32 v2, v4, v5
	buffer_store_dword v1, off, s[0:3], 0 offset:168
	buffer_store_dword v2, off, s[0:3], 0 offset:172
	buffer_load_dword v48, off, s[0:3], 0 offset:100
	v_add_u32_e32 v3, s43, v73
	v_mov_b32_e32 v4, s44
	s_add_i32 s44, s46, s21
	ds_read2_b64 v[7:10], v4 offset1:1
	ds_write_b64 v3, v[1:2]
	v_mov_b32_e32 v1, s44
	ds_read2_b64 v[1:4], v1 offset1:1
	s_add_i32 s44, s46, s15
	s_waitcnt lgkmcnt(2)
	v_mul_f32_e32 v5, v10, v91
	v_fma_f32 v5, v9, v102, -v5
	v_mul_f32_e32 v6, v9, v91
	s_waitcnt lgkmcnt(0)
	v_mul_f32_e32 v9, v4, v104
	v_fma_f32 v9, v3, v105, -v9
	v_mul_f32_e32 v3, v3, v104
	v_fmac_f32_e32 v6, v10, v102
	v_fmac_f32_e32 v3, v4, v105
	v_mov_b32_e32 v4, s44
	v_sub_f32_e32 v5, v15, v5
	v_sub_f32_e32 v6, v16, v6
	ds_read2_b64 v[13:16], v4 offset1:1
	s_add_i32 s44, s46, s20
	v_sub_f32_e32 v10, v6, v3
	v_mov_b32_e32 v3, s44
	v_sub_f32_e32 v9, v5, v9
	ds_read2_b64 v[3:6], v3 offset1:1
	s_waitcnt lgkmcnt(1)
	v_mul_f32_e32 v11, v16, v106
	v_fma_f32 v11, v15, v107, -v11
	v_sub_f32_e32 v9, v9, v11
	s_add_i32 s44, s46, s23
	s_waitcnt lgkmcnt(0)
	v_mul_f32_e32 v11, v6, v108
	v_fma_f32 v11, v5, v70, -v11
	v_mul_f32_e32 v5, v5, v108
	v_mul_f32_e32 v12, v15, v106
	v_fmac_f32_e32 v5, v6, v70
	v_sub_f32_e32 v6, v9, v11
	v_mov_b32_e32 v9, s44
	v_fmac_f32_e32 v12, v16, v107
	ds_read2_b64 v[15:18], v9 offset1:1
	s_add_i32 s44, s46, s22
	v_sub_f32_e32 v10, v10, v12
	v_mov_b32_e32 v9, s44
	v_sub_f32_e32 v5, v10, v5
	ds_read2_b64 v[9:12], v9 offset1:1
	s_waitcnt lgkmcnt(1)
	v_mul_f32_e32 v19, v18, v109
	v_fma_f32 v19, v17, v110, -v19
	v_mul_f32_e32 v17, v17, v109
	v_fmac_f32_e32 v17, v18, v110
	v_sub_f32_e32 v5, v5, v17
	s_waitcnt lgkmcnt(0)
	v_mul_f32_e32 v17, v12, v71
	v_fma_f32 v17, v11, v72, -v17
	v_mul_f32_e32 v11, v11, v71
	s_add_i32 s44, s46, s27
	v_fmac_f32_e32 v11, v12, v72
	v_mov_b32_e32 v12, s44
	ds_read2_b64 v[21:24], v12 offset1:1
	s_add_i32 s44, s46, s25
	v_sub_f32_e32 v6, v6, v19
	v_sub_f32_e32 v5, v5, v11
	v_mov_b32_e32 v11, s44
	v_sub_f32_e32 v6, v6, v17
	ds_read2_b64 v[17:20], v11 offset1:1
	s_waitcnt lgkmcnt(1)
	v_mul_f32_e32 v11, v24, v111
	v_fma_f32 v11, v23, v112, -v11
	v_sub_f32_e32 v6, v6, v11
	s_add_i32 s44, s46, s29
	s_waitcnt lgkmcnt(0)
	v_mul_f32_e32 v11, v20, v115
	v_fma_f32 v11, v19, v116, -v11
	v_sub_f32_e32 v6, v6, v11
	v_mov_b32_e32 v11, s44
	ds_read2_b64 v[27:30], v11 offset1:1
	s_add_i32 s44, s46, s28
	v_mul_f32_e32 v12, v23, v111
	v_mov_b32_e32 v11, s44
	v_fmac_f32_e32 v12, v24, v112
	ds_read2_b64 v[23:26], v11 offset1:1
	v_sub_f32_e32 v5, v5, v12
	v_mul_f32_e32 v12, v19, v115
	s_waitcnt lgkmcnt(1)
	v_mul_f32_e32 v11, v30, v135
	v_fmac_f32_e32 v12, v20, v116
	v_fma_f32 v11, v29, v153, -v11
	v_sub_f32_e32 v5, v5, v12
	v_mul_f32_e32 v12, v29, v135
	v_sub_f32_e32 v6, v6, v11
	s_waitcnt lgkmcnt(0)
	v_mul_f32_e32 v11, v26, v35
	v_fmac_f32_e32 v12, v30, v153
	v_fma_f32 v11, v25, v36, -v11
	s_add_i32 s44, s46, s31
	v_sub_f32_e32 v5, v5, v12
	v_mul_f32_e32 v12, v25, v35
	v_sub_f32_e32 v6, v6, v11
	v_mov_b32_e32 v11, s44
	v_fmac_f32_e32 v12, v26, v36
	ds_read2_b64 v[35:38], v11 offset1:1
	s_add_i32 s44, s46, s30
	v_mov_b32_e32 v11, s44
	ds_read2_b64 v[29:32], v11 offset1:1
	v_sub_f32_e32 v5, v5, v12
	s_waitcnt lgkmcnt(1)
	v_mul_f32_e32 v11, v38, v39
	v_fma_f32 v11, v37, v41, -v11
	v_mul_f32_e32 v12, v37, v39
	v_sub_f32_e32 v6, v6, v11
	s_waitcnt lgkmcnt(0)
	v_mul_f32_e32 v11, v32, v40
	v_fmac_f32_e32 v12, v38, v41
	v_fma_f32 v11, v31, v43, -v11
	s_add_i32 s44, s46, s34
	v_sub_f32_e32 v5, v5, v12
	v_mul_f32_e32 v12, v31, v40
	v_sub_f32_e32 v6, v6, v11
	v_mov_b32_e32 v11, s44
	v_fmac_f32_e32 v12, v32, v43
	ds_read2_b64 v[41:44], v11 offset1:1
	s_add_i32 s44, s46, s33
	v_mov_b32_e32 v11, s44
	ds_read2_b64 v[37:40], v11 offset1:1
	v_sub_f32_e32 v5, v5, v12
	s_waitcnt vmcnt(0) lgkmcnt(1)
	v_mul_f32_e32 v12, v44, v48
	v_fma_f32 v12, v43, v45, -v12
	v_mul_f32_e32 v20, v43, v48
	v_fmac_f32_e32 v20, v44, v45
	v_sub_f32_e32 v6, v6, v12
	s_waitcnt lgkmcnt(0)
	v_mul_f32_e32 v12, v40, v46
	v_sub_f32_e32 v5, v5, v20
	v_fma_f32 v12, v39, v47, -v12
	v_mul_f32_e32 v20, v39, v46
	buffer_load_dword v19, off, s[0:3], 0 offset:100
	buffer_load_dword v11, off, s[0:3], 0 offset:100
	v_fmac_f32_e32 v20, v40, v47
	v_sub_f32_e32 v6, v6, v12
	s_add_i32 s44, s46, s36
	buffer_load_dword v12, off, s[0:3], 0 offset:172
	buffer_load_dword v25, off, s[0:3], 0 offset:168
	s_nop 0
	buffer_store_dword v5, off, s[0:3], 0 offset:180
	v_sub_f32_e32 v5, v5, v20
	v_mov_b32_e32 v20, s44
	ds_read2_b64 v[47:50], v20 offset1:1
	s_add_i32 s44, s46, s35
	v_mov_b32_e32 v20, s44
	ds_read2_b64 v[43:46], v20 offset1:1
	buffer_store_dword v6, off, s[0:3], 0 offset:176
	s_waitcnt lgkmcnt(1)
	v_mul_f32_e32 v20, v50, v118
	v_fma_f32 v20, v49, v124, -v20
	v_sub_f32_e32 v6, v6, v20
	s_waitcnt lgkmcnt(0)
	v_mul_f32_e32 v20, v46, v126
	v_fma_f32 v20, v45, v127, -v20
	s_add_i32 s44, s46, s38
	v_sub_f32_e32 v6, v6, v20
	v_mov_b32_e32 v20, s44
	s_add_i32 s44, s46, s39
	v_mul_f32_e32 v26, v49, v118
	ds_read2_b64 v[165:168], v20 offset1:1
	v_mov_b32_e32 v20, s44
	v_fmac_f32_e32 v26, v50, v124
	ds_read2_b64 v[49:52], v20 offset1:1
	buffer_load_dword v39, off, s[0:3], 0 offset:184
	buffer_load_dword v40, off, s[0:3], 0 offset:188
	v_sub_f32_e32 v5, v5, v26
	v_mul_f32_e32 v26, v45, v126
	v_fmac_f32_e32 v26, v46, v127
	s_waitcnt lgkmcnt(1)
	v_mul_f32_e32 v20, v168, v161
	v_sub_f32_e32 v5, v5, v26
	v_fma_f32 v20, v167, v174, -v20
	v_mul_f32_e32 v26, v167, v161
	buffer_load_dword v45, off, s[0:3], 0 offset:24
	buffer_load_dword v46, off, s[0:3], 0 offset:44
	v_fmac_f32_e32 v26, v168, v174
	v_sub_f32_e32 v6, v6, v20
	s_waitcnt lgkmcnt(0)
	v_mul_f32_e32 v20, v52, v176
	v_sub_f32_e32 v5, v5, v26
	v_fma_f32 v20, v51, v177, -v20
	v_mul_f32_e32 v26, v51, v176
	buffer_load_dword v51, off, s[0:3], 0 offset:40
	s_add_i32 s44, s46, s40
	v_sub_f32_e32 v6, v6, v20
	v_mov_b32_e32 v20, s44
	ds_read2_b64 v[171:174], v20 offset1:1
	s_add_i32 s44, s46, s41
	v_mov_b32_e32 v20, s44
	v_fmac_f32_e32 v26, v52, v177
	ds_read2_b64 v[175:178], v20 offset1:1
	s_waitcnt lgkmcnt(1)
	v_mul_f32_e32 v20, v174, v33
	v_fma_f32 v20, v173, v34, -v20
	v_sub_f32_e32 v5, v5, v26
	v_mul_f32_e32 v26, v173, v33
	v_sub_f32_e32 v6, v6, v20
	s_waitcnt lgkmcnt(0)
	v_mul_f32_e32 v20, v178, v182
	v_fmac_f32_e32 v26, v174, v34
	v_fma_f32 v20, v177, v164, -v20
	s_add_i32 s44, s46, s42
	v_sub_f32_e32 v5, v5, v26
	v_mul_f32_e32 v26, v177, v182
	v_sub_f32_e32 v6, v6, v20
	v_mov_b32_e32 v20, s44
	v_fmac_f32_e32 v26, v178, v164
	ds_read2_b64 v[177:180], v20 offset1:1
	s_add_i32 s44, s46, s43
	v_mov_b32_e32 v20, s44
	ds_read2_b64 v[181:184], v20 offset1:1
	v_sub_f32_e32 v5, v5, v26
	s_waitcnt lgkmcnt(1)
	v_mul_f32_e32 v26, v179, v139
	v_mul_f32_e32 v20, v180, v139
	v_fmac_f32_e32 v26, v180, v140
	v_fma_f32 v20, v179, v140, -v20
	v_sub_f32_e32 v5, v5, v26
	s_add_i32 s44, s14, 0xffffd400
	v_sub_f32_e32 v6, v6, v20
	s_add_i32 s46, s46, s44
	buffer_load_dword v20, off, s[0:3], 0 offset:172
	buffer_load_dword v142, off, s[0:3], 0 offset:172
	;; [unrolled: 1-line block ×14, first 2 shown]
	s_waitcnt vmcnt(22) lgkmcnt(0)
	v_mul_f32_e32 v26, v184, v12
	s_waitcnt vmcnt(21)
	v_fma_f32 v26, v183, v25, -v26
	v_sub_f32_e32 v70, v6, v26
	v_mov_b32_e32 v6, s46
	ds_read2_b64 v[31:34], v6 offset1:1
	v_mul_f32_e32 v12, v183, v12
	v_fmac_f32_e32 v12, v184, v25
	v_sub_f32_e32 v12, v5, v12
	s_add_i32 s46, s37, 0xffffd148
	s_waitcnt lgkmcnt(0)
	v_mul_f32_e32 v25, v34, v12
	v_mul_f32_e32 v26, v33, v12
	v_mov_b32_e32 v5, s46
	v_fma_f32 v25, v33, v70, -v25
	v_fmac_f32_e32 v26, v34, v70
	v_add_u32_e32 v12, s44, v73
	ds_read_b64 v[5:6], v5
	buffer_store_dword v25, off, s[0:3], 0 offset:176
	buffer_store_dword v26, off, s[0:3], 0 offset:180
	ds_write_b64 v12, v[25:26]
	v_mul_f32_e32 v12, v8, v57
	v_fma_f32 v25, v7, v58, -v12
	v_mul_f32_e32 v7, v7, v57
	v_mul_f32_e32 v26, v2, v59
	v_fmac_f32_e32 v7, v8, v58
	v_fma_f32 v26, v1, v60, -v26
	v_mul_f32_e32 v1, v1, v59
	s_waitcnt vmcnt(19)
	v_sub_f32_e32 v7, v40, v7
	v_fmac_f32_e32 v1, v2, v60
	v_sub_f32_e32 v1, v7, v1
	v_mul_f32_e32 v7, v14, v61
	v_fma_f32 v7, v13, v62, -v7
	v_mul_f32_e32 v13, v13, v61
	v_sub_f32_e32 v25, v39, v25
	v_fmac_f32_e32 v13, v14, v62
	v_sub_f32_e32 v2, v25, v26
	v_sub_f32_e32 v1, v1, v13
	v_mul_f32_e32 v13, v4, v63
	v_sub_f32_e32 v2, v2, v7
	s_waitcnt vmcnt(18)
	v_fma_f32 v13, v3, v45, -v13
	v_mul_f32_e32 v3, v3, v63
	v_fmac_f32_e32 v3, v4, v45
	v_sub_f32_e32 v2, v2, v13
	v_mul_f32_e32 v4, v15, v64
	s_waitcnt vmcnt(17)
	v_mul_f32_e32 v13, v10, v46
	v_sub_f32_e32 v1, v1, v3
	v_mul_f32_e32 v3, v16, v64
	v_fmac_f32_e32 v4, v16, v65
	s_waitcnt vmcnt(16)
	v_fma_f32 v13, v9, v51, -v13
	v_mul_f32_e32 v9, v9, v46
	v_fma_f32 v3, v15, v65, -v3
	v_sub_f32_e32 v4, v1, v4
	v_fmac_f32_e32 v9, v10, v51
	v_sub_f32_e32 v3, v2, v3
	v_sub_f32_e32 v4, v4, v9
	v_mul_f32_e32 v9, v22, v66
	v_sub_f32_e32 v3, v3, v13
	v_fma_f32 v9, v21, v67, -v9
	v_sub_f32_e32 v3, v3, v9
	v_mul_f32_e32 v9, v18, v68
	v_fma_f32 v9, v17, v69, -v9
	v_sub_f32_e32 v3, v3, v9
	v_mul_f32_e32 v9, v28, v100
	;; [unrolled: 3-line block ×6, first 2 shown]
	buffer_load_dword v8, off, s[0:3], 0 offset:192
	buffer_load_dword v12, off, s[0:3], 0 offset:196
	;; [unrolled: 1-line block ×10, first 2 shown]
	v_mul_f32_e32 v10, v21, v66
	buffer_load_dword v13, off, s[0:3], 0 offset:180
	v_fma_f32 v9, v41, v144, -v9
	v_fmac_f32_e32 v10, v22, v67
	v_sub_f32_e32 v3, v3, v9
	buffer_load_dword v9, off, s[0:3], 0 offset:176
	v_sub_f32_e32 v4, v4, v10
	v_mul_f32_e32 v10, v17, v68
	v_fmac_f32_e32 v10, v18, v69
	v_sub_f32_e32 v4, v4, v10
	v_mul_f32_e32 v10, v27, v100
	v_fmac_f32_e32 v10, v28, v123
	;; [unrolled: 3-line block ×6, first 2 shown]
	v_mul_f32_e32 v14, v37, v147
	v_sub_f32_e32 v4, v4, v10
	v_fmac_f32_e32 v14, v38, v163
	v_sub_f32_e32 v4, v4, v14
	v_mul_f32_e32 v14, v47, v86
	v_fmac_f32_e32 v14, v48, v87
	v_sub_f32_e32 v4, v4, v14
	v_mul_f32_e32 v14, v43, v88
	;; [unrolled: 3-line block ×3, first 2 shown]
	v_fmac_f32_e32 v14, v166, v145
	v_sub_f32_e32 v4, v4, v14
	buffer_load_dword v14, off, s[0:3], 0 offset:4
	v_mul_f32_e32 v16, v49, v146
	buffer_load_dword v15, off, s[0:3], 0
	v_fmac_f32_e32 v16, v50, v149
	v_sub_f32_e32 v4, v4, v16
	buffer_load_dword v16, off, s[0:3], 0 offset:12
	buffer_load_dword v17, off, s[0:3], 0 offset:8
	v_mul_f32_e32 v18, v171, v158
	v_fmac_f32_e32 v18, v172, v170
	v_sub_f32_e32 v4, v4, v18
	v_mul_f32_e32 v18, v175, v53
	v_mul_f32_e32 v10, v38, v147
	v_fmac_f32_e32 v18, v176, v162
	v_fma_f32 v10, v37, v163, -v10
	v_sub_f32_e32 v4, v4, v18
	buffer_load_dword v18, off, s[0:3], 0 offset:20
	v_mul_f32_e32 v21, v177, v148
	v_sub_f32_e32 v3, v3, v10
	v_mul_f32_e32 v10, v48, v86
	buffer_load_dword v19, off, s[0:3], 0 offset:16
	v_fmac_f32_e32 v21, v178, v154
	v_fma_f32 v10, v47, v87, -v10
	v_sub_f32_e32 v4, v4, v21
	buffer_load_dword v21, off, s[0:3], 0 offset:28
	v_sub_f32_e32 v3, v3, v10
	v_mul_f32_e32 v10, v44, v88
	v_fma_f32 v10, v43, v90, -v10
	v_sub_f32_e32 v3, v3, v10
	v_mul_f32_e32 v10, v166, v133
	v_fma_f32 v10, v165, v145, -v10
	v_sub_f32_e32 v3, v3, v10
	v_mul_f32_e32 v10, v50, v146
	v_fma_f32 v10, v49, v149, -v10
	v_sub_f32_e32 v3, v3, v10
	v_mul_f32_e32 v10, v172, v158
	v_fma_f32 v10, v171, v170, -v10
	v_sub_f32_e32 v3, v3, v10
	v_mul_f32_e32 v10, v176, v53
	v_fma_f32 v10, v175, v162, -v10
	v_sub_f32_e32 v3, v3, v10
	v_mul_f32_e32 v10, v178, v148
	v_fma_f32 v10, v177, v154, -v10
	v_sub_f32_e32 v3, v3, v10
	s_waitcnt vmcnt(34)
	v_mul_f32_e32 v10, v182, v20
	s_waitcnt vmcnt(27)
	v_fma_f32 v10, v181, v52, -v10
	v_sub_f32_e32 v3, v3, v10
	buffer_load_dword v10, off, s[0:3], 0 offset:36
	buffer_load_dword v144, off, s[0:3], 0 offset:180
	;; [unrolled: 1-line block ×16, first 2 shown]
	v_mul_f32_e32 v20, v181, v20
	v_fmac_f32_e32 v20, v182, v52
	v_sub_f32_e32 v4, v4, v20
	s_waitcnt vmcnt(24)
	v_mul_f32_e32 v20, v32, v13
	v_mul_f32_e32 v13, v31, v13
	s_waitcnt vmcnt(23)
	v_fmac_f32_e32 v13, v32, v9
	v_fma_f32 v20, v31, v9, -v20
	v_sub_f32_e32 v4, v4, v13
	v_sub_f32_e32 v9, v3, v20
	s_waitcnt lgkmcnt(1)
	v_mul_f32_e32 v3, v6, v4
	v_fma_f32 v3, v5, v9, -v3
	v_mul_f32_e32 v4, v5, v4
	v_fmac_f32_e32 v4, v6, v9
	buffer_store_dword v3, off, s[0:3], 0 offset:184
	buffer_store_dword v4, off, s[0:3], 0 offset:188
	buffer_load_dword v5, off, s[0:3], 0 offset:52
	buffer_load_dword v9, off, s[0:3], 0 offset:48
	v_add_u32_e32 v6, s45, v73
	s_add_i32 s46, s48, s14
	ds_write_b64 v6, v[3:4]
	v_mov_b32_e32 v3, s46
	ds_read2_b64 v[43:46], v3 offset1:1
	buffer_load_dword v3, off, s[0:3], 0 offset:56
	buffer_load_dword v4, off, s[0:3], 0 offset:60
	s_add_i32 s46, s48, s21
	v_mov_b32_e32 v6, s46
	ds_read2_b64 v[39:42], v6 offset1:1
	s_add_i32 s46, s48, s15
	buffer_load_dword v145, off, s[0:3], 0 offset:4
	buffer_load_dword v147, off, s[0:3], 0 offset:12
	;; [unrolled: 1-line block ×6, first 2 shown]
	buffer_load_dword v146, off, s[0:3], 0
	s_waitcnt vmcnt(35) lgkmcnt(1)
	v_mul_f32_e32 v6, v46, v14
	v_mul_f32_e32 v13, v45, v14
	s_waitcnt vmcnt(34)
	v_fma_f32 v6, v45, v15, -v6
	v_fmac_f32_e32 v13, v46, v15
	v_sub_f32_e32 v6, v8, v6
	v_sub_f32_e32 v8, v12, v13
	s_waitcnt vmcnt(33) lgkmcnt(0)
	v_mul_f32_e32 v12, v42, v16
	s_waitcnt vmcnt(32)
	v_fma_f32 v12, v41, v17, -v12
	v_sub_f32_e32 v6, v6, v12
	v_mov_b32_e32 v12, s46
	ds_read2_b64 v[49:52], v12 offset1:1
	s_add_i32 s46, s48, s20
	v_mov_b32_e32 v12, s46
	ds_read2_b64 v[45:48], v12 offset1:1
	v_mul_f32_e32 v13, v41, v16
	v_fmac_f32_e32 v13, v42, v17
	v_sub_f32_e32 v8, v8, v13
	s_waitcnt vmcnt(31) lgkmcnt(1)
	v_mul_f32_e32 v13, v51, v18
	v_mul_f32_e32 v12, v52, v18
	s_waitcnt vmcnt(30)
	v_fmac_f32_e32 v13, v52, v19
	v_fma_f32 v12, v51, v19, -v12
	v_sub_f32_e32 v8, v8, v13
	s_waitcnt vmcnt(29) lgkmcnt(0)
	v_mul_f32_e32 v13, v47, v21
	v_sub_f32_e32 v6, v6, v12
	v_mul_f32_e32 v12, v48, v21
	v_fmac_f32_e32 v13, v48, v7
	s_add_i32 s46, s48, s23
	v_fma_f32 v12, v47, v7, -v12
	v_sub_f32_e32 v7, v8, v13
	v_mov_b32_e32 v8, s46
	ds_read2_b64 v[61:64], v8 offset1:1
	s_add_i32 s46, s48, s22
	v_mov_b32_e32 v8, s46
	ds_read2_b64 v[55:58], v8 offset1:1
	v_sub_f32_e32 v6, v6, v12
	s_add_i32 s46, s48, s27
	buffer_load_dword v42, off, s[0:3], 0 offset:20
	buffer_load_dword v47, off, s[0:3], 0 offset:32
	s_waitcnt vmcnt(30) lgkmcnt(1)
	v_mul_f32_e32 v8, v64, v10
	s_waitcnt vmcnt(22)
	v_fma_f32 v8, v63, v22, -v8
	v_mul_f32_e32 v10, v63, v10
	v_sub_f32_e32 v6, v6, v8
	s_waitcnt lgkmcnt(0)
	v_mul_f32_e32 v8, v58, v1
	v_fmac_f32_e32 v10, v64, v22
	v_fma_f32 v8, v57, v2, -v8
	v_mul_f32_e32 v1, v57, v1
	v_sub_f32_e32 v7, v7, v10
	v_fmac_f32_e32 v1, v58, v2
	v_sub_f32_e32 v2, v6, v8
	v_mov_b32_e32 v6, s46
	s_add_i32 s46, s48, s25
	v_sub_f32_e32 v1, v7, v1
	v_mov_b32_e32 v7, s46
	ds_read2_b64 v[67:70], v6 offset1:1
	ds_read2_b64 v[63:66], v7 offset1:1
	buffer_load_dword v6, off, s[0:3], 0 offset:116
	buffer_load_dword v7, off, s[0:3], 0 offset:112
	;; [unrolled: 1-line block ×6, first 2 shown]
	s_add_i32 s46, s48, s29
	buffer_load_dword v158, off, s[0:3], 0 offset:60
	buffer_load_dword v157, off, s[0:3], 0 offset:56
	s_waitcnt vmcnt(20) lgkmcnt(1)
	v_mul_f32_e32 v8, v70, v5
	v_mul_f32_e32 v5, v69, v5
	s_waitcnt vmcnt(19)
	v_fmac_f32_e32 v5, v70, v9
	v_sub_f32_e32 v1, v1, v5
	v_fma_f32 v8, v69, v9, -v8
	v_sub_f32_e32 v2, v2, v8
	s_waitcnt vmcnt(17) lgkmcnt(0)
	v_mul_f32_e32 v5, v66, v4
	v_mul_f32_e32 v4, v65, v4
	v_fma_f32 v5, v65, v3, -v5
	v_fmac_f32_e32 v4, v66, v3
	v_mov_b32_e32 v3, s46
	ds_read2_b64 v[69:72], v3 offset1:1
	s_add_i32 s46, s48, s28
	v_mov_b32_e32 v3, s46
	ds_read2_b64 v[57:60], v3 offset1:1
	v_sub_f32_e32 v2, v2, v5
	s_waitcnt lgkmcnt(1)
	v_mul_f32_e32 v3, v72, v84
	v_fma_f32 v3, v71, v85, -v3
	v_sub_f32_e32 v2, v2, v3
	s_waitcnt lgkmcnt(0)
	v_mul_f32_e32 v3, v60, v120
	v_fma_f32 v3, v59, v121, -v3
	s_add_i32 s46, s48, s31
	v_sub_f32_e32 v2, v2, v3
	v_mov_b32_e32 v3, s46
	ds_read2_b64 v[51:54], v3 offset1:1
	s_add_i32 s46, s48, s30
	v_mov_b32_e32 v3, s46
	ds_read2_b64 v[33:36], v3 offset1:1
	v_sub_f32_e32 v1, v1, v4
	v_mul_f32_e32 v4, v71, v84
	v_fmac_f32_e32 v4, v72, v85
	v_sub_f32_e32 v1, v1, v4
	v_mul_f32_e32 v4, v59, v120
	s_waitcnt lgkmcnt(1)
	v_mul_f32_e32 v3, v54, v141
	v_fmac_f32_e32 v4, v60, v121
	v_fma_f32 v3, v53, v122, -v3
	v_sub_f32_e32 v1, v1, v4
	v_mul_f32_e32 v4, v53, v141
	v_sub_f32_e32 v2, v2, v3
	s_waitcnt lgkmcnt(0)
	v_mul_f32_e32 v3, v36, v143
	v_fmac_f32_e32 v4, v54, v122
	v_fma_f32 v3, v35, v151, -v3
	s_add_i32 s46, s48, s34
	v_sub_f32_e32 v1, v1, v4
	v_mul_f32_e32 v4, v35, v143
	v_sub_f32_e32 v2, v2, v3
	v_mov_b32_e32 v3, s46
	v_fmac_f32_e32 v4, v36, v151
	ds_read2_b64 v[35:38], v3 offset1:1
	s_add_i32 s46, s48, s33
	v_mov_b32_e32 v3, s46
	ds_read2_b64 v[21:24], v3 offset1:1
	v_sub_f32_e32 v1, v1, v4
	s_waitcnt lgkmcnt(1)
	v_mul_f32_e32 v3, v38, v11
	v_fma_f32 v3, v37, v134, -v3
	v_mul_f32_e32 v4, v37, v11
	v_fmac_f32_e32 v4, v38, v134
	v_sub_f32_e32 v2, v2, v3
	s_waitcnt lgkmcnt(0)
	v_mul_f32_e32 v3, v24, v136
	v_sub_f32_e32 v1, v1, v4
	v_fma_f32 v3, v23, v137, -v3
	v_mul_f32_e32 v4, v23, v136
	s_add_i32 s46, s48, s36
	v_fmac_f32_e32 v4, v24, v137
	v_sub_f32_e32 v5, v2, v3
	v_mov_b32_e32 v2, s46
	s_add_i32 s46, s48, s35
	ds_read2_b64 v[13:16], v2 offset1:1
	v_sub_f32_e32 v8, v1, v4
	v_mov_b32_e32 v1, s46
	ds_read2_b64 v[1:4], v1 offset1:1
	s_add_i32 s46, s48, s38
	s_waitcnt vmcnt(7) lgkmcnt(1)
	v_mul_f32_e32 v9, v16, v6
	v_mul_f32_e32 v6, v15, v6
	s_waitcnt vmcnt(6)
	v_fma_f32 v9, v15, v7, -v9
	v_fmac_f32_e32 v6, v16, v7
	s_waitcnt vmcnt(3) lgkmcnt(0)
	v_mul_f32_e32 v7, v4, v10
	s_waitcnt vmcnt(2)
	v_fma_f32 v7, v3, v12, -v7
	v_mul_f32_e32 v3, v3, v10
	v_sub_f32_e32 v6, v8, v6
	v_fmac_f32_e32 v3, v4, v12
	v_sub_f32_e32 v5, v5, v9
	v_sub_f32_e32 v12, v6, v3
	v_mov_b32_e32 v3, s46
	v_sub_f32_e32 v11, v5, v7
	ds_read2_b64 v[7:10], v3 offset1:1
	s_add_i32 s46, s48, s39
	v_mov_b32_e32 v3, s46
	buffer_store_dword v6, off, s[0:3], 0 offset:196
	ds_read2_b64 v[3:6], v3 offset1:1
	s_waitcnt lgkmcnt(1)
	v_mul_f32_e32 v15, v10, v96
	v_fma_f32 v15, v9, v99, -v15
	v_mul_f32_e32 v9, v9, v96
	buffer_store_dword v11, off, s[0:3], 0 offset:192
	v_fmac_f32_e32 v9, v10, v99
	v_sub_f32_e32 v10, v11, v15
	s_waitcnt lgkmcnt(0)
	v_mul_f32_e32 v11, v6, v101
	v_fma_f32 v11, v5, v103, -v11
	v_mul_f32_e32 v5, v5, v101
	s_add_i32 s46, s48, s40
	v_fmac_f32_e32 v5, v6, v103
	v_sub_f32_e32 v6, v10, v11
	v_mov_b32_e32 v10, s46
	ds_read2_b64 v[15:18], v10 offset1:1
	v_sub_f32_e32 v9, v12, v9
	s_add_i32 s46, s48, s41
	v_sub_f32_e32 v5, v9, v5
	v_mov_b32_e32 v9, s46
	ds_read2_b64 v[9:12], v9 offset1:1
	buffer_load_dword v37, off, s[0:3], 0 offset:188
	buffer_load_dword v60, off, s[0:3], 0 offset:184
	s_waitcnt lgkmcnt(1)
	v_mul_f32_e32 v19, v18, v119
	v_fma_f32 v19, v17, v128, -v19
	v_mul_f32_e32 v17, v17, v119
	v_fmac_f32_e32 v17, v18, v128
	v_sub_f32_e32 v5, v5, v17
	s_waitcnt lgkmcnt(0)
	v_mul_f32_e32 v17, v12, v130
	v_fma_f32 v17, v11, v152, -v17
	v_mul_f32_e32 v11, v11, v130
	s_add_i32 s46, s48, s42
	v_fmac_f32_e32 v11, v12, v152
	v_mov_b32_e32 v12, s46
	ds_read2_b64 v[23:26], v12 offset1:1
	s_add_i32 s46, s48, s43
	v_sub_f32_e32 v6, v6, v19
	v_sub_f32_e32 v5, v5, v11
	v_mov_b32_e32 v11, s46
	v_sub_f32_e32 v6, v6, v17
	ds_read2_b64 v[17:20], v11 offset1:1
	s_waitcnt lgkmcnt(1)
	v_mul_f32_e32 v11, v26, v132
	v_fma_f32 v11, v25, v138, -v11
	v_sub_f32_e32 v6, v6, v11
	s_add_i32 s46, s48, s44
	s_waitcnt lgkmcnt(0)
	v_mul_f32_e32 v11, v20, v142
	v_fma_f32 v11, v19, v150, -v11
	v_sub_f32_e32 v6, v6, v11
	v_mov_b32_e32 v11, s46
	ds_read2_b64 v[29:32], v11 offset1:1
	v_mul_f32_e32 v12, v25, v132
	v_fmac_f32_e32 v12, v26, v138
	v_sub_f32_e32 v5, v5, v12
	v_mul_f32_e32 v12, v19, v142
	s_add_i32 s46, s48, s45
	v_fmac_f32_e32 v12, v20, v150
	v_mov_b32_e32 v11, s46
	v_sub_f32_e32 v5, v5, v12
	ds_read2_b64 v[25:28], v11 offset1:1
	s_waitcnt lgkmcnt(1)
	v_mul_f32_e32 v11, v32, v144
	v_mul_f32_e32 v12, v31, v144
	v_fma_f32 v11, v31, v159, -v11
	v_fmac_f32_e32 v12, v32, v159
	v_sub_f32_e32 v19, v6, v11
	v_sub_f32_e32 v20, v5, v12
	buffer_load_dword v53, off, s[0:3], 0 offset:188
	buffer_load_dword v54, off, s[0:3], 0 offset:188
	;; [unrolled: 1-line block ×15, first 2 shown]
	s_add_i32 s46, s14, 0xffffd000
	s_add_i32 s48, s48, s46
	v_mov_b32_e32 v66, s48
	ds_read2_b64 v[141:144], v66 offset1:1
	s_add_i32 s48, s37, 0xffffcd38
	s_waitcnt vmcnt(16) lgkmcnt(1)
	v_mul_f32_e32 v31, v28, v37
	s_waitcnt vmcnt(15)
	v_fma_f32 v31, v27, v60, -v31
	v_mul_f32_e32 v27, v27, v37
	v_fmac_f32_e32 v27, v28, v60
	v_sub_f32_e32 v20, v20, v27
	v_sub_f32_e32 v28, v19, v31
	s_waitcnt lgkmcnt(0)
	v_mul_f32_e32 v19, v144, v20
	v_fma_f32 v19, v143, v28, -v19
	v_mul_f32_e32 v20, v143, v20
	buffer_load_dword v27, off, s[0:3], 0 offset:76
	v_fmac_f32_e32 v20, v144, v28
	buffer_store_dword v19, off, s[0:3], 0 offset:192
	buffer_store_dword v20, off, s[0:3], 0 offset:196
	v_add_u32_e32 v28, s46, v73
	buffer_load_dword v31, off, s[0:3], 0 offset:72
	ds_write_b64 v28, v[19:20]
	v_mul_f32_e32 v28, v40, v147
	v_mul_f32_e32 v19, v44, v145
	v_fma_f32 v28, v39, v148, -v28
	v_mul_f32_e32 v37, v39, v147
	buffer_load_dword v39, off, s[0:3], 0 offset:84
	v_fma_f32 v19, v43, v146, -v19
	v_mul_f32_e32 v20, v43, v145
	buffer_load_dword v43, off, s[0:3], 0 offset:80
	v_fmac_f32_e32 v20, v44, v146
	v_sub_f32_e32 v20, v135, v20
	v_fmac_f32_e32 v37, v40, v148
	v_sub_f32_e32 v19, v127, v19
	v_sub_f32_e32 v20, v20, v37
	v_mul_f32_e32 v37, v49, v42
	v_sub_f32_e32 v19, v19, v28
	v_mul_f32_e32 v28, v50, v42
	v_fmac_f32_e32 v37, v50, v149
	v_fma_f32 v28, v49, v149, -v28
	v_sub_f32_e32 v20, v20, v37
	v_mul_f32_e32 v37, v45, v153
	v_sub_f32_e32 v19, v19, v28
	v_mul_f32_e32 v28, v46, v153
	v_fmac_f32_e32 v37, v46, v126
	v_fma_f32 v28, v45, v126, -v28
	;; [unrolled: 6-line block ×4, first 2 shown]
	v_sub_f32_e32 v20, v20, v37
	v_mul_f32_e32 v37, v67, v155
	v_sub_f32_e32 v19, v19, v28
	v_mul_f32_e32 v28, v68, v155
	v_fmac_f32_e32 v37, v68, v156
	buffer_load_dword v45, off, s[0:3], 0 offset:92
	v_fma_f32 v28, v67, v156, -v28
	v_sub_f32_e32 v20, v20, v37
	v_mul_f32_e32 v37, v63, v158
	buffer_load_dword v46, off, s[0:3], 0 offset:88
	v_sub_f32_e32 v19, v19, v28
	v_mul_f32_e32 v28, v64, v158
	v_fmac_f32_e32 v37, v64, v157
	v_fma_f32 v28, v63, v157, -v28
	buffer_load_dword v47, off, s[0:3], 0 offset:100
	buffer_load_dword v49, off, s[0:3], 0 offset:96
	v_sub_f32_e32 v20, v20, v37
	s_waitcnt vmcnt(10)
	v_mul_f32_e32 v37, v70, v32
	v_mul_f32_e32 v32, v69, v32
	v_sub_f32_e32 v28, v19, v28
	buffer_load_dword v50, off, s[0:3], 0 offset:108
	buffer_load_dword v96, off, s[0:3], 0 offset:64
	;; [unrolled: 1-line block ×9, first 2 shown]
	v_fma_f32 v37, v69, v79, -v37
	v_fmac_f32_e32 v32, v70, v79
	v_sub_f32_e32 v37, v28, v37
	v_sub_f32_e32 v32, v20, v32
	buffer_load_dword v148, off, s[0:3], 0 offset:76
	buffer_load_dword v55, off, s[0:3], 0 offset:76
	;; [unrolled: 1-line block ×9, first 2 shown]
	s_waitcnt vmcnt(27)
	v_mul_f32_e32 v42, v58, v27
	v_mul_f32_e32 v27, v57, v27
	s_waitcnt vmcnt(24)
	v_fma_f32 v42, v57, v31, -v42
	v_fmac_f32_e32 v27, v58, v31
	v_sub_f32_e32 v37, v37, v42
	v_sub_f32_e32 v32, v32, v27
	buffer_load_dword v157, off, s[0:3], 0 offset:84
	buffer_load_dword v151, off, s[0:3], 0 offset:84
	buffer_load_dword v119, off, s[0:3], 0 offset:84
	buffer_load_dword v57, off, s[0:3], 0 offset:84
	buffer_load_dword v42, off, s[0:3], 0 offset:84
	buffer_load_dword v27, off, s[0:3], 0 offset:80
	buffer_load_dword v68, off, s[0:3], 0 offset:124
	buffer_load_dword v211, off, s[0:3], 0 offset:80
	buffer_load_dword v154, off, s[0:3], 0 offset:80
	buffer_load_dword v121, off, s[0:3], 0 offset:80
	buffer_load_dword v58, off, s[0:3], 0 offset:80
	buffer_load_dword v31, off, s[0:3], 0 offset:76
	s_waitcnt vmcnt(35)
	v_mul_f32_e32 v44, v52, v39
	v_mul_f32_e32 v39, v51, v39
	s_waitcnt vmcnt(34)
	v_fmac_f32_e32 v39, v52, v43
	v_fma_f32 v44, v51, v43, -v44
	v_sub_f32_e32 v52, v32, v39
	buffer_load_dword v69, off, s[0:3], 0 offset:120
	buffer_load_dword v217, off, s[0:3], 0 offset:92
	;; [unrolled: 1-line block ×7, first 2 shown]
	v_sub_f32_e32 v51, v37, v44
	buffer_load_dword v218, off, s[0:3], 0 offset:88
	buffer_load_dword v152, off, s[0:3], 0 offset:88
	;; [unrolled: 1-line block ×7, first 2 shown]
	s_waitcnt vmcnt(47)
	v_mul_f32_e32 v62, v34, v45
	s_waitcnt vmcnt(46)
	v_fma_f32 v62, v33, v46, -v62
	v_mul_f32_e32 v33, v33, v45
	v_fmac_f32_e32 v33, v34, v46
	v_sub_f32_e32 v34, v51, v62
	s_waitcnt vmcnt(45)
	v_mul_f32_e32 v64, v36, v47
	s_waitcnt vmcnt(44)
	v_fma_f32 v64, v35, v49, -v64
	v_mul_f32_e32 v35, v35, v47
	s_waitcnt vmcnt(43)
	v_mul_f32_e32 v47, v22, v50
	v_sub_f32_e32 v46, v52, v33
	v_fmac_f32_e32 v35, v36, v49
	v_sub_f32_e32 v36, v34, v64
	s_waitcnt vmcnt(35)
	v_fma_f32 v47, v21, v63, -v47
	v_mul_f32_e32 v21, v21, v50
	v_sub_f32_e32 v46, v46, v35
	s_waitcnt vmcnt(30)
	v_mul_f32_e32 v49, v14, v66
	v_fmac_f32_e32 v21, v22, v63
	v_sub_f32_e32 v36, v36, v47
	v_sub_f32_e32 v47, v46, v21
	s_waitcnt vmcnt(26)
	v_fma_f32 v49, v13, v67, -v49
	v_mul_f32_e32 v13, v13, v66
	v_fmac_f32_e32 v13, v14, v67
	buffer_load_dword v51, off, s[0:3], 0 offset:96
	buffer_load_dword v52, off, s[0:3], 0 offset:100
	buffer_load_dword v155, off, s[0:3], 0 offset:96
	buffer_load_dword v126, off, s[0:3], 0 offset:96
	buffer_load_dword v62, off, s[0:3], 0 offset:96
	buffer_load_dword v45, off, s[0:3], 0 offset:96
	buffer_load_dword v33, off, s[0:3], 0 offset:96
	buffer_load_dword v223, off, s[0:3], 0 offset:108
	buffer_load_dword v171, off, s[0:3], 0 offset:108
	buffer_load_dword v127, off, s[0:3], 0 offset:108
	buffer_load_dword v34, off, s[0:3], 0 offset:104
	buffer_load_dword v224, off, s[0:3], 0 offset:104
	buffer_load_dword v173, off, s[0:3], 0 offset:104
	buffer_load_dword v35, off, s[0:3], 0 offset:100
	buffer_load_dword v225, off, s[0:3], 0 offset:116
	buffer_load_dword v79, off, s[0:3], 0 offset:116
	buffer_load_dword v128, off, s[0:3], 0 offset:116
	buffer_load_dword v63, off, s[0:3], 0 offset:116
	buffer_load_dword v46, off, s[0:3], 0 offset:116
	buffer_load_dword v21, off, s[0:3], 0 offset:112
	buffer_load_dword v226, off, s[0:3], 0 offset:112
	buffer_load_dword v145, off, s[0:3], 0 offset:112
	buffer_load_dword v132, off, s[0:3], 0 offset:112
	buffer_load_dword v64, off, s[0:3], 0 offset:112
	buffer_load_dword v22, off, s[0:3], 0 offset:108
	v_sub_f32_e32 v70, v47, v13
	buffer_load_dword v72, off, s[0:3], 0 offset:192
	buffer_load_dword v84, off, s[0:3], 0 offset:196
	;; [unrolled: 1-line block ×9, first 2 shown]
	v_sub_f32_e32 v50, v36, v49
	buffer_load_dword v228, off, s[0:3], 0 offset:120
	buffer_load_dword v161, off, s[0:3], 0 offset:120
	;; [unrolled: 1-line block ×7, first 2 shown]
	s_waitcnt vmcnt(60)
	v_mul_f32_e32 v136, v2, v68
	s_waitcnt vmcnt(54)
	v_fma_f32 v136, v1, v69, -v136
	v_mul_f32_e32 v1, v1, v68
	v_fmac_f32_e32 v1, v2, v69
	v_sub_f32_e32 v2, v50, v136
	v_mul_f32_e32 v50, v8, v75
	v_fma_f32 v50, v7, v76, -v50
	v_mul_f32_e32 v7, v7, v75
	v_sub_f32_e32 v1, v70, v1
	v_fmac_f32_e32 v7, v8, v76
	v_sub_f32_e32 v1, v1, v7
	v_mul_f32_e32 v7, v4, v77
	v_fma_f32 v7, v3, v78, -v7
	v_mul_f32_e32 v3, v3, v77
	v_fmac_f32_e32 v3, v4, v78
	v_mul_f32_e32 v4, v15, v83
	v_sub_f32_e32 v2, v2, v50
	v_sub_f32_e32 v1, v1, v3
	v_mul_f32_e32 v3, v16, v83
	v_fmac_f32_e32 v4, v16, v94
	v_sub_f32_e32 v2, v2, v7
	v_fma_f32 v3, v15, v94, -v3
	v_sub_f32_e32 v1, v1, v4
	v_mul_f32_e32 v4, v9, v95
	v_sub_f32_e32 v2, v2, v3
	v_mul_f32_e32 v3, v10, v95
	v_fmac_f32_e32 v4, v10, v113
	v_fma_f32 v3, v9, v113, -v3
	v_sub_f32_e32 v1, v1, v4
	v_mul_f32_e32 v4, v23, v129
	v_sub_f32_e32 v2, v2, v3
	v_mul_f32_e32 v3, v24, v129
	v_fmac_f32_e32 v4, v24, v131
	v_fma_f32 v3, v23, v131, -v3
	v_sub_f32_e32 v1, v1, v4
	v_mul_f32_e32 v4, v17, v112
	buffer_load_dword v10, off, s[0:3], 0 offset:4
	buffer_load_dword v50, off, s[0:3], 0
	v_sub_f32_e32 v2, v2, v3
	v_mul_f32_e32 v3, v18, v112
	v_fmac_f32_e32 v4, v18, v118
	v_fma_f32 v3, v17, v118, -v3
	v_sub_f32_e32 v1, v1, v4
	v_mul_f32_e32 v4, v29, v124
	v_sub_f32_e32 v2, v2, v3
	buffer_load_dword v17, off, s[0:3], 0 offset:212
	v_mul_f32_e32 v3, v30, v124
	v_fmac_f32_e32 v4, v30, v133
	v_fma_f32 v3, v29, v133, -v3
	v_sub_f32_e32 v1, v1, v4
	v_mul_f32_e32 v4, v25, v53
	v_sub_f32_e32 v2, v2, v3
	v_mul_f32_e32 v3, v26, v53
	v_fmac_f32_e32 v4, v26, v71
	v_fma_f32 v3, v25, v71, -v3
	v_sub_f32_e32 v7, v1, v4
	v_sub_f32_e32 v3, v2, v3
	buffer_load_dword v18, off, s[0:3], 0 offset:12
	buffer_load_dword v23, off, s[0:3], 0 offset:8
	;; [unrolled: 1-line block ×17, first 2 shown]
	s_waitcnt vmcnt(34)
	v_mul_f32_e32 v15, v141, v84
	v_mul_f32_e32 v8, v142, v84
	v_fmac_f32_e32 v15, v142, v72
	v_fma_f32 v8, v141, v72, -v8
	v_sub_f32_e32 v16, v7, v15
	v_mov_b32_e32 v7, s48
	v_sub_f32_e32 v3, v3, v8
	ds_read_b64 v[7:8], v7
	s_add_i32 s48, s50, s14
	v_mov_b32_e32 v15, s48
	ds_read2_b64 v[177:180], v15 offset1:1
	s_add_i32 s48, s50, s21
	s_waitcnt lgkmcnt(1)
	v_mul_f32_e32 v15, v8, v16
	v_fma_f32 v15, v7, v3, -v15
	v_mul_f32_e32 v16, v7, v16
	v_fmac_f32_e32 v16, v8, v3
	buffer_store_dword v15, off, s[0:3], 0 offset:200
	buffer_store_dword v16, off, s[0:3], 0 offset:204
	buffer_load_dword v29, off, s[0:3], 0 offset:24
	v_add_u32_e32 v3, s47, v73
	ds_write_b64 v3, v[15:16]
	buffer_load_dword v30, off, s[0:3], 0 offset:32
	buffer_load_dword v53, off, s[0:3], 0 offset:36
	;; [unrolled: 1-line block ×8, first 2 shown]
	buffer_load_dword v231, off, s[0:3], 0
	buffer_load_dword v232, off, s[0:3], 0 offset:4
	buffer_load_dword v159, off, s[0:3], 0
	buffer_load_dword v129, off, s[0:3], 0
	;; [unrolled: 1-line block ×4, first 2 shown]
	buffer_load_dword v233, off, s[0:3], 0 offset:216
	buffer_load_dword v234, off, s[0:3], 0 offset:220
	;; [unrolled: 1-line block ×7, first 2 shown]
	s_waitcnt vmcnt(43) lgkmcnt(1)
	v_mul_f32_e32 v7, v180, v10
	s_waitcnt vmcnt(42)
	v_fma_f32 v7, v179, v50, -v7
	v_mul_f32_e32 v8, v179, v10
	v_fmac_f32_e32 v8, v180, v50
	v_sub_f32_e32 v10, v85, v7
	v_mov_b32_e32 v7, s48
	s_add_i32 s48, s50, s15
	s_waitcnt vmcnt(41)
	v_sub_f32_e32 v16, v17, v8
	v_mov_b32_e32 v8, s48
	ds_read2_b64 v[179:182], v7 offset1:1
	ds_read2_b64 v[183:186], v8 offset1:1
	s_add_i32 s48, s50, s20
	buffer_load_dword v235, off, s[0:3], 0 offset:12
	buffer_load_dword v164, off, s[0:3], 0 offset:12
	;; [unrolled: 1-line block ×10, first 2 shown]
	s_waitcnt vmcnt(50) lgkmcnt(1)
	v_mul_f32_e32 v17, v182, v18
	v_mul_f32_e32 v18, v181, v18
	s_waitcnt vmcnt(49)
	v_fma_f32 v17, v181, v23, -v17
	v_fmac_f32_e32 v18, v182, v23
	v_sub_f32_e32 v16, v16, v18
	v_sub_f32_e32 v17, v10, v17
	buffer_load_dword v181, off, s[0:3], 0 offset:16
	buffer_load_dword v182, off, s[0:3], 0 offset:20
	buffer_load_dword v166, off, s[0:3], 0 offset:16
	buffer_load_dword v133, off, s[0:3], 0 offset:16
	buffer_load_dword v77, off, s[0:3], 0 offset:16
	buffer_load_dword v10, off, s[0:3], 0 offset:16
	s_waitcnt vmcnt(42) lgkmcnt(0)
	v_mul_f32_e32 v23, v185, v24
	v_mul_f32_e32 v18, v186, v24
	s_waitcnt vmcnt(41)
	v_fmac_f32_e32 v23, v186, v25
	v_fma_f32 v18, v185, v25, -v18
	v_sub_f32_e32 v24, v16, v23
	v_mov_b32_e32 v16, s48
	s_add_i32 s48, s50, s23
	v_sub_f32_e32 v18, v17, v18
	v_mov_b32_e32 v17, s48
	ds_read2_b64 v[185:188], v16 offset1:1
	ds_read2_b64 v[189:192], v17 offset1:1
	s_add_i32 s48, s50, s22
	buffer_load_dword v237, off, s[0:3], 0 offset:28
	buffer_load_dword v167, off, s[0:3], 0 offset:28
	;; [unrolled: 1-line block ×10, first 2 shown]
	s_waitcnt vmcnt(50) lgkmcnt(1)
	v_mul_f32_e32 v25, v188, v26
	v_mul_f32_e32 v26, v187, v26
	s_waitcnt vmcnt(47)
	v_fma_f32 v25, v187, v29, -v25
	v_fmac_f32_e32 v26, v188, v29
	s_waitcnt vmcnt(45) lgkmcnt(0)
	v_mul_f32_e32 v29, v191, v53
	v_sub_f32_e32 v24, v24, v26
	v_mul_f32_e32 v26, v192, v53
	v_fmac_f32_e32 v29, v192, v30
	v_sub_f32_e32 v25, v18, v25
	v_fma_f32 v26, v191, v30, -v26
	v_sub_f32_e32 v30, v24, v29
	v_mov_b32_e32 v24, s48
	s_add_i32 s48, s50, s27
	buffer_load_dword v187, off, s[0:3], 0 offset:32
	buffer_load_dword v188, off, s[0:3], 0 offset:36
	buffer_load_dword v169, off, s[0:3], 0 offset:32
	buffer_load_dword v143, off, s[0:3], 0 offset:32
	buffer_load_dword v83, off, s[0:3], 0 offset:32
	buffer_load_dword v18, off, s[0:3], 0 offset:32
	v_sub_f32_e32 v26, v25, v26
	v_mov_b32_e32 v25, s48
	ds_read2_b64 v[191:194], v24 offset1:1
	ds_read2_b64 v[195:198], v25 offset1:1
	s_add_i32 s48, s50, s25
	buffer_load_dword v239, off, s[0:3], 0 offset:44
	buffer_load_dword v170, off, s[0:3], 0 offset:44
	;; [unrolled: 1-line block ×10, first 2 shown]
	s_waitcnt vmcnt(59) lgkmcnt(1)
	v_mul_f32_e32 v50, v194, v95
	v_mul_f32_e32 v53, v193, v95
	v_fma_f32 v50, v193, v94, -v50
	v_fmac_f32_e32 v53, v194, v94
	s_waitcnt vmcnt(57) lgkmcnt(0)
	v_mul_f32_e32 v94, v197, v144
	v_sub_f32_e32 v30, v30, v53
	v_mul_f32_e32 v53, v198, v144
	v_fmac_f32_e32 v94, v198, v142
	v_sub_f32_e32 v50, v26, v50
	v_fma_f32 v53, v197, v142, -v53
	v_sub_f32_e32 v207, v30, v94
	v_mov_b32_e32 v30, s48
	s_add_i32 s48, s50, s29
	buffer_load_dword v193, off, s[0:3], 0 offset:48
	buffer_load_dword v194, off, s[0:3], 0 offset:52
	;; [unrolled: 1-line block ×6, first 2 shown]
	v_sub_f32_e32 v95, v50, v53
	v_mov_b32_e32 v50, s48
	ds_read2_b64 v[197:200], v30 offset1:1
	ds_read2_b64 v[201:204], v50 offset1:1
	s_add_i32 s48, s50, s28
	buffer_load_dword v241, off, s[0:3], 0 offset:60
	buffer_load_dword v175, off, s[0:3], 0 offset:60
	;; [unrolled: 1-line block ×10, first 2 shown]
	s_waitcnt vmcnt(62) lgkmcnt(1)
	v_mul_f32_e32 v208, v200, v206
	v_fma_f32 v208, v199, v205, -v208
	v_mul_f32_e32 v199, v199, v206
	v_fmac_f32_e32 v199, v200, v205
	s_waitcnt lgkmcnt(0)
	v_mul_f32_e32 v200, v204, v147
	v_mul_f32_e32 v147, v203, v147
	v_fma_f32 v200, v203, v96, -v200
	v_fmac_f32_e32 v147, v204, v96
	v_mov_b32_e32 v96, s48
	v_sub_f32_e32 v199, v207, v199
	ds_read2_b64 v[203:206], v96 offset1:1
	s_add_i32 s48, s50, s31
	v_sub_f32_e32 v96, v199, v147
	v_mov_b32_e32 v147, s48
	v_sub_f32_e32 v95, v95, v208
	ds_read2_b64 v[207:210], v147 offset1:1
	s_waitcnt lgkmcnt(1)
	v_mul_f32_e32 v147, v206, v148
	v_mul_f32_e32 v148, v205, v148
	v_sub_f32_e32 v95, v95, v200
	v_fma_f32 v147, v205, v156, -v147
	v_fmac_f32_e32 v148, v206, v156
	buffer_load_dword v156, off, s[0:3], 0 offset:140
	v_sub_f32_e32 v95, v95, v147
	v_sub_f32_e32 v96, v96, v148
	s_waitcnt lgkmcnt(0)
	v_mul_f32_e32 v147, v210, v157
	v_mul_f32_e32 v148, v209, v157
	buffer_load_dword v157, off, s[0:3], 0 offset:136
	v_fma_f32 v147, v209, v211, -v147
	s_add_i32 s48, s50, s30
	v_sub_f32_e32 v95, v95, v147
	v_mov_b32_e32 v147, s48
	v_fmac_f32_e32 v148, v210, v211
	ds_read2_b64 v[209:212], v147 offset1:1
	s_add_i32 s48, s50, s34
	v_mov_b32_e32 v147, s48
	ds_read2_b64 v[213:216], v147 offset1:1
	s_add_i32 s48, s50, s33
	s_waitcnt lgkmcnt(1)
	v_mul_f32_e32 v147, v212, v217
	v_fma_f32 v147, v211, v218, -v147
	v_sub_f32_e32 v95, v95, v147
	s_waitcnt lgkmcnt(0)
	v_mul_f32_e32 v147, v216, v52
	v_fma_f32 v147, v215, v51, -v147
	v_mul_f32_e32 v52, v215, v52
	v_sub_f32_e32 v96, v96, v148
	v_mul_f32_e32 v148, v211, v217
	v_fmac_f32_e32 v52, v216, v51
	v_sub_f32_e32 v51, v95, v147
	v_mov_b32_e32 v95, s48
	v_fmac_f32_e32 v148, v212, v218
	ds_read2_b64 v[215:218], v95 offset1:1
	s_add_i32 s48, s50, s36
	v_mov_b32_e32 v95, s48
	ds_read2_b64 v[219:222], v95 offset1:1
	v_sub_f32_e32 v96, v96, v148
	s_waitcnt lgkmcnt(1)
	v_mul_f32_e32 v95, v218, v223
	v_fma_f32 v95, v217, v224, -v95
	v_sub_f32_e32 v51, v51, v95
	s_waitcnt lgkmcnt(0)
	v_mul_f32_e32 v95, v222, v225
	v_sub_f32_e32 v52, v96, v52
	v_mul_f32_e32 v96, v217, v223
	v_fma_f32 v95, v221, v226, -v95
	v_fmac_f32_e32 v96, v218, v224
	v_sub_f32_e32 v51, v51, v95
	s_add_i32 s48, s50, s35
	v_mul_f32_e32 v95, v178, v232
	v_sub_f32_e32 v52, v52, v96
	v_mul_f32_e32 v96, v221, v225
	v_fma_f32 v211, v177, v231, -v95
	v_mov_b32_e32 v95, s48
	v_fmac_f32_e32 v96, v222, v226
	ds_read2_b64 v[221:224], v95 offset1:1
	s_add_i32 s48, s50, s38
	s_waitcnt vmcnt(59)
	v_mul_f32_e32 v95, v180, v235
	v_mul_f32_e32 v212, v177, v232
	s_waitcnt vmcnt(53)
	v_fma_f32 v217, v179, v236, -v95
	v_mul_f32_e32 v218, v179, v235
	v_mov_b32_e32 v95, s48
	v_fmac_f32_e32 v212, v178, v231
	v_fmac_f32_e32 v218, v180, v236
	ds_read2_b64 v[177:180], v95 offset1:1
	s_waitcnt lgkmcnt(1)
	v_mul_f32_e32 v95, v224, v227
	v_fma_f32 v95, v223, v228, -v95
	v_sub_f32_e32 v51, v51, v95
	v_sub_f32_e32 v52, v52, v96
	s_waitcnt lgkmcnt(0)
	v_mul_f32_e32 v95, v180, v75
	v_mul_f32_e32 v96, v223, v227
	v_fma_f32 v95, v179, v76, -v95
	v_mul_f32_e32 v75, v179, v75
	v_fmac_f32_e32 v96, v224, v228
	v_fmac_f32_e32 v75, v180, v76
	v_sub_f32_e32 v76, v51, v95
	s_add_i32 s48, s50, s39
	s_waitcnt vmcnt(48)
	v_mul_f32_e32 v95, v184, v182
	v_sub_f32_e32 v52, v52, v96
	v_mov_b32_e32 v51, s48
	s_add_i32 s48, s50, s40
	v_fma_f32 v223, v183, v181, -v95
	v_mul_f32_e32 v224, v183, v182
	s_waitcnt vmcnt(43)
	v_mul_f32_e32 v95, v186, v237
	v_mul_f32_e32 v226, v185, v237
	v_sub_f32_e32 v75, v52, v75
	v_mov_b32_e32 v52, s48
	v_fmac_f32_e32 v224, v184, v181
	s_waitcnt vmcnt(37)
	v_fma_f32 v225, v185, v238, -v95
	v_fmac_f32_e32 v226, v186, v238
	ds_read2_b64 v[179:182], v51 offset1:1
	ds_read2_b64 v[183:186], v52 offset1:1
	s_waitcnt vmcnt(32)
	v_mul_f32_e32 v51, v190, v188
	v_mul_f32_e32 v228, v189, v188
	v_fma_f32 v227, v189, v187, -v51
	v_fmac_f32_e32 v228, v190, v187
	s_waitcnt vmcnt(1) lgkmcnt(1)
	v_mul_f32_e32 v187, v182, v156
	v_mul_f32_e32 v156, v181, v156
	s_waitcnt vmcnt(0)
	v_fmac_f32_e32 v156, v182, v157
	buffer_load_dword v231, off, s[0:3], 0 offset:140
	buffer_load_dword v232, off, s[0:3], 0 offset:140
	;; [unrolled: 1-line block ×10, first 2 shown]
	v_fma_f32 v187, v181, v157, -v187
	buffer_store_dword v75, off, s[0:3], 0 offset:212
	v_sub_f32_e32 v75, v75, v156
	s_waitcnt lgkmcnt(0)
	v_mul_f32_e32 v156, v186, v80
	v_sub_f32_e32 v76, v76, v187
	v_fma_f32 v156, v185, v81, -v156
	s_add_i32 s48, s50, s41
	v_mul_f32_e32 v80, v185, v80
	buffer_store_dword v76, off, s[0:3], 0 offset:208
	v_sub_f32_e32 v76, v76, v156
	v_mov_b32_e32 v156, s48
	v_fmac_f32_e32 v80, v186, v81
	ds_read2_b64 v[185:188], v156 offset1:1
	s_add_i32 s48, s50, s42
	v_mul_f32_e32 v156, v196, v194
	v_sub_f32_e32 v75, v75, v80
	v_mul_f32_e32 v80, v192, v239
	v_mul_f32_e32 v81, v191, v239
	v_fma_f32 v181, v195, v193, -v156
	v_mov_b32_e32 v156, s48
	v_fma_f32 v80, v191, v240, -v80
	v_fmac_f32_e32 v81, v192, v240
	ds_read2_b64 v[189:192], v156 offset1:1
	s_waitcnt lgkmcnt(1)
	v_mul_f32_e32 v156, v188, v82
	v_mul_f32_e32 v82, v187, v82
	v_fma_f32 v156, v187, v89, -v156
	v_fmac_f32_e32 v82, v188, v89
	buffer_load_dword v89, off, s[0:3], 0 offset:68
	s_waitcnt lgkmcnt(0)
	v_mul_f32_e32 v157, v191, v114
	v_sub_f32_e32 v75, v75, v82
	v_fmac_f32_e32 v157, v192, v125
	s_add_i32 s48, s50, s43
	v_mul_f32_e32 v182, v195, v194
	v_mul_f32_e32 v82, v192, v114
	v_sub_f32_e32 v75, v75, v157
	v_mov_b32_e32 v157, s48
	v_fmac_f32_e32 v182, v196, v193
	v_sub_f32_e32 v76, v76, v156
	v_fma_f32 v82, v191, v125, -v82
	buffer_load_dword v187, off, s[0:3], 0 offset:68
	buffer_load_dword v156, off, s[0:3], 0 offset:68
	;; [unrolled: 1-line block ×3, first 2 shown]
	ds_read2_b64 v[191:194], v157 offset1:1
	s_add_i32 s48, s50, s44
	v_sub_f32_e32 v76, v76, v82
	v_mul_f32_e32 v82, v198, v241
	v_mul_f32_e32 v125, v197, v241
	v_fma_f32 v82, v197, v242, -v82
	v_fmac_f32_e32 v125, v198, v242
	v_mul_f32_e32 v238, v207, v151
	v_fmac_f32_e32 v238, v208, v154
	s_waitcnt vmcnt(3)
	v_mul_f32_e32 v157, v202, v89
	v_mul_f32_e32 v237, v201, v89
	v_mov_b32_e32 v89, s48
	ds_read2_b64 v[195:198], v89 offset1:1
	s_waitcnt lgkmcnt(1)
	v_mul_f32_e32 v89, v194, v107
	v_mul_f32_e32 v107, v193, v107
	v_fma_f32 v188, v201, v153, -v157
	v_fmac_f32_e32 v237, v202, v153
	v_fma_f32 v89, v193, v110, -v89
	v_fmac_f32_e32 v107, v194, v110
	buffer_load_dword v153, off, s[0:3], 0 offset:204
	v_sub_f32_e32 v76, v76, v89
	v_sub_f32_e32 v75, v75, v107
	s_waitcnt lgkmcnt(0)
	v_mul_f32_e32 v89, v198, v115
	v_mul_f32_e32 v107, v197, v115
	buffer_load_dword v115, off, s[0:3], 0 offset:200
	buffer_load_dword v110, off, s[0:3], 0 offset:100
	v_fma_f32 v89, v197, v123, -v89
	s_add_i32 s48, s50, s45
	v_sub_f32_e32 v76, v76, v89
	v_mov_b32_e32 v89, s48
	v_fmac_f32_e32 v107, v198, v123
	ds_read2_b64 v[197:200], v89 offset1:1
	s_add_i32 s48, s50, s46
	v_sub_f32_e32 v75, v75, v107
	v_mul_f32_e32 v107, v204, v55
	v_mul_f32_e32 v193, v203, v55
	v_mov_b32_e32 v55, s48
	v_fma_f32 v123, v203, v150, -v107
	v_fmac_f32_e32 v193, v204, v150
	ds_read2_b64 v[201:204], v55 offset1:1
	s_waitcnt lgkmcnt(1)
	v_mul_f32_e32 v55, v200, v54
	v_fma_f32 v55, v199, v99, -v55
	v_mul_f32_e32 v54, v199, v54
	v_fmac_f32_e32 v54, v200, v99
	v_sub_f32_e32 v55, v76, v55
	s_waitcnt lgkmcnt(0)
	v_mul_f32_e32 v76, v203, v229
	v_sub_f32_e32 v54, v75, v54
	v_fmac_f32_e32 v76, v204, v230
	s_add_i32 s48, s50, s47
	v_mul_f32_e32 v89, v208, v151
	v_mul_f32_e32 v75, v204, v229
	v_sub_f32_e32 v76, v54, v76
	v_mov_b32_e32 v54, s48
	s_add_i32 s48, s14, 0xffffcc00
	v_fma_f32 v194, v207, v154, -v89
	v_fma_f32 v75, v203, v230, -v75
	s_add_i32 s50, s50, s48
	v_mul_f32_e32 v89, v210, v149
	v_mul_f32_e32 v229, v209, v149
	buffer_load_dword v199, off, s[0:3], 0 offset:100
	buffer_load_dword v157, off, s[0:3], 0 offset:100
	;; [unrolled: 1-line block ×3, first 2 shown]
	v_sub_f32_e32 v75, v55, v75
	v_mov_b32_e32 v55, s50
	v_fma_f32 v200, v209, v152, -v89
	v_fmac_f32_e32 v229, v210, v152
	ds_read2_b64 v[203:206], v54 offset1:1
	ds_read2_b64 v[207:210], v55 offset1:1
	v_mul_f32_e32 v54, v216, v171
	v_mul_f32_e32 v171, v215, v171
	v_fmac_f32_e32 v171, v216, v173
	s_add_i32 s50, s37, 0xffffc928
	s_waitcnt vmcnt(5) lgkmcnt(1)
	v_mul_f32_e32 v150, v205, v153
	v_mul_f32_e32 v149, v206, v153
	s_waitcnt vmcnt(4)
	v_fmac_f32_e32 v150, v206, v115
	v_fma_f32 v149, v205, v115, -v149
	v_sub_f32_e32 v76, v76, v150
	v_sub_f32_e32 v115, v75, v149
	s_waitcnt lgkmcnt(0)
	v_mul_f32_e32 v75, v210, v76
	v_mul_f32_e32 v76, v209, v76
	s_waitcnt vmcnt(3)
	v_mul_f32_e32 v89, v214, v110
	v_mul_f32_e32 v110, v213, v110
	v_fma_f32 v75, v209, v115, -v75
	v_fmac_f32_e32 v76, v210, v115
	v_add_u32_e32 v115, s48, v73
	v_fma_f32 v230, v213, v155, -v89
	v_fmac_f32_e32 v110, v214, v155
	v_fma_f32 v213, v215, v173, -v54
	buffer_load_dword v173, off, s[0:3], 0 offset:204
	buffer_load_dword v239, off, s[0:3], 0 offset:204
	buffer_load_dword v154, off, s[0:3], 0 offset:204
	buffer_load_dword v89, off, s[0:3], 0 offset:204
	buffer_load_dword v54, off, s[0:3], 0 offset:204
	buffer_load_dword v214, off, s[0:3], 0 offset:200
	buffer_load_dword v240, off, s[0:3], 0 offset:200
	buffer_load_dword v155, off, s[0:3], 0 offset:200
	buffer_load_dword v99, off, s[0:3], 0 offset:200
	buffer_load_dword v55, off, s[0:3], 0 offset:200
	ds_write_b64 v115, v[75:76]
	buffer_store_dword v75, off, s[0:3], 0 offset:208
	buffer_store_dword v76, off, s[0:3], 0 offset:212
	v_sub_f32_e32 v76, v233, v211
	buffer_load_dword v75, off, s[0:3], 0 offset:132
	buffer_load_dword v205, off, s[0:3], 0 offset:128
	v_sub_f32_e32 v76, v76, v217
	v_sub_f32_e32 v76, v76, v223
	;; [unrolled: 1-line block ×6, first 2 shown]
	buffer_load_dword v206, off, s[0:3], 0 offset:148
	buffer_load_dword v209, off, s[0:3], 0 offset:4
	;; [unrolled: 1-line block ×4, first 2 shown]
	v_sub_f32_e32 v115, v115, v224
	buffer_load_dword v210, off, s[0:3], 0 offset:144
	buffer_load_dword v211, off, s[0:3], 0 offset:20
	;; [unrolled: 1-line block ×4, first 2 shown]
	v_sub_f32_e32 v76, v76, v80
	buffer_load_dword v80, off, s[0:3], 0 offset:156
	v_sub_f32_e32 v115, v115, v226
	v_sub_f32_e32 v115, v115, v228
	v_sub_f32_e32 v81, v115, v81
	v_sub_f32_e32 v81, v81, v182
	v_sub_f32_e32 v76, v76, v181
	v_sub_f32_e32 v81, v81, v125
	v_sub_f32_e32 v76, v76, v82
	v_sub_f32_e32 v81, v81, v237
	v_sub_f32_e32 v76, v76, v188
	v_sub_f32_e32 v81, v81, v193
	v_sub_f32_e32 v76, v76, v123
	v_sub_f32_e32 v81, v81, v238
	v_sub_f32_e32 v76, v76, v194
	v_sub_f32_e32 v81, v81, v229
	v_sub_f32_e32 v76, v76, v200
	v_sub_f32_e32 v81, v81, v110
	v_mul_f32_e32 v82, v220, v79
	v_mul_f32_e32 v79, v219, v79
	v_sub_f32_e32 v76, v76, v230
	v_sub_f32_e32 v81, v81, v171
	v_fmac_f32_e32 v79, v220, v145
	v_sub_f32_e32 v76, v76, v213
	v_fma_f32 v82, v219, v145, -v82
	v_sub_f32_e32 v79, v81, v79
	v_mul_f32_e32 v81, v222, v146
	v_sub_f32_e32 v76, v76, v82
	v_fma_f32 v81, v221, v161, -v81
	v_mul_f32_e32 v82, v221, v146
	buffer_load_dword v212, off, s[0:3], 0 offset:36
	buffer_load_dword v225, off, s[0:3], 0 offset:36
	;; [unrolled: 1-line block ×12, first 2 shown]
	v_fmac_f32_e32 v82, v222, v161
	v_sub_f32_e32 v76, v76, v81
	buffer_load_dword v161, off, s[0:3], 0 offset:212
	buffer_load_dword v200, off, s[0:3], 0 offset:132
	;; [unrolled: 1-line block ×5, first 2 shown]
	v_sub_f32_e32 v79, v79, v82
	buffer_load_dword v171, off, s[0:3], 0 offset:208
	buffer_load_dword v213, off, s[0:3], 0 offset:128
	;; [unrolled: 1-line block ×5, first 2 shown]
	s_waitcnt vmcnt(32)
	v_mul_f32_e32 v123, v178, v75
	v_mul_f32_e32 v75, v177, v75
	s_waitcnt vmcnt(31)
	v_fmac_f32_e32 v75, v178, v205
	v_fma_f32 v123, v177, v205, -v123
	v_sub_f32_e32 v75, v79, v75
	v_mul_f32_e32 v79, v180, v231
	v_sub_f32_e32 v76, v76, v123
	v_fma_f32 v79, v179, v235, -v79
	v_mul_f32_e32 v123, v179, v231
	s_waitcnt vmcnt(30)
	v_mul_f32_e32 v177, v184, v206
	v_fmac_f32_e32 v123, v180, v235
	v_sub_f32_e32 v79, v76, v79
	s_waitcnt vmcnt(26)
	v_fma_f32 v177, v183, v210, -v177
	v_mul_f32_e32 v178, v183, v206
	s_waitcnt vmcnt(22)
	v_mul_f32_e32 v179, v186, v80
	v_sub_f32_e32 v125, v75, v123
	v_fmac_f32_e32 v178, v184, v210
	v_sub_f32_e32 v177, v79, v177
	v_fma_f32 v179, v185, v92, -v179
	v_mul_f32_e32 v80, v185, v80
	v_sub_f32_e32 v178, v125, v178
	v_fmac_f32_e32 v80, v186, v92
	v_sub_f32_e32 v92, v177, v179
	v_mul_f32_e32 v177, v190, v93
	v_mul_f32_e32 v93, v189, v93
	v_sub_f32_e32 v80, v178, v80
	v_fmac_f32_e32 v93, v190, v117
	v_fma_f32 v177, v189, v117, -v177
	v_sub_f32_e32 v80, v80, v93
	v_mul_f32_e32 v93, v192, v105
	v_sub_f32_e32 v92, v92, v177
	v_fma_f32 v93, v191, v108, -v93
	v_mul_f32_e32 v105, v191, v105
	v_sub_f32_e32 v92, v92, v93
	v_mul_f32_e32 v93, v196, v109
	v_fmac_f32_e32 v105, v192, v108
	v_fma_f32 v93, v195, v116, -v93
	v_sub_f32_e32 v80, v80, v105
	v_mul_f32_e32 v105, v195, v109
	v_sub_f32_e32 v92, v92, v93
	v_mul_f32_e32 v93, v198, v59
	v_fmac_f32_e32 v105, v196, v116
	v_fma_f32 v93, v197, v130, -v93
	v_mul_f32_e32 v59, v197, v59
	v_sub_f32_e32 v80, v80, v105
	v_fmac_f32_e32 v59, v198, v130
	v_sub_f32_e32 v92, v92, v93
	v_mul_f32_e32 v93, v201, v158
	v_sub_f32_e32 v59, v80, v59
	v_mul_f32_e32 v80, v202, v158
	v_fmac_f32_e32 v93, v202, v160
	v_fma_f32 v80, v201, v160, -v80
	v_sub_f32_e32 v59, v59, v93
	v_mul_f32_e32 v93, v203, v173
	v_sub_f32_e32 v80, v92, v80
	v_mul_f32_e32 v92, v204, v173
	v_fmac_f32_e32 v93, v204, v214
	s_waitcnt vmcnt(9)
	v_mul_f32_e32 v116, v207, v161
	v_fma_f32 v92, v203, v214, -v92
	v_sub_f32_e32 v108, v59, v93
	v_mul_f32_e32 v109, v208, v161
	s_waitcnt vmcnt(4)
	v_fmac_f32_e32 v116, v208, v171
	v_sub_f32_e32 v92, v80, v92
	v_fma_f32 v109, v207, v171, -v109
	v_sub_f32_e32 v117, v108, v116
	v_mov_b32_e32 v108, s50
	s_lshl_b32 s50, s51, 3
	buffer_load_dword v231, off, s[0:3], 0 offset:148
	buffer_load_dword v123, off, s[0:3], 0 offset:148
	;; [unrolled: 1-line block ×18, first 2 shown]
	v_sub_f32_e32 v92, v92, v109
	ds_read_b64 v[108:109], v108
	s_add_i32 s52, s50, s14
	v_mov_b32_e32 v116, s52
	ds_read2_b64 v[177:180], v116 offset1:1
	s_add_i32 s52, s50, s21
	s_waitcnt lgkmcnt(1)
	v_mul_f32_e32 v116, v109, v117
	v_mul_f32_e32 v117, v108, v117
	v_fma_f32 v116, v108, v92, -v116
	v_fmac_f32_e32 v117, v109, v92
	v_add_u32_e32 v92, s49, v73
	buffer_store_dword v116, off, s[0:3], 0 offset:216
	buffer_store_dword v117, off, s[0:3], 0 offset:220
	ds_write_b64 v92, v[116:117]
	s_waitcnt lgkmcnt(1)
	v_mul_f32_e32 v92, v180, v209
	v_mul_f32_e32 v108, v179, v209
	v_mov_b32_e32 v109, s52
	v_fma_f32 v92, v179, v159, -v92
	v_fmac_f32_e32 v108, v180, v159
	ds_read2_b64 v[158:161], v109 offset1:1
	s_add_i32 s52, s50, s15
	v_mov_b32_e32 v109, s52
	ds_read2_b64 v[179:182], v109 offset1:1
	v_sub_f32_e32 v92, v163, v92
	s_waitcnt lgkmcnt(1)
	v_mul_f32_e32 v109, v161, v164
	v_fma_f32 v109, v160, v165, -v109
	v_sub_f32_e32 v92, v92, v109
	s_waitcnt lgkmcnt(0)
	v_mul_f32_e32 v109, v182, v211
	v_fma_f32 v109, v181, v166, -v109
	s_add_i32 s52, s50, s20
	v_mul_f32_e32 v116, v160, v164
	v_sub_f32_e32 v92, v92, v109
	v_mov_b32_e32 v109, s52
	v_sub_f32_e32 v108, v162, v108
	v_fmac_f32_e32 v116, v161, v165
	ds_read2_b64 v[160:163], v109 offset1:1
	s_add_i32 s52, s50, s23
	v_sub_f32_e32 v108, v108, v116
	v_mul_f32_e32 v116, v181, v211
	v_mov_b32_e32 v109, s52
	v_fmac_f32_e32 v116, v182, v166
	ds_read2_b64 v[181:184], v109 offset1:1
	s_waitcnt lgkmcnt(1)
	v_mul_f32_e32 v109, v163, v167
	v_fma_f32 v109, v162, v168, -v109
	v_sub_f32_e32 v92, v92, v109
	s_add_i32 s52, s50, s22
	s_waitcnt lgkmcnt(0)
	v_mul_f32_e32 v109, v184, v212
	v_fma_f32 v109, v183, v169, -v109
	v_sub_f32_e32 v108, v108, v116
	v_mul_f32_e32 v116, v162, v167
	v_sub_f32_e32 v92, v92, v109
	v_mov_b32_e32 v109, s52
	v_fmac_f32_e32 v116, v163, v168
	ds_read2_b64 v[162:165], v109 offset1:1
	s_add_i32 s52, s50, s27
	v_sub_f32_e32 v108, v108, v116
	v_mul_f32_e32 v116, v183, v212
	v_mov_b32_e32 v109, s52
	v_fmac_f32_e32 v116, v184, v169
	ds_read2_b64 v[166:169], v109 offset1:1
	s_waitcnt lgkmcnt(1)
	v_mul_f32_e32 v109, v165, v170
	v_fma_f32 v109, v164, v172, -v109
	v_sub_f32_e32 v108, v108, v116
	v_mul_f32_e32 v116, v164, v170
	v_sub_f32_e32 v92, v92, v109
	s_waitcnt lgkmcnt(0)
	v_mul_f32_e32 v109, v169, v215
	v_fmac_f32_e32 v116, v165, v172
	v_fma_f32 v109, v168, v174, -v109
	s_add_i32 s52, s50, s25
	v_sub_f32_e32 v108, v108, v116
	v_mul_f32_e32 v116, v168, v215
	v_sub_f32_e32 v92, v92, v109
	v_mov_b32_e32 v109, s52
	v_fmac_f32_e32 v116, v169, v174
	ds_read2_b64 v[168:171], v109 offset1:1
	s_add_i32 s52, s50, s29
	v_mov_b32_e32 v109, s52
	ds_read2_b64 v[183:186], v109 offset1:1
	v_sub_f32_e32 v108, v108, v116
	s_waitcnt lgkmcnt(1)
	v_mul_f32_e32 v109, v171, v175
	v_mul_f32_e32 v116, v170, v175
	v_fma_f32 v109, v170, v176, -v109
	v_fmac_f32_e32 v116, v171, v176
	v_sub_f32_e32 v92, v92, v109
	v_sub_f32_e32 v108, v108, v116
	s_waitcnt lgkmcnt(0)
	v_mul_f32_e32 v109, v186, v187
	v_mul_f32_e32 v116, v185, v187
	s_add_i32 s52, s50, s28
	v_fma_f32 v109, v185, v101, -v109
	v_fmac_f32_e32 v116, v186, v101
	v_mov_b32_e32 v101, s52
	ds_read2_b64 v[170:173], v101 offset1:1
	s_add_i32 s52, s50, s31
	v_sub_f32_e32 v101, v108, v116
	v_mov_b32_e32 v108, s52
	ds_read2_b64 v[185:188], v108 offset1:1
	s_waitcnt lgkmcnt(1)
	v_mul_f32_e32 v108, v173, v103
	v_mul_f32_e32 v103, v172, v103
	v_fmac_f32_e32 v103, v173, v216
	v_sub_f32_e32 v92, v92, v109
	v_fma_f32 v108, v172, v216, -v108
	v_sub_f32_e32 v101, v101, v103
	s_waitcnt lgkmcnt(0)
	v_mul_f32_e32 v103, v188, v119
	v_sub_f32_e32 v92, v92, v108
	v_fma_f32 v103, v187, v121, -v103
	s_add_i32 s52, s50, s30
	v_sub_f32_e32 v92, v92, v103
	v_mov_b32_e32 v103, s52
	ds_read2_b64 v[172:175], v103 offset1:1
	buffer_load_dword v103, off, s[0:3], 0 offset:152
	v_mul_f32_e32 v108, v187, v119
	v_fmac_f32_e32 v108, v188, v121
	s_add_i32 s52, s50, s34
	v_sub_f32_e32 v101, v101, v108
	v_mov_b32_e32 v108, s52
	ds_read2_b64 v[187:190], v108 offset1:1
	s_waitcnt lgkmcnt(1)
	v_mul_f32_e32 v108, v175, v120
	v_fma_f32 v108, v174, v122, -v108
	v_sub_f32_e32 v92, v92, v108
	s_add_i32 s52, s50, s33
	s_waitcnt lgkmcnt(0)
	v_mul_f32_e32 v108, v190, v199
	v_fma_f32 v108, v189, v126, -v108
	v_mul_f32_e32 v109, v174, v120
	v_sub_f32_e32 v92, v92, v108
	v_mov_b32_e32 v108, s52
	v_fmac_f32_e32 v109, v175, v122
	ds_read2_b64 v[119:122], v108 offset1:1
	s_add_i32 s52, s50, s36
	v_sub_f32_e32 v101, v101, v109
	v_mul_f32_e32 v109, v189, v199
	v_mov_b32_e32 v108, s52
	v_fmac_f32_e32 v109, v190, v126
	ds_read2_b64 v[189:192], v108 offset1:1
	s_waitcnt lgkmcnt(1)
	v_mul_f32_e32 v108, v122, v127
	v_fma_f32 v108, v121, v193, -v108
	v_sub_f32_e32 v101, v101, v109
	v_mul_f32_e32 v109, v121, v127
	v_sub_f32_e32 v92, v92, v108
	s_waitcnt lgkmcnt(0)
	v_mul_f32_e32 v108, v192, v128
	v_fmac_f32_e32 v109, v122, v193
	v_fma_f32 v108, v191, v132, -v108
	s_add_i32 s52, s50, s35
	v_sub_f32_e32 v101, v101, v109
	v_mul_f32_e32 v109, v191, v128
	v_sub_f32_e32 v92, v92, v108
	v_mov_b32_e32 v108, s52
	v_fmac_f32_e32 v109, v192, v132
	ds_read2_b64 v[191:194], v108 offset1:1
	s_add_i32 s52, s50, s38
	v_mov_b32_e32 v108, s52
	ds_read2_b64 v[195:198], v108 offset1:1
	v_sub_f32_e32 v101, v101, v109
	s_waitcnt lgkmcnt(1)
	v_mul_f32_e32 v108, v194, v134
	v_fma_f32 v108, v193, v135, -v108
	v_mul_f32_e32 v109, v193, v134
	v_sub_f32_e32 v92, v92, v108
	s_waitcnt lgkmcnt(0)
	v_mul_f32_e32 v108, v198, v200
	v_fmac_f32_e32 v109, v194, v135
	s_waitcnt vmcnt(24)
	v_fma_f32 v108, v197, v213, -v108
	s_add_i32 s52, s50, s39
	v_sub_f32_e32 v101, v101, v109
	v_mul_f32_e32 v109, v197, v200
	v_sub_f32_e32 v92, v92, v108
	v_mov_b32_e32 v108, s52
	v_fmac_f32_e32 v109, v198, v213
	ds_read2_b64 v[197:200], v108 offset1:1
	s_add_i32 s52, s50, s40
	v_mov_b32_e32 v108, s52
	ds_read2_b64 v[201:204], v108 offset1:1
	v_sub_f32_e32 v101, v101, v109
	s_waitcnt lgkmcnt(1)
	v_mul_f32_e32 v108, v200, v232
	v_fma_f32 v108, v199, v236, -v108
	v_mul_f32_e32 v109, v199, v232
	v_sub_f32_e32 v92, v92, v108
	s_waitcnt lgkmcnt(0)
	v_mul_f32_e32 v108, v204, v206
	v_fmac_f32_e32 v109, v200, v236
	v_fma_f32 v108, v203, v210, -v108
	s_add_i32 s52, s50, s41
	v_sub_f32_e32 v101, v101, v109
	v_mul_f32_e32 v109, v203, v206
	v_sub_f32_e32 v108, v92, v108
	v_mov_b32_e32 v92, s52
	v_fmac_f32_e32 v109, v204, v210
	ds_read2_b64 v[203:206], v92 offset1:1
	s_add_i32 s52, s50, s42
	v_mov_b32_e32 v92, s52
	ds_read2_b64 v[207:210], v92 offset1:1
	v_sub_f32_e32 v101, v101, v109
	s_waitcnt vmcnt(14) lgkmcnt(1)
	v_mul_f32_e32 v109, v206, v217
	s_waitcnt vmcnt(0)
	v_fma_f32 v109, v205, v103, -v109
	v_mul_f32_e32 v117, v205, v217
	v_fmac_f32_e32 v117, v206, v103
	v_sub_f32_e32 v103, v108, v109
	s_waitcnt lgkmcnt(0)
	v_mul_f32_e32 v108, v210, v97
	buffer_store_dword v101, off, s[0:3], 0 offset:228
	v_fma_f32 v108, v209, v98, -v108
	v_mul_f32_e32 v97, v209, v97
	s_add_i32 s52, s50, s43
	buffer_load_dword v116, off, s[0:3], 0 offset:152
	buffer_load_dword v164, off, s[0:3], 0 offset:152
	;; [unrolled: 1-line block ×3, first 2 shown]
	v_fmac_f32_e32 v97, v210, v98
	buffer_store_dword v103, off, s[0:3], 0 offset:224
	v_sub_f32_e32 v98, v103, v108
	v_mov_b32_e32 v103, s52
	v_sub_f32_e32 v101, v101, v117
	ds_read2_b64 v[209:212], v103 offset1:1
	s_add_i32 s52, s50, s44
	v_sub_f32_e32 v97, v101, v97
	v_mov_b32_e32 v101, s52
	ds_read2_b64 v[213:216], v101 offset1:1
	s_waitcnt lgkmcnt(1)
	v_mul_f32_e32 v101, v212, v91
	v_mul_f32_e32 v91, v211, v91
	v_fmac_f32_e32 v91, v212, v106
	v_fma_f32 v101, v211, v106, -v101
	v_sub_f32_e32 v91, v97, v91
	s_waitcnt lgkmcnt(0)
	v_mul_f32_e32 v97, v216, v90
	v_sub_f32_e32 v98, v98, v101
	v_fma_f32 v97, v215, v111, -v97
	v_mul_f32_e32 v90, v215, v90
	s_add_i32 s52, s50, s45
	v_fmac_f32_e32 v90, v216, v111
	v_sub_f32_e32 v97, v98, v97
	v_mov_b32_e32 v98, s52
	s_add_i32 s52, s50, s46
	v_sub_f32_e32 v90, v91, v90
	v_mov_b32_e32 v91, s52
	ds_read2_b64 v[219:222], v91 offset1:1
	ds_read2_b64 v[215:218], v98 offset1:1
	buffer_load_dword v108, off, s[0:3], 0 offset:216
	s_add_i32 s52, s50, s47
	v_mul_f32_e32 v98, v177, v223
	v_fmac_f32_e32 v98, v178, v129
	s_waitcnt lgkmcnt(0)
	v_mul_f32_e32 v91, v218, v41
	v_fma_f32 v91, v217, v65, -v91
	v_mul_f32_e32 v41, v217, v41
	v_fmac_f32_e32 v41, v218, v65
	v_sub_f32_e32 v65, v97, v91
	v_mul_f32_e32 v91, v221, v118
	v_sub_f32_e32 v41, v90, v41
	v_fmac_f32_e32 v91, v222, v124
	v_sub_f32_e32 v41, v41, v91
	v_mul_f32_e32 v91, v178, v223
	v_fma_f32 v97, v177, v129, -v91
	v_mul_f32_e32 v91, v159, v138
	v_fma_f32 v101, v158, v140, -v91
	buffer_load_dword v91, off, s[0:3], 0 offset:220
	v_mul_f32_e32 v90, v222, v118
	v_fma_f32 v90, v221, v124, -v90
	v_sub_f32_e32 v65, v65, v90
	v_mov_b32_e32 v90, s52
	ds_read2_b64 v[126:129], v90 offset1:1
	s_add_i32 s52, s50, s48
	v_mov_b32_e32 v90, s52
	ds_read2_b64 v[174:177], v90 offset1:1
	s_add_i32 s52, s50, s49
	s_waitcnt lgkmcnt(1)
	v_mul_f32_e32 v106, v128, v239
	v_fmac_f32_e32 v106, v129, v240
	v_mul_f32_e32 v90, v129, v239
	v_sub_f32_e32 v41, v41, v106
	s_waitcnt lgkmcnt(0)
	v_mul_f32_e32 v106, v176, v130
	v_fma_f32 v90, v128, v240, -v90
	v_fmac_f32_e32 v106, v177, v237
	v_sub_f32_e32 v65, v65, v90
	v_mul_f32_e32 v90, v177, v130
	v_sub_f32_e32 v106, v41, v106
	v_mov_b32_e32 v41, s52
	s_add_i32 s52, s14, 0xffffc800
	buffer_load_dword v111, off, s[0:3], 0 offset:76
	v_mul_f32_e32 v103, v158, v138
	v_fma_f32 v90, v176, v237, -v90
	s_add_i32 s50, s50, s52
	v_mul_f32_e32 v109, v180, v224
	v_mul_f32_e32 v117, v179, v224
	;; [unrolled: 1-line block ×4, first 2 shown]
	v_fmac_f32_e32 v103, v159, v140
	v_sub_f32_e32 v90, v65, v90
	v_mov_b32_e32 v65, s50
	v_fma_f32 v109, v179, v133, -v109
	v_fmac_f32_e32 v117, v180, v133
	v_fma_f32 v118, v160, v141, -v118
	v_fmac_f32_e32 v121, v161, v141
	ds_read2_b64 v[132:135], v41 offset1:1
	ds_read2_b64 v[138:141], v65 offset1:1
	v_mul_f32_e32 v41, v182, v225
	v_fma_f32 v122, v181, v143, -v41
	buffer_load_dword v128, off, s[0:3], 0 offset:220
	buffer_load_dword v159, off, s[0:3], 0 offset:220
	;; [unrolled: 1-line block ×6, first 2 shown]
	v_mul_f32_e32 v124, v181, v225
	v_fmac_f32_e32 v124, v182, v143
	s_add_i32 s50, s37, 0xffffc518
	s_waitcnt vmcnt(7) lgkmcnt(1)
	v_mul_f32_e32 v129, v135, v91
	v_mul_f32_e32 v91, v134, v91
	v_fma_f32 v129, v134, v108, -v129
	v_fmac_f32_e32 v91, v135, v108
	buffer_load_dword v108, off, s[0:3], 0 offset:108
	v_sub_f32_e32 v91, v106, v91
	v_sub_f32_e32 v129, v90, v129
	s_waitcnt lgkmcnt(0)
	v_mul_f32_e32 v90, v141, v91
	v_mul_f32_e32 v91, v140, v91
	v_fma_f32 v90, v140, v129, -v90
	v_fmac_f32_e32 v91, v141, v129
	v_add_u32_e32 v129, s52, v73
	buffer_load_dword v106, off, s[0:3], 0 offset:8
	ds_write_b64 v129, v[90:91]
	buffer_load_dword v129, off, s[0:3], 0 offset:24
	s_nop 0
	buffer_store_dword v90, off, s[0:3], 0 offset:224
	buffer_store_dword v91, off, s[0:3], 0 offset:228
	v_sub_f32_e32 v90, v113, v97
	v_sub_f32_e32 v91, v112, v98
	;; [unrolled: 1-line block ×8, first 2 shown]
	v_mul_f32_e32 v101, v163, v131
	v_mul_f32_e32 v103, v162, v131
	v_sub_f32_e32 v90, v90, v122
	v_sub_f32_e32 v91, v91, v124
	v_fma_f32 v101, v162, v136, -v101
	v_fmac_f32_e32 v103, v163, v136
	v_sub_f32_e32 v90, v90, v101
	v_sub_f32_e32 v91, v91, v103
	v_mul_f32_e32 v101, v167, v226
	v_mul_f32_e32 v103, v166, v226
	v_fma_f32 v101, v166, v137, -v101
	v_fmac_f32_e32 v103, v167, v137
	buffer_load_dword v134, off, s[0:3], 0 offset:40
	buffer_load_dword v135, off, s[0:3], 0 offset:56
	v_sub_f32_e32 v90, v90, v101
	v_sub_f32_e32 v91, v91, v103
	v_mul_f32_e32 v101, v169, v142
	v_mul_f32_e32 v103, v168, v142
	buffer_load_dword v124, off, s[0:3], 0 offset:164
	v_fma_f32 v101, v168, v144, -v101
	v_fmac_f32_e32 v103, v169, v144
	buffer_load_dword v144, off, s[0:3], 0 offset:160
	v_sub_f32_e32 v90, v90, v101
	v_sub_f32_e32 v91, v91, v103
	v_mul_f32_e32 v101, v184, v156
	v_mul_f32_e32 v103, v183, v156
	v_fma_f32 v101, v183, v56, -v101
	v_fmac_f32_e32 v103, v184, v56
	v_sub_f32_e32 v56, v90, v101
	v_sub_f32_e32 v90, v91, v103
	s_waitcnt vmcnt(15)
	v_mul_f32_e32 v91, v171, v111
	v_fma_f32 v91, v170, v227, -v91
	v_sub_f32_e32 v56, v56, v91
	v_mul_f32_e32 v91, v186, v57
	v_mul_f32_e32 v57, v185, v57
	v_fma_f32 v91, v185, v58, -v91
	v_fmac_f32_e32 v57, v186, v58
	v_mul_f32_e32 v58, v173, v60
	v_sub_f32_e32 v56, v56, v91
	v_fma_f32 v58, v172, v61, -v58
	v_sub_f32_e32 v56, v56, v58
	v_mul_f32_e32 v58, v188, v157
	v_fma_f32 v58, v187, v62, -v58
	v_sub_f32_e32 v56, v56, v58
	v_mul_f32_e32 v101, v170, v111
	v_fmac_f32_e32 v101, v171, v227
	v_sub_f32_e32 v90, v90, v101
	v_mul_f32_e32 v60, v172, v60
	v_sub_f32_e32 v57, v90, v57
	v_fmac_f32_e32 v60, v173, v61
	v_sub_f32_e32 v57, v57, v60
	v_mul_f32_e32 v60, v187, v157
	v_fmac_f32_e32 v60, v188, v62
	v_sub_f32_e32 v57, v57, v60
	buffer_load_dword v61, off, s[0:3], 0 offset:224
	v_mul_f32_e32 v62, v195, v229
	v_fmac_f32_e32 v62, v196, v230
	buffer_load_dword v97, off, s[0:3], 0 offset:76
	buffer_load_dword v98, off, s[0:3], 0 offset:80
	;; [unrolled: 1-line block ×4, first 2 shown]
	s_waitcnt vmcnt(13)
	v_mul_f32_e32 v58, v120, v108
	v_fma_f32 v58, v119, v228, -v58
	v_sub_f32_e32 v56, v56, v58
	v_mul_f32_e32 v58, v190, v63
	v_fma_f32 v58, v189, v64, -v58
	v_sub_f32_e32 v56, v56, v58
	;; [unrolled: 3-line block ×3, first 2 shown]
	buffer_load_dword v58, off, s[0:3], 0 offset:228
	v_mul_f32_e32 v60, v119, v108
	v_fmac_f32_e32 v60, v120, v228
	v_sub_f32_e32 v57, v57, v60
	v_mul_f32_e32 v60, v189, v63
	v_fmac_f32_e32 v60, v190, v64
	v_sub_f32_e32 v57, v57, v60
	;; [unrolled: 3-line block ×3, first 2 shown]
	v_sub_f32_e32 v57, v57, v62
	v_mul_f32_e32 v62, v197, v147
	v_fmac_f32_e32 v62, v198, v148
	v_sub_f32_e32 v57, v57, v62
	v_mul_f32_e32 v62, v201, v231
	v_fmac_f32_e32 v62, v202, v233
	;; [unrolled: 3-line block ×3, first 2 shown]
	v_sub_f32_e32 v62, v57, v62
	v_mul_f32_e32 v60, v196, v229
	v_fma_f32 v60, v195, v230, -v60
	v_sub_f32_e32 v56, v56, v60
	v_mul_f32_e32 v60, v198, v147
	v_fma_f32 v60, v197, v148, -v60
	;; [unrolled: 3-line block ×3, first 2 shown]
	s_waitcnt vmcnt(7)
	v_mul_f32_e32 v64, v207, v124
	v_sub_f32_e32 v56, v56, v60
	v_mul_f32_e32 v60, v204, v234
	s_waitcnt vmcnt(6)
	v_fmac_f32_e32 v64, v208, v144
	v_sub_f32_e32 v62, v62, v64
	buffer_load_dword v64, off, s[0:3], 0 offset:244
	v_fma_f32 v60, v203, v116, -v60
	v_mul_f32_e32 v63, v208, v124
	v_sub_f32_e32 v60, v56, v60
	v_fma_f32 v63, v207, v144, -v63
	v_sub_f32_e32 v60, v60, v63
	v_mul_f32_e32 v63, v210, v102
	v_fma_f32 v63, v209, v104, -v63
	v_sub_f32_e32 v60, v60, v63
	v_mul_f32_e32 v63, v214, v86
	v_fma_f32 v63, v213, v100, -v63
	v_mul_f32_e32 v66, v209, v102
	v_sub_f32_e32 v60, v60, v63
	v_mul_f32_e32 v63, v216, v12
	v_fmac_f32_e32 v66, v210, v104
	v_fma_f32 v63, v215, v48, -v63
	v_mul_f32_e32 v12, v215, v12
	v_sub_f32_e32 v62, v62, v66
	v_mul_f32_e32 v66, v213, v86
	v_fmac_f32_e32 v12, v216, v48
	v_sub_f32_e32 v48, v60, v63
	v_mul_f32_e32 v60, v220, v69
	v_fmac_f32_e32 v66, v214, v100
	v_fma_f32 v60, v219, v71, -v60
	v_sub_f32_e32 v62, v62, v66
	v_sub_f32_e32 v48, v48, v60
	v_mul_f32_e32 v60, v127, v154
	v_sub_f32_e32 v12, v62, v12
	v_mul_f32_e32 v62, v219, v69
	v_fma_f32 v60, v126, v155, -v60
	v_fmac_f32_e32 v62, v220, v71
	v_sub_f32_e32 v48, v48, v60
	v_mul_f32_e32 v60, v175, v235
	v_sub_f32_e32 v12, v12, v62
	v_mul_f32_e32 v62, v126, v154
	v_fma_f32 v60, v174, v238, -v60
	v_fmac_f32_e32 v62, v127, v155
	;; [unrolled: 6-line block ×3, first 2 shown]
	v_sub_f32_e32 v60, v48, v60
	v_sub_f32_e32 v12, v12, v62
	v_mul_f32_e32 v62, v132, v128
	v_fmac_f32_e32 v62, v133, v130
	s_waitcnt vmcnt(1)
	v_mul_f32_e32 v63, v139, v58
	v_fma_f32 v63, v138, v61, -v63
	v_sub_f32_e32 v69, v60, v63
	v_mov_b32_e32 v60, s50
	s_sub_i32 s50, s13, 31
	s_lshl_b32 s53, s50, 3
	buffer_load_dword v56, off, s[0:3], 0 offset:164
	buffer_load_dword v57, off, s[0:3], 0 offset:160
	v_sub_f32_e32 v62, v12, v62
	buffer_load_dword v104, off, s[0:3], 0 offset:228
	buffer_load_dword v12, off, s[0:3], 0 offset:228
	;; [unrolled: 1-line block ×4, first 2 shown]
	v_mul_f32_e32 v58, v138, v58
	ds_read_b64 v[66:67], v60
	s_add_i32 s54, s53, s14
	v_fmac_f32_e32 v58, v139, v61
	v_mov_b32_e32 v60, s54
	v_sub_f32_e32 v58, v62, v58
	ds_read2_b64 v[60:63], v60 offset1:1
	s_waitcnt lgkmcnt(1)
	v_mul_f32_e32 v71, v67, v58
	v_mul_f32_e32 v91, v66, v58
	s_lshl_b32 s54, s51, 9
	v_fma_f32 v90, v66, v69, -v71
	v_fmac_f32_e32 v91, v67, v69
	v_add_u32_e32 v58, s54, v73
	buffer_store_dword v90, off, s[0:3], 0 offset:232
	buffer_store_dword v91, off, s[0:3], 0 offset:236
	ds_write_b64 v58, v[90:91]
	s_waitcnt lgkmcnt(1)
	v_mul_f32_e32 v58, v63, v153
	v_fma_f32 v58, v62, v68, -v58
	v_mul_f32_e32 v62, v62, v153
	s_add_i32 s21, s53, s21
	v_fmac_f32_e32 v62, v63, v68
	v_mov_b32_e32 v63, s21
	ds_read2_b64 v[66:69], v63 offset1:1
	s_add_i32 s15, s53, s15
	s_waitcnt vmcnt(8)
	v_sub_f32_e32 v62, v64, v62
	v_mov_b32_e32 v64, s15
	v_sub_f32_e32 v58, v72, v58
	buffer_load_dword v63, off, s[0:3], 0 offset:248
	buffer_load_dword v72, off, s[0:3], 0 offset:252
	ds_read2_b64 v[100:103], v64 offset1:1
	s_waitcnt lgkmcnt(1)
	v_mul_f32_e32 v64, v69, v70
	v_fma_f32 v64, v68, v106, -v64
	v_sub_f32_e32 v58, v58, v64
	v_mul_f32_e32 v68, v68, v70
	s_waitcnt lgkmcnt(0)
	v_mul_f32_e32 v64, v103, v152
	v_fma_f32 v64, v102, v77, -v64
	s_add_i32 s15, s53, s20
	v_fmac_f32_e32 v68, v69, v106
	v_sub_f32_e32 v58, v58, v64
	v_mov_b32_e32 v64, s15
	v_sub_f32_e32 v62, v62, v68
	ds_read2_b64 v[68:71], v64 offset1:1
	s_add_i32 s15, s53, s23
	v_mov_b32_e32 v64, s15
	ds_read2_b64 v[116:119], v64 offset1:1
	v_mul_f32_e32 v86, v102, v152
	s_waitcnt lgkmcnt(1)
	v_mul_f32_e32 v64, v71, v78
	v_fma_f32 v64, v70, v129, -v64
	v_fmac_f32_e32 v86, v103, v77
	v_mul_f32_e32 v70, v70, v78
	v_sub_f32_e32 v58, v58, v64
	s_waitcnt lgkmcnt(0)
	v_mul_f32_e32 v64, v119, v151
	v_sub_f32_e32 v62, v62, v86
	v_fmac_f32_e32 v70, v71, v129
	v_fma_f32 v64, v118, v83, -v64
	s_add_i32 s15, s53, s22
	v_sub_f32_e32 v62, v62, v70
	v_mul_f32_e32 v70, v118, v151
	v_sub_f32_e32 v58, v58, v64
	v_mov_b32_e32 v64, s15
	v_fmac_f32_e32 v70, v119, v83
	ds_read2_b64 v[118:121], v64 offset1:1
	s_add_i32 s15, s53, s27
	v_mov_b32_e32 v64, s15
	ds_read2_b64 v[126:129], v64 offset1:1
	v_sub_f32_e32 v62, v62, v70
	s_waitcnt lgkmcnt(1)
	v_mul_f32_e32 v64, v121, v84
	v_fma_f32 v64, v120, v134, -v64
	v_mul_f32_e32 v70, v120, v84
	v_sub_f32_e32 v58, v58, v64
	s_waitcnt lgkmcnt(0)
	v_mul_f32_e32 v64, v129, v150
	v_fmac_f32_e32 v70, v121, v134
	v_fma_f32 v64, v128, v85, -v64
	s_add_i32 s15, s53, s25
	v_sub_f32_e32 v62, v62, v70
	v_mul_f32_e32 v70, v128, v150
	v_sub_f32_e32 v58, v58, v64
	v_mov_b32_e32 v64, s15
	v_fmac_f32_e32 v70, v129, v85
	ds_read2_b64 v[83:86], v64 offset1:1
	s_add_i32 s15, s53, s29
	v_mov_b32_e32 v64, s15
	ds_read2_b64 v[128:131], v64 offset1:1
	v_sub_f32_e32 v62, v62, v70
	s_waitcnt lgkmcnt(1)
	v_mul_f32_e32 v64, v86, v94
	v_fma_f32 v64, v85, v135, -v64
	v_mul_f32_e32 v70, v85, v94
	v_fmac_f32_e32 v70, v86, v135
	v_sub_f32_e32 v58, v58, v64
	s_waitcnt lgkmcnt(0)
	v_mul_f32_e32 v64, v131, v114
	v_sub_f32_e32 v62, v62, v70
	v_fma_f32 v64, v130, v40, -v64
	v_mul_f32_e32 v70, v130, v114
	s_add_i32 s15, s53, s28
	v_fmac_f32_e32 v70, v131, v40
	v_sub_f32_e32 v40, v58, v64
	v_mov_b32_e32 v58, s15
	ds_read2_b64 v[111:114], v58 offset1:1
	s_add_i32 s15, s53, s31
	v_sub_f32_e32 v58, v62, v70
	v_mov_b32_e32 v62, s15
	ds_read2_b64 v[130:133], v62 offset1:1
	s_waitcnt lgkmcnt(1)
	v_mul_f32_e32 v62, v114, v97
	v_fma_f32 v62, v113, v149, -v62
	v_mul_f32_e32 v64, v113, v97
	v_sub_f32_e32 v40, v40, v62
	s_waitcnt lgkmcnt(0)
	v_mul_f32_e32 v62, v133, v42
	v_fmac_f32_e32 v64, v114, v149
	v_fma_f32 v62, v132, v98, -v62
	v_mul_f32_e32 v42, v132, v42
	s_add_i32 s15, s53, s30
	v_sub_f32_e32 v58, v58, v64
	v_fmac_f32_e32 v42, v133, v98
	v_sub_f32_e32 v40, v40, v62
	v_mov_b32_e32 v62, s15
	s_add_i32 s15, s53, s34
	ds_read2_b64 v[132:135], v62 offset1:1
	v_sub_f32_e32 v42, v58, v42
	v_mov_b32_e32 v58, s15
	ds_read2_b64 v[136:139], v58 offset1:1
	s_add_i32 s15, s53, s33
	s_waitcnt lgkmcnt(1)
	v_mul_f32_e32 v58, v135, v43
	v_mul_f32_e32 v43, v134, v43
	v_fma_f32 v58, v134, v44, -v58
	v_fmac_f32_e32 v43, v135, v44
	s_waitcnt lgkmcnt(0)
	v_mul_f32_e32 v44, v138, v107
	v_sub_f32_e32 v42, v42, v43
	v_mul_f32_e32 v43, v139, v107
	v_fmac_f32_e32 v44, v139, v45
	buffer_load_dword v62, off, s[0:3], 0 offset:172
	v_sub_f32_e32 v40, v40, v58
	v_fma_f32 v43, v138, v45, -v43
	v_sub_f32_e32 v58, v42, v44
	v_mov_b32_e32 v42, s15
	buffer_load_dword v70, off, s[0:3], 0 offset:168
	v_sub_f32_e32 v40, v40, v43
	ds_read2_b64 v[42:45], v42 offset1:1
	s_add_i32 s15, s53, s36
	v_mov_b32_e32 v64, s15
	ds_read2_b64 v[106:109], v64 offset1:1
	s_add_i32 s15, s53, s35
	s_waitcnt lgkmcnt(1)
	v_mul_f32_e32 v64, v45, v140
	v_fma_f32 v64, v44, v115, -v64
	v_mul_f32_e32 v44, v44, v140
	v_fmac_f32_e32 v44, v45, v115
	s_waitcnt lgkmcnt(0)
	v_mul_f32_e32 v45, v109, v46
	v_sub_f32_e32 v40, v40, v64
	v_fma_f32 v45, v108, v141, -v45
	v_mul_f32_e32 v46, v108, v46
	v_sub_f32_e32 v40, v40, v45
	v_mov_b32_e32 v45, s15
	v_fmac_f32_e32 v46, v109, v141
	ds_read2_b64 v[138:141], v45 offset1:1
	s_add_i32 s15, s53, s38
	v_mov_b32_e32 v45, s15
	ds_read2_b64 v[147:150], v45 offset1:1
	v_sub_f32_e32 v44, v58, v44
	v_sub_f32_e32 v44, v44, v46
	s_waitcnt lgkmcnt(1)
	v_mul_f32_e32 v46, v140, v47
	v_mul_f32_e32 v45, v141, v47
	v_fmac_f32_e32 v46, v141, v49
	v_fma_f32 v45, v140, v49, -v45
	v_sub_f32_e32 v49, v44, v46
	s_waitcnt lgkmcnt(0)
	v_mul_f32_e32 v44, v150, v110
	v_sub_f32_e32 v40, v40, v45
	v_fma_f32 v44, v149, v145, -v44
	s_add_i32 s15, s53, s39
	v_mul_f32_e32 v58, v149, v110
	v_sub_f32_e32 v40, v40, v44
	v_mov_b32_e32 v44, s15
	v_fmac_f32_e32 v58, v150, v145
	ds_read2_b64 v[44:47], v44 offset1:1
	s_add_i32 s15, s53, s40
	v_sub_f32_e32 v49, v49, v58
	v_mov_b32_e32 v58, s15
	ds_read2_b64 v[140:143], v58 offset1:1
	s_waitcnt lgkmcnt(1)
	v_mul_f32_e32 v58, v47, v95
	v_fma_f32 v58, v46, v96, -v58
	v_mul_f32_e32 v46, v46, v95
	v_fmac_f32_e32 v46, v47, v96
	s_waitcnt lgkmcnt(0)
	v_mul_f32_e32 v47, v143, v123
	v_sub_f32_e32 v40, v40, v58
	v_fma_f32 v47, v142, v146, -v47
	s_add_i32 s15, s53, s41
	v_sub_f32_e32 v40, v40, v47
	v_mov_b32_e32 v47, s15
	ds_read2_b64 v[94:97], v47 offset1:1
	s_add_i32 s15, s53, s42
	v_mov_b32_e32 v47, s15
	v_sub_f32_e32 v46, v49, v46
	v_mul_f32_e32 v49, v142, v123
	ds_read2_b64 v[120:123], v47 offset1:1
	v_fmac_f32_e32 v49, v143, v146
	v_sub_f32_e32 v46, v46, v49
	s_waitcnt lgkmcnt(1)
	v_mul_f32_e32 v47, v97, v125
	v_mul_f32_e32 v49, v96, v125
	v_fma_f32 v47, v96, v164, -v47
	v_fmac_f32_e32 v49, v97, v164
	v_sub_f32_e32 v40, v40, v47
	v_sub_f32_e32 v46, v46, v49
	s_waitcnt lgkmcnt(0)
	v_mul_f32_e32 v47, v123, v124
	v_mul_f32_e32 v49, v122, v124
	v_fma_f32 v47, v122, v144, -v47
	v_fmac_f32_e32 v49, v123, v144
	s_add_i32 s15, s53, s43
	v_sub_f32_e32 v40, v40, v47
	v_sub_f32_e32 v46, v46, v49
	v_mov_b32_e32 v47, s15
	s_add_i32 s15, s53, s44
	buffer_load_dword v49, off, s[0:3], 0 offset:236
	ds_read2_b64 v[122:125], v47 offset1:1
	buffer_store_dword v46, off, s[0:3], 0 offset:244
	v_mov_b32_e32 v47, s15
	ds_read2_b64 v[142:145], v47 offset1:1
	buffer_load_dword v47, off, s[0:3], 0 offset:232
	buffer_load_dword v58, off, s[0:3], 0 offset:172
	s_waitcnt vmcnt(5) lgkmcnt(1)
	v_mul_f32_e32 v64, v125, v62
	v_mul_f32_e32 v62, v124, v62
	s_waitcnt vmcnt(4)
	v_fmac_f32_e32 v62, v125, v70
	v_fma_f32 v64, v124, v70, -v64
	v_sub_f32_e32 v46, v46, v62
	s_waitcnt lgkmcnt(0)
	v_mul_f32_e32 v62, v145, v87
	v_sub_f32_e32 v40, v40, v64
	v_fma_f32 v62, v144, v88, -v62
	s_add_i32 s15, s53, s45
	buffer_store_dword v40, off, s[0:3], 0 offset:240
	v_mul_f32_e32 v64, v144, v87
	v_sub_f32_e32 v40, v40, v62
	v_mov_b32_e32 v62, s15
	v_fmac_f32_e32 v64, v145, v88
	ds_read2_b64 v[85:88], v62 offset1:1
	s_add_i32 s15, s53, s46
	v_mov_b32_e32 v62, s15
	ds_read2_b64 v[149:152], v62 offset1:1
	v_sub_f32_e32 v46, v46, v64
	s_waitcnt lgkmcnt(1)
	v_mul_f32_e32 v62, v88, v5
	v_fma_f32 v62, v87, v38, -v62
	v_mul_f32_e32 v5, v87, v5
	v_fmac_f32_e32 v5, v88, v38
	v_sub_f32_e32 v38, v40, v62
	s_waitcnt lgkmcnt(0)
	v_mul_f32_e32 v40, v152, v4
	v_fma_f32 v40, v151, v9, -v40
	v_mul_f32_e32 v4, v151, v4
	s_add_i32 s15, s53, s47
	v_sub_f32_e32 v5, v46, v5
	v_fmac_f32_e32 v4, v152, v9
	v_sub_f32_e32 v9, v38, v40
	v_mov_b32_e32 v38, s15
	s_add_i32 s15, s53, s48
	v_sub_f32_e32 v4, v5, v4
	v_mov_b32_e32 v5, s15
	ds_read2_b64 v[155:158], v5 offset1:1
	ds_read2_b64 v[151:154], v38 offset1:1
	s_add_i32 s15, s53, s49
	s_addk_i32 s14, 0xc400
	buffer_load_dword v71, off, s[0:3], 0 offset:168
	buffer_load_dword v40, off, s[0:3], 0 offset:232
	s_waitcnt lgkmcnt(0)
	v_mul_f32_e32 v5, v154, v89
	v_fma_f32 v5, v153, v99, -v5
	v_sub_f32_e32 v5, v9, v5
	v_mul_f32_e32 v9, v158, v93
	v_fma_f32 v9, v157, v105, -v9
	v_sub_f32_e32 v5, v5, v9
	v_mov_b32_e32 v9, s15
	v_mul_f32_e32 v38, v153, v89
	ds_read2_b64 v[87:90], v9 offset1:1
	s_add_i32 s15, s53, s52
	v_mov_b32_e32 v9, s15
	v_fmac_f32_e32 v38, v154, v99
	ds_read2_b64 v[96:99], v9 offset1:1
	s_waitcnt lgkmcnt(1)
	v_mul_f32_e32 v9, v90, v159
	v_sub_f32_e32 v4, v4, v38
	v_mul_f32_e32 v38, v157, v93
	v_fma_f32 v9, v89, v160, -v9
	v_fmac_f32_e32 v38, v158, v105
	v_sub_f32_e32 v5, v5, v9
	s_waitcnt lgkmcnt(0)
	v_mul_f32_e32 v9, v99, v104
	v_sub_f32_e32 v4, v4, v38
	v_mul_f32_e32 v38, v89, v159
	v_fma_f32 v9, v98, v161, -v9
	s_add_i32 s15, s53, s54
	v_fmac_f32_e32 v38, v90, v160
	v_sub_f32_e32 v5, v5, v9
	v_mov_b32_e32 v9, s15
	v_sub_f32_e32 v4, v4, v38
	v_mul_f32_e32 v38, v98, v104
	ds_read2_b64 v[102:105], v9 offset1:1
	s_add_i32 s15, s53, s14
	v_mov_b32_e32 v9, s15
	ds_read2_b64 v[157:160], v9 offset1:1
	v_fmac_f32_e32 v38, v99, v161
	v_sub_f32_e32 v4, v4, v38
	s_waitcnt vmcnt(6) lgkmcnt(1)
	v_mul_f32_e32 v38, v105, v49
	v_mul_f32_e32 v46, v104, v49
	s_waitcnt vmcnt(4)
	v_fma_f32 v38, v104, v47, -v38
	v_fmac_f32_e32 v46, v105, v47
	v_sub_f32_e32 v38, v5, v38
	v_sub_f32_e32 v5, v4, v46
	s_waitcnt lgkmcnt(0)
	v_mul_f32_e32 v4, v160, v5
	v_mul_f32_e32 v5, v159, v5
	v_fma_f32 v4, v159, v38, -v4
	v_fmac_f32_e32 v5, v160, v38
	v_add_u32_e32 v38, s14, v73
	buffer_load_dword v9, off, s[0:3], 0 offset:236
	s_nop 0
	buffer_store_dword v4, off, s[0:3], 0 offset:240
	buffer_store_dword v5, off, s[0:3], 0 offset:244
	ds_write_b64 v38, v[4:5]
	v_mul_f32_e32 v4, v61, v15
	v_mul_f32_e32 v5, v60, v15
	v_fma_f32 v4, v60, v3, -v4
	v_fmac_f32_e32 v5, v61, v3
	v_sub_f32_e32 v3, v63, v4
	v_sub_f32_e32 v4, v72, v5
	v_mul_f32_e32 v5, v67, v8
	v_fma_f32 v5, v66, v7, -v5
	v_mul_f32_e32 v8, v66, v8
	v_fmac_f32_e32 v8, v67, v7
	v_sub_f32_e32 v3, v3, v5
	v_mul_f32_e32 v5, v101, v23
	v_mul_f32_e32 v7, v100, v23
	v_sub_f32_e32 v4, v4, v8
	v_fma_f32 v5, v100, v10, -v5
	v_fmac_f32_e32 v7, v101, v10
	v_sub_f32_e32 v3, v3, v5
	v_sub_f32_e32 v4, v4, v7
	v_mul_f32_e32 v5, v69, v17
	v_mul_f32_e32 v7, v68, v17
	v_fma_f32 v5, v68, v16, -v5
	v_fmac_f32_e32 v7, v69, v16
	v_sub_f32_e32 v3, v3, v5
	v_sub_f32_e32 v4, v4, v7
	v_mul_f32_e32 v5, v117, v29
	v_mul_f32_e32 v7, v116, v29
	;; [unrolled: 6-line block ×6, first 2 shown]
	v_fma_f32 v5, v128, v19, -v5
	v_fmac_f32_e32 v7, v129, v19
	v_sub_f32_e32 v3, v3, v5
	v_sub_f32_e32 v4, v4, v7
	v_mul_f32_e32 v5, v112, v31
	buffer_load_dword v7, off, s[0:3], 0 offset:180
	buffer_load_dword v8, off, s[0:3], 0 offset:176
	v_mul_f32_e32 v10, v111, v31
	v_fma_f32 v5, v111, v20, -v5
	v_fmac_f32_e32 v10, v112, v20
	v_sub_f32_e32 v3, v3, v5
	v_sub_f32_e32 v4, v4, v10
	v_mul_f32_e32 v5, v131, v39
	v_mul_f32_e32 v10, v130, v39
	v_fma_f32 v5, v130, v27, -v5
	v_fmac_f32_e32 v10, v131, v27
	v_sub_f32_e32 v3, v3, v5
	v_sub_f32_e32 v4, v4, v10
	v_mul_f32_e32 v5, v133, v32
	;; [unrolled: 6-line block ×7, first 2 shown]
	v_mul_f32_e32 v10, v147, v81
	v_fma_f32 v5, v147, v82, -v5
	v_fmac_f32_e32 v10, v148, v82
	v_sub_f32_e32 v3, v3, v5
	v_sub_f32_e32 v4, v4, v10
	buffer_load_dword v5, off, s[0:3], 0 offset:244
	buffer_load_dword v10, off, s[0:3], 0 offset:240
	v_mul_f32_e32 v13, v45, v51
	v_fma_f32 v13, v44, v52, -v13
	v_mul_f32_e32 v14, v44, v51
	v_fmac_f32_e32 v14, v45, v52
	v_sub_f32_e32 v3, v3, v13
	v_mul_f32_e32 v13, v141, v75
	v_sub_f32_e32 v4, v4, v14
	v_fma_f32 v13, v140, v76, -v13
	v_mul_f32_e32 v14, v140, v75
	v_fmac_f32_e32 v14, v141, v76
	v_sub_f32_e32 v3, v3, v13
	v_mul_f32_e32 v13, v95, v79
	v_sub_f32_e32 v4, v4, v14
	;; [unrolled: 6-line block ×3, first 2 shown]
	v_fma_f32 v13, v120, v57, -v13
	v_mul_f32_e32 v14, v120, v56
	v_fmac_f32_e32 v14, v121, v57
	v_sub_f32_e32 v3, v3, v13
	s_waitcnt vmcnt(10)
	v_mul_f32_e32 v13, v123, v58
	v_sub_f32_e32 v4, v4, v14
	s_waitcnt vmcnt(8)
	v_fma_f32 v13, v122, v71, -v13
	v_mul_f32_e32 v14, v122, v58
	v_fmac_f32_e32 v14, v123, v71
	v_sub_f32_e32 v3, v3, v13
	v_sub_f32_e32 v4, v4, v14
	s_waitcnt vmcnt(3)
	v_mul_f32_e32 v13, v143, v7
	v_mul_f32_e32 v7, v142, v7
	s_waitcnt vmcnt(2)
	v_fmac_f32_e32 v7, v143, v8
	v_sub_f32_e32 v4, v4, v7
	v_mul_f32_e32 v7, v86, v6
	v_mul_f32_e32 v6, v85, v6
	v_fmac_f32_e32 v6, v86, v11
	v_sub_f32_e32 v4, v4, v6
	v_mul_f32_e32 v6, v150, v1
	v_mul_f32_e32 v1, v149, v1
	v_fma_f32 v13, v142, v8, -v13
	v_fmac_f32_e32 v1, v150, v2
	v_sub_f32_e32 v3, v3, v13
	v_fma_f32 v7, v85, v11, -v7
	v_sub_f32_e32 v1, v4, v1
	v_mul_f32_e32 v4, v151, v54
	v_sub_f32_e32 v3, v3, v7
	v_fma_f32 v6, v149, v2, -v6
	v_fmac_f32_e32 v4, v152, v55
	v_sub_f32_e32 v2, v3, v6
	v_mul_f32_e32 v3, v152, v54
	v_sub_f32_e32 v1, v1, v4
	v_mul_f32_e32 v4, v155, v59
	v_fma_f32 v3, v151, v55, -v3
	v_fmac_f32_e32 v4, v156, v80
	v_sub_f32_e32 v2, v2, v3
	v_mul_f32_e32 v3, v156, v59
	v_sub_f32_e32 v1, v1, v4
	v_mul_f32_e32 v4, v87, v41
	v_fma_f32 v3, v155, v80, -v3
	v_fmac_f32_e32 v4, v88, v65
	v_sub_f32_e32 v2, v2, v3
	v_mul_f32_e32 v3, v88, v41
	v_sub_f32_e32 v1, v1, v4
	v_mul_f32_e32 v4, v96, v12
	v_fma_f32 v3, v87, v65, -v3
	v_fmac_f32_e32 v4, v97, v48
	v_sub_f32_e32 v2, v2, v3
	v_mul_f32_e32 v3, v97, v12
	v_sub_f32_e32 v1, v1, v4
	v_mul_f32_e32 v4, v102, v9
	v_fma_f32 v3, v96, v48, -v3
	v_fmac_f32_e32 v4, v103, v40
	v_sub_f32_e32 v2, v2, v3
	v_mul_f32_e32 v3, v103, v9
	v_sub_f32_e32 v4, v1, v4
	s_add_i32 s14, s37, 0xffffc108
	v_fma_f32 v3, v102, v40, -v3
	s_waitcnt vmcnt(1)
	v_mul_f32_e32 v1, v158, v5
	s_waitcnt vmcnt(0)
	v_fma_f32 v6, v157, v10, -v1
	v_mov_b32_e32 v1, s14
	v_sub_f32_e32 v3, v2, v3
	ds_read_b64 v[1:2], v1
	v_mul_f32_e32 v5, v157, v5
	v_fmac_f32_e32 v5, v158, v10
	v_sub_f32_e32 v4, v4, v5
	v_sub_f32_e32 v6, v3, v6
	s_waitcnt lgkmcnt(0)
	v_mul_f32_e32 v3, v2, v4
	v_mul_f32_e32 v4, v1, v4
	s_mov_b32 s51, 31
	v_fma_f32 v3, v1, v6, -v3
	v_fmac_f32_e32 v4, v2, v6
	v_lshl_add_u32 v1, s50, 9, v73
	s_cmp_gt_i32 s13, 62
	buffer_store_dword v3, off, s[0:3], 0 offset:248
	buffer_store_dword v4, off, s[0:3], 0 offset:252
	ds_write_b64 v1, v[3:4]
	s_cbranch_scc0 .LBB173_48
.LBB173_44:                             ; =>This Loop Header: Depth=1
                                        ;     Child Loop BB173_46 Depth 2
	s_lshl_b32 s14, s51, 9
	v_add_u32_e32 v58, s14, v73
	v_add_u32_e32 v3, 0xfffffe00, v58
	;; [unrolled: 1-line block ×4, first 2 shown]
	ds_read_b64 v[1:2], v58
	ds_read_b64 v[5:6], v3
	;; [unrolled: 1-line block ×4, first 2 shown]
	v_add_u32_e32 v10, 0xfffff400, v58
	s_waitcnt lgkmcnt(3)
	buffer_store_dword v2, off, s[0:3], 0 offset:4
	buffer_store_dword v1, off, s[0:3], 0
	s_waitcnt lgkmcnt(2)
	buffer_store_dword v6, off, s[0:3], 0 offset:12
	buffer_store_dword v5, off, s[0:3], 0 offset:8
	s_waitcnt lgkmcnt(1)
	buffer_store_dword v4, off, s[0:3], 0 offset:20
	buffer_store_dword v3, off, s[0:3], 0 offset:16
	s_waitcnt lgkmcnt(0)
	buffer_store_dword v8, off, s[0:3], 0 offset:28
	buffer_store_dword v7, off, s[0:3], 0 offset:24
	v_add_u32_e32 v6, 0xfffff800, v58
	ds_read_b64 v[8:9], v6
	v_add_u32_e32 v6, 0xfffff600, v58
	v_add_u32_e32 v11, 0xfffff200, v58
	ds_read_b64 v[12:13], v6
	ds_read_b64 v[14:15], v10
	;; [unrolled: 1-line block ×3, first 2 shown]
	s_waitcnt lgkmcnt(3)
	buffer_store_dword v9, off, s[0:3], 0 offset:36
	buffer_store_dword v8, off, s[0:3], 0 offset:32
	s_waitcnt lgkmcnt(2)
	buffer_store_dword v13, off, s[0:3], 0 offset:44
	buffer_store_dword v12, off, s[0:3], 0 offset:40
	;; [unrolled: 3-line block ×4, first 2 shown]
	v_add_u32_e32 v6, 0xfffff000, v58
	ds_read_b64 v[15:16], v6
	v_add_u32_e32 v6, 0xffffee00, v58
	v_add_u32_e32 v9, 0xffffec00, v58
	;; [unrolled: 1-line block ×3, first 2 shown]
	ds_read_b64 v[21:22], v6
	ds_read_b64 v[19:20], v9
	ds_read_b64 v[17:18], v11
	s_waitcnt lgkmcnt(3)
	buffer_store_dword v16, off, s[0:3], 0 offset:68
	buffer_store_dword v15, off, s[0:3], 0 offset:64
	s_waitcnt lgkmcnt(2)
	buffer_store_dword v21, off, s[0:3], 0 offset:72
	buffer_store_dword v22, off, s[0:3], 0 offset:76
	;; [unrolled: 3-line block ×4, first 2 shown]
	v_add_u32_e32 v6, 0xffffe800, v58
	ds_read_b64 v[22:23], v6
	buffer_load_dword v6, off, s[0:3], 0 offset:12
	v_add_u32_e32 v9, 0xffffe600, v58
	v_add_u32_e32 v11, 0xffffe400, v58
	v_add_u32_e32 v20, 0xffffe200, v58
	ds_read_b64 v[28:29], v9
	ds_read_b64 v[24:25], v11
	ds_read_b64 v[26:27], v20
	s_waitcnt lgkmcnt(3)
	buffer_store_dword v22, off, s[0:3], 0 offset:96
	buffer_store_dword v23, off, s[0:3], 0 offset:100
	s_waitcnt lgkmcnt(2)
	buffer_store_dword v28, off, s[0:3], 0 offset:104
	buffer_store_dword v29, off, s[0:3], 0 offset:108
	s_waitcnt lgkmcnt(1)
	buffer_store_dword v25, off, s[0:3], 0 offset:116
	buffer_store_dword v24, off, s[0:3], 0 offset:112
	s_waitcnt lgkmcnt(0)
	buffer_store_dword v26, off, s[0:3], 0 offset:120
	buffer_store_dword v27, off, s[0:3], 0 offset:124
	v_add_u32_e32 v9, 0xffffe000, v58
	ds_read_b64 v[29:30], v9
	v_add_u32_e32 v9, 0xffffde00, v58
	v_add_u32_e32 v11, 0xffffdc00, v58
	v_add_u32_e32 v20, 0xffffda00, v58
	ds_read_b64 v[33:34], v9
	ds_read_b64 v[35:36], v11
	ds_read_b64 v[31:32], v20
	s_waitcnt lgkmcnt(3)
	buffer_store_dword v29, off, s[0:3], 0 offset:128
	buffer_store_dword v30, off, s[0:3], 0 offset:132
	s_waitcnt lgkmcnt(2)
	buffer_store_dword v33, off, s[0:3], 0 offset:136
	buffer_store_dword v34, off, s[0:3], 0 offset:140
	s_waitcnt lgkmcnt(1)
	buffer_store_dword v35, off, s[0:3], 0 offset:144
	buffer_store_dword v36, off, s[0:3], 0 offset:148
	s_waitcnt lgkmcnt(0)
	buffer_store_dword v32, off, s[0:3], 0 offset:156
	buffer_store_dword v31, off, s[0:3], 0 offset:152
	v_add_u32_e32 v9, 0xffffd800, v58
	ds_read_b64 v[36:37], v9
	;; [unrolled: 20-line block ×4, first 2 shown]
	v_add_u32_e32 v9, 0xffffc600, v58
	v_add_u32_e32 v11, 0xffffc400, v58
	;; [unrolled: 1-line block ×3, first 2 shown]
	ds_read_b64 v[54:55], v9
	ds_read_b64 v[56:57], v11
	;; [unrolled: 1-line block ×3, first 2 shown]
	s_mov_b32 s13, s51
	s_cmp_le_i32 s9, s51
	s_waitcnt lgkmcnt(3)
	buffer_store_dword v50, off, s[0:3], 0 offset:224
	buffer_store_dword v51, off, s[0:3], 0 offset:228
	s_waitcnt lgkmcnt(2)
	buffer_store_dword v54, off, s[0:3], 0 offset:232
	buffer_store_dword v55, off, s[0:3], 0 offset:236
	;; [unrolled: 3-line block ×4, first 2 shown]
	s_cbranch_scc1 .LBB173_43
; %bb.45:                               ;   in Loop: Header=BB173_44 Depth=1
	buffer_load_dword v65, off, s[0:3], 0 offset:28
	buffer_load_dword v64, off, s[0:3], 0 offset:36
	;; [unrolled: 1-line block ×20, first 2 shown]
	s_lshl_b32 s15, s13, 3
	s_add_i32 s15, s12, s15
	v_mov_b32_e32 v66, v74
	s_mov_b32 s20, s9
.LBB173_46:                             ;   Parent Loop BB173_44 Depth=1
                                        ; =>  This Inner Loop Header: Depth=2
	v_mov_b32_e32 v131, s15
	ds_read_b64 v[71:72], v66
	ds_read2_b64 v[67:70], v131 offset0:30 offset1:31
	ds_read2_b64 v[75:78], v131 offset0:28 offset1:29
	ds_read2_b64 v[79:82], v131 offset0:26 offset1:27
	ds_read2_b64 v[83:86], v131 offset0:24 offset1:25
	ds_read2_b64 v[87:90], v131 offset0:22 offset1:23
	ds_read2_b64 v[91:94], v131 offset0:20 offset1:21
	ds_read2_b64 v[95:98], v131 offset0:18 offset1:19
	ds_read2_b64 v[99:102], v131 offset0:16 offset1:17
	ds_read2_b64 v[103:106], v131 offset0:14 offset1:15
	ds_read2_b64 v[107:110], v131 offset0:12 offset1:13
	ds_read2_b64 v[111:114], v131 offset0:10 offset1:11
	ds_read2_b64 v[115:118], v131 offset0:8 offset1:9
	ds_read2_b64 v[119:122], v131 offset0:6 offset1:7
	ds_read2_b64 v[123:126], v131 offset0:4 offset1:5
	ds_read2_b64 v[127:130], v131 offset0:2 offset1:3
	ds_read2_b64 v[131:134], v131 offset1:1
	s_add_i32 s20, s20, -1
	s_addk_i32 s15, 0xfe00
	v_add_u32_e32 v66, 0xfffffe00, v66
	s_waitcnt lgkmcnt(14)
	v_mul_f32_e32 v135, v70, v72
	v_mul_f32_e32 v70, v70, v71
	;; [unrolled: 1-line block ×8, first 2 shown]
	s_waitcnt lgkmcnt(13)
	v_mul_f32_e32 v139, v82, v72
	v_mul_f32_e32 v82, v82, v71
	v_mul_f32_e32 v140, v80, v72
	v_mul_f32_e32 v80, v80, v71
	s_waitcnt lgkmcnt(12)
	v_mul_f32_e32 v141, v86, v72
	v_mul_f32_e32 v86, v86, v71
	v_mul_f32_e32 v142, v84, v72
	v_mul_f32_e32 v84, v84, v71
	s_waitcnt lgkmcnt(11)
	v_mul_f32_e32 v143, v90, v72
	v_mul_f32_e32 v90, v90, v71
	v_mul_f32_e32 v144, v88, v72
	v_mul_f32_e32 v88, v88, v71
	s_waitcnt lgkmcnt(10)
	v_mul_f32_e32 v145, v94, v72
	v_mul_f32_e32 v94, v94, v71
	v_mul_f32_e32 v146, v92, v72
	v_mul_f32_e32 v92, v92, v71
	s_waitcnt lgkmcnt(9)
	v_mul_f32_e32 v147, v98, v72
	v_mul_f32_e32 v98, v98, v71
	v_mul_f32_e32 v148, v96, v72
	v_mul_f32_e32 v96, v96, v71
	s_waitcnt lgkmcnt(8)
	v_mul_f32_e32 v149, v102, v72
	v_mul_f32_e32 v102, v102, v71
	v_mul_f32_e32 v150, v100, v72
	v_mul_f32_e32 v100, v100, v71
	s_waitcnt lgkmcnt(7)
	v_mul_f32_e32 v151, v106, v72
	v_mul_f32_e32 v106, v106, v71
	v_mul_f32_e32 v152, v104, v72
	v_mul_f32_e32 v104, v104, v71
	s_waitcnt lgkmcnt(6)
	v_mul_f32_e32 v153, v110, v72
	v_mul_f32_e32 v110, v110, v71
	v_mul_f32_e32 v154, v108, v72
	v_mul_f32_e32 v108, v108, v71
	s_waitcnt lgkmcnt(5)
	v_mul_f32_e32 v155, v114, v72
	v_mul_f32_e32 v114, v114, v71
	v_mul_f32_e32 v156, v112, v72
	v_mul_f32_e32 v112, v112, v71
	s_waitcnt lgkmcnt(4)
	v_mul_f32_e32 v157, v118, v72
	v_mul_f32_e32 v118, v118, v71
	v_mul_f32_e32 v158, v116, v72
	v_mul_f32_e32 v116, v116, v71
	s_waitcnt lgkmcnt(3)
	v_mul_f32_e32 v159, v122, v72
	v_mul_f32_e32 v122, v122, v71
	v_mul_f32_e32 v160, v120, v72
	v_mul_f32_e32 v120, v120, v71
	s_waitcnt lgkmcnt(2)
	v_mul_f32_e32 v161, v126, v72
	v_mul_f32_e32 v126, v126, v71
	v_mul_f32_e32 v162, v124, v72
	v_mul_f32_e32 v124, v124, v71
	s_waitcnt lgkmcnt(1)
	v_mul_f32_e32 v163, v130, v72
	v_mul_f32_e32 v130, v130, v71
	v_mul_f32_e32 v164, v128, v72
	v_mul_f32_e32 v128, v128, v71
	s_waitcnt lgkmcnt(0)
	v_mul_f32_e32 v165, v134, v72
	v_mul_f32_e32 v134, v134, v71
	v_mul_f32_e32 v166, v132, v72
	v_mul_f32_e32 v132, v132, v71
	v_fma_f32 v135, v69, v71, -v135
	v_fmac_f32_e32 v70, v69, v72
	v_fma_f32 v69, v67, v71, -v136
	v_fmac_f32_e32 v68, v67, v72
	;; [unrolled: 2-line block ×32, first 2 shown]
	s_cmp_le_i32 s20, s13
	v_sub_f32_e32 v1, v1, v135
	v_sub_f32_e32 v2, v2, v70
	;; [unrolled: 1-line block ×3, first 2 shown]
	s_waitcnt vmcnt(60)
	v_sub_f32_e32 v6, v6, v68
	v_sub_f32_e32 v3, v3, v67
	v_sub_f32_e32 v4, v4, v78
	v_sub_f32_e32 v7, v7, v77
	s_waitcnt vmcnt(19)
	v_sub_f32_e32 v65, v65, v76
	v_sub_f32_e32 v8, v8, v75
	s_waitcnt vmcnt(18)
	v_sub_f32_e32 v64, v64, v82
	v_sub_f32_e32 v12, v12, v81
	v_sub_f32_e32 v13, v13, v80
	v_sub_f32_e32 v14, v14, v79
	s_waitcnt vmcnt(17)
	v_sub_f32_e32 v63, v63, v86
	v_sub_f32_e32 v10, v10, v85
	s_waitcnt vmcnt(16)
	v_sub_f32_e32 v62, v62, v84
	v_sub_f32_e32 v15, v15, v83
	v_sub_f32_e32 v16, v16, v90
	v_sub_f32_e32 v21, v21, v89
	s_waitcnt vmcnt(15)
	v_sub_f32_e32 v61, v61, v88
	v_sub_f32_e32 v19, v19, v87
	s_waitcnt vmcnt(14)
	v_sub_f32_e32 v60, v60, v94
	v_sub_f32_e32 v17, v17, v93
	v_sub_f32_e32 v18, v18, v92
	v_sub_f32_e32 v22, v22, v91
	s_waitcnt vmcnt(13)
	v_sub_f32_e32 v59, v59, v98
	v_sub_f32_e32 v28, v28, v97
	s_waitcnt vmcnt(12)
	v_sub_f32_e32 v57, v57, v96
	v_sub_f32_e32 v24, v24, v95
	v_sub_f32_e32 v25, v25, v102
	v_sub_f32_e32 v26, v26, v101
	s_waitcnt vmcnt(11)
	v_sub_f32_e32 v53, v53, v100
	v_sub_f32_e32 v29, v29, v99
	s_waitcnt vmcnt(10)
	v_sub_f32_e32 v51, v51, v106
	v_sub_f32_e32 v33, v33, v105
	v_sub_f32_e32 v34, v34, v104
	v_sub_f32_e32 v35, v35, v103
	s_waitcnt vmcnt(9)
	v_sub_f32_e32 v48, v48, v110
	v_sub_f32_e32 v31, v31, v109
	s_waitcnt vmcnt(8)
	v_sub_f32_e32 v44, v44, v108
	v_sub_f32_e32 v36, v36, v107
	v_sub_f32_e32 v37, v37, v114
	v_sub_f32_e32 v42, v42, v113
	s_waitcnt vmcnt(7)
	v_sub_f32_e32 v41, v41, v112
	v_sub_f32_e32 v40, v40, v111
	s_waitcnt vmcnt(6)
	v_sub_f32_e32 v32, v32, v118
	v_sub_f32_e32 v38, v38, v117
	v_sub_f32_e32 v39, v39, v116
	v_sub_f32_e32 v43, v43, v115
	s_waitcnt vmcnt(5)
	v_sub_f32_e32 v30, v30, v122
	v_sub_f32_e32 v49, v49, v121
	s_waitcnt vmcnt(4)
	v_sub_f32_e32 v27, v27, v120
	v_sub_f32_e32 v45, v45, v119
	v_sub_f32_e32 v46, v46, v126
	v_sub_f32_e32 v47, v47, v125
	s_waitcnt vmcnt(3)
	v_sub_f32_e32 v23, v23, v124
	v_sub_f32_e32 v50, v50, v123
	s_waitcnt vmcnt(2)
	v_sub_f32_e32 v20, v20, v130
	v_sub_f32_e32 v54, v54, v129
	v_sub_f32_e32 v55, v55, v128
	v_sub_f32_e32 v56, v56, v127
	s_waitcnt vmcnt(1)
	v_sub_f32_e32 v11, v11, v134
	v_sub_f32_e32 v52, v52, v71
	s_waitcnt vmcnt(0)
	v_sub_f32_e32 v9, v9, v132
	s_cbranch_scc0 .LBB173_46
; %bb.47:                               ;   in Loop: Header=BB173_44 Depth=1
	buffer_store_dword v1, off, s[0:3], 0
	buffer_store_dword v2, off, s[0:3], 0 offset:4
	buffer_store_dword v5, off, s[0:3], 0 offset:8
	;; [unrolled: 1-line block ×63, first 2 shown]
	s_branch .LBB173_43
.LBB173_48:
	s_sub_i32 s12, s13, 32
.LBB173_49:
	s_cmp_gt_i32 s12, -1
	s_cbranch_scc0 .LBB173_75
; %bb.50:
	s_cmp_lt_u32 s12, 3
	s_cbranch_scc1 .LBB173_58
; %bb.51:
	s_lshl_b32 s13, s26, 9
	s_lshl_b32 s14, s12, 3
	v_lshl_or_b32 v1, v0, 3, s13
	s_add_i32 s13, s13, s14
	v_add_u32_e32 v9, 0x7e00, v1
	s_addk_i32 s13, 0xfde8
.LBB173_52:                             ; =>This Loop Header: Depth=1
                                        ;     Child Loop BB173_54 Depth 2
	s_lshl_b32 s14, s12, 9
	v_add_u32_e32 v10, s14, v73
	v_add_u32_e32 v3, 0xfffffe00, v10
	;; [unrolled: 1-line block ×4, first 2 shown]
	ds_read_b64 v[1:2], v10
	ds_read_b64 v[5:6], v3
	;; [unrolled: 1-line block ×4, first 2 shown]
	s_cmp_le_i32 s9, s12
	s_waitcnt lgkmcnt(3)
	buffer_store_dword v2, off, s[0:3], 0 offset:4
	buffer_store_dword v1, off, s[0:3], 0
	s_waitcnt lgkmcnt(2)
	buffer_store_dword v6, off, s[0:3], 0 offset:12
	buffer_store_dword v5, off, s[0:3], 0 offset:8
	s_waitcnt lgkmcnt(1)
	buffer_store_dword v4, off, s[0:3], 0 offset:20
	buffer_store_dword v3, off, s[0:3], 0 offset:16
	;; [unrolled: 3-line block ×3, first 2 shown]
	s_cbranch_scc1 .LBB173_56
; %bb.53:                               ;   in Loop: Header=BB173_52 Depth=1
	s_mov_b32 s15, s13
	v_mov_b32_e32 v11, v9
	s_mov_b32 s20, s9
.LBB173_54:                             ;   Parent Loop BB173_52 Depth=1
                                        ; =>  This Inner Loop Header: Depth=2
	v_mov_b32_e32 v16, s15
	ds_read_b64 v[20:21], v11
	ds_read2_b64 v[12:15], v16 offset0:2 offset1:3
	ds_read2_b64 v[16:19], v16 offset1:1
	s_add_i32 s20, s20, -1
	s_addk_i32 s15, 0xfe00
	v_add_u32_e32 v11, 0xfffffe00, v11
	s_waitcnt lgkmcnt(1)
	v_mul_f32_e32 v22, v15, v21
	v_mul_f32_e32 v15, v15, v20
	v_mul_f32_e32 v23, v13, v21
	v_mul_f32_e32 v13, v13, v20
	s_waitcnt lgkmcnt(0)
	v_mul_f32_e32 v24, v19, v21
	v_mul_f32_e32 v19, v19, v20
	;; [unrolled: 1-line block ×4, first 2 shown]
	v_fma_f32 v22, v14, v20, -v22
	v_fmac_f32_e32 v15, v14, v21
	v_fma_f32 v14, v12, v20, -v23
	v_fmac_f32_e32 v13, v12, v21
	;; [unrolled: 2-line block ×4, first 2 shown]
	s_cmp_gt_i32 s20, s12
	v_sub_f32_e32 v1, v1, v22
	v_sub_f32_e32 v2, v2, v15
	;; [unrolled: 1-line block ×8, first 2 shown]
	s_cbranch_scc1 .LBB173_54
; %bb.55:                               ;   in Loop: Header=BB173_52 Depth=1
	buffer_store_dword v1, off, s[0:3], 0
	buffer_store_dword v2, off, s[0:3], 0 offset:4
	buffer_store_dword v5, off, s[0:3], 0 offset:8
	;; [unrolled: 1-line block ×7, first 2 shown]
.LBB173_56:                             ;   in Loop: Header=BB173_52 Depth=1
	buffer_load_dword v31, off, s[0:3], 0 offset:24
	buffer_load_dword v32, off, s[0:3], 0 offset:28
	s_add_i32 s15, s12, -1
	s_add_i32 s20, s12, -3
	s_add_i32 s21, s14, 0xfffffc00
	s_lshl_b32 s22, s15, 3
	s_lshl_b32 s15, s15, 9
	;; [unrolled: 1-line block ×4, first 2 shown]
	s_add_i32 s25, s22, s14
	s_add_i32 s22, s22, s15
	;; [unrolled: 1-line block ×6, first 2 shown]
	v_mov_b32_e32 v7, s25
	v_mov_b32_e32 v8, s22
	;; [unrolled: 1-line block ×6, first 2 shown]
	ds_read2_b64 v[11:14], v7 offset1:1
	ds_read_b64 v[7:8], v8
	ds_read2_b64 v[15:18], v15 offset1:1
	ds_read2_b64 v[19:22], v19 offset1:1
	;; [unrolled: 1-line block ×3, first 2 shown]
	ds_read_b64 v[27:28], v27
	s_waitcnt lgkmcnt(5)
	v_mul_f32_e32 v30, v13, v2
	v_mul_f32_e32 v29, v14, v2
	v_fmac_f32_e32 v30, v14, v1
	v_fma_f32 v29, v13, v1, -v29
	v_mul_f32_e32 v1, v12, v30
	v_mul_f32_e32 v2, v11, v30
	v_fma_f32 v1, v11, v29, -v1
	v_fmac_f32_e32 v2, v12, v29
	v_sub_f32_e32 v5, v5, v1
	v_sub_f32_e32 v1, v6, v2
	s_waitcnt lgkmcnt(4)
	v_mul_f32_e32 v2, v7, v1
	s_waitcnt lgkmcnt(3)
	v_mul_f32_e32 v13, v18, v30
	v_mul_f32_e32 v14, v17, v30
	;; [unrolled: 1-line block ×3, first 2 shown]
	v_fmac_f32_e32 v2, v8, v5
	v_fma_f32 v11, v17, v29, -v13
	v_fmac_f32_e32 v14, v18, v29
	v_fma_f32 v1, v7, v5, -v6
	s_waitcnt lgkmcnt(2)
	v_mul_f32_e32 v5, v22, v2
	v_mul_f32_e32 v6, v21, v2
	v_sub_f32_e32 v3, v3, v11
	v_sub_f32_e32 v4, v4, v14
	v_fma_f32 v5, v21, v1, -v5
	v_fmac_f32_e32 v6, v22, v1
	v_sub_f32_e32 v5, v3, v5
	v_sub_f32_e32 v3, v4, v6
	v_mul_f32_e32 v33, v16, v30
	v_mul_f32_e32 v34, v15, v30
	s_waitcnt lgkmcnt(1)
	v_mul_f32_e32 v4, v25, v3
	v_fma_f32 v12, v15, v29, -v33
	v_fmac_f32_e32 v34, v16, v29
	v_mul_f32_e32 v8, v19, v2
	v_mul_f32_e32 v6, v26, v3
	v_fmac_f32_e32 v4, v26, v5
	v_mul_f32_e32 v7, v20, v2
	v_fmac_f32_e32 v8, v20, v1
	v_fma_f32 v3, v25, v5, -v6
	v_mul_f32_e32 v6, v23, v4
	v_fma_f32 v7, v19, v1, -v7
	v_mul_f32_e32 v5, v24, v4
	v_fmac_f32_e32 v6, v24, v3
	v_fma_f32 v5, v23, v3, -v5
	s_add_i32 s14, s12, -4
	s_sub_i32 s13, s13, 32
	s_cmp_gt_i32 s12, 6
	s_waitcnt vmcnt(1)
	v_sub_f32_e32 v11, v31, v12
	s_waitcnt vmcnt(0)
	v_sub_f32_e32 v12, v32, v34
	v_sub_f32_e32 v8, v12, v8
	;; [unrolled: 1-line block ×5, first 2 shown]
	s_waitcnt lgkmcnt(0)
	v_mul_f32_e32 v5, v28, v6
	v_fma_f32 v5, v27, v7, -v5
	buffer_store_dword v5, off, s[0:3], 0 offset:24
	buffer_load_dword v5, off, s[0:3], 0 offset:24
	v_add_u32_e32 v8, s15, v73
	buffer_store_dword v29, off, s[0:3], 0
	buffer_store_dword v30, off, s[0:3], 0 offset:4
	ds_write_b64 v10, v[29:30]
	buffer_store_dword v1, off, s[0:3], 0 offset:8
	buffer_store_dword v2, off, s[0:3], 0 offset:12
	ds_write_b64 v8, v[1:2]
	v_add_u32_e32 v1, s21, v73
	v_mul_f32_e32 v6, v27, v6
	buffer_store_dword v3, off, s[0:3], 0 offset:16
	buffer_store_dword v4, off, s[0:3], 0 offset:20
	ds_write_b64 v1, v[3:4]
	v_fmac_f32_e32 v6, v28, v7
	v_add_u32_e32 v1, s20, v73
	buffer_store_dword v6, off, s[0:3], 0 offset:28
	s_waitcnt vmcnt(7)
	ds_write_b64 v1, v[5:6]
	s_cbranch_scc0 .LBB173_59
; %bb.57:                               ;   in Loop: Header=BB173_52 Depth=1
	s_mov_b32 s12, s14
	s_branch .LBB173_52
.LBB173_58:
	s_mov_b32 s14, s12
.LBB173_59:
	s_cmp_lt_i32 s14, 0
	s_cbranch_scc1 .LBB173_75
; %bb.60:
	s_bitcmp1_b32 s14, 0
	s_cselect_b64 s[12:13], -1, 0
	s_and_b64 vcc, exec, s[12:13]
	s_mov_b32 s12, s14
	s_cbranch_vccnz .LBB173_66
; %bb.61:
	s_lshl_b32 s12, s14, 9
	v_add_u32_e32 v3, s12, v73
	ds_read_b64 v[1:2], v3
	s_cmp_le_i32 s9, s14
	s_waitcnt lgkmcnt(0)
	buffer_store_dword v2, off, s[0:3], 0 offset:4
	buffer_store_dword v1, off, s[0:3], 0
	s_cbranch_scc1 .LBB173_65
; %bb.62:
	s_lshl_b32 s13, s26, 9
	s_lshl_b32 s12, s14, 3
	s_add_i32 s12, s13, s12
	v_lshl_or_b32 v4, v0, 3, s13
	s_addk_i32 s12, 0xfe00
	v_add_u32_e32 v4, 0x7e00, v4
	s_mov_b32 s13, s9
.LBB173_63:                             ; =>This Inner Loop Header: Depth=1
	v_mov_b32_e32 v7, s12
	ds_read_b64 v[5:6], v4
	ds_read_b64 v[7:8], v7
	s_add_i32 s13, s13, -1
	s_addk_i32 s12, 0xfe00
	v_add_u32_e32 v4, 0xfffffe00, v4
	s_cmp_gt_i32 s13, s14
	s_waitcnt lgkmcnt(0)
	v_mul_f32_e32 v9, v8, v6
	v_mul_f32_e32 v8, v8, v5
	v_fma_f32 v5, v7, v5, -v9
	v_fmac_f32_e32 v8, v7, v6
	v_sub_f32_e32 v1, v1, v5
	v_sub_f32_e32 v2, v2, v8
	s_cbranch_scc1 .LBB173_63
; %bb.64:
	buffer_store_dword v1, off, s[0:3], 0
	buffer_store_dword v2, off, s[0:3], 0 offset:4
.LBB173_65:
	s_mul_i32 s12, s14, 0x208
	v_mov_b32_e32 v4, s12
	ds_read_b64 v[4:5], v4
	s_add_i32 s12, s14, -1
	s_waitcnt lgkmcnt(0)
	v_mul_f32_e32 v6, v5, v2
	v_mul_f32_e32 v7, v4, v2
	v_fma_f32 v6, v4, v1, -v6
	v_fmac_f32_e32 v7, v5, v1
	buffer_store_dword v6, off, s[0:3], 0
	buffer_store_dword v7, off, s[0:3], 0 offset:4
	ds_write_b64 v3, v[6:7]
.LBB173_66:
	s_cmp_eq_u32 s14, 0
	s_cbranch_scc1 .LBB173_75
; %bb.67:
	s_lshl_b32 s14, s26, 9
	s_lshl_b32 s13, s12, 3
	s_add_i32 s15, s14, s13
	v_lshl_or_b32 v1, v0, 3, s14
	s_add_i32 s13, s15, 0xfffffe00
	v_add_u32_e32 v5, 0x7e00, v1
	s_add_i32 s14, s15, 0xfffffdf8
	s_branch .LBB173_69
.LBB173_68:                             ;   in Loop: Header=BB173_69 Depth=1
	s_addk_i32 s15, 0xfdf8
	v_mov_b32_e32 v1, s15
	ds_read_b64 v[1:2], v1
	s_add_i32 s15, s12, -2
	s_add_i32 s13, s13, -16
	;; [unrolled: 1-line block ×3, first 2 shown]
	s_cmp_lt_i32 s12, 2
	s_waitcnt lgkmcnt(0)
	v_mul_f32_e32 v6, v2, v4
	v_mul_f32_e32 v9, v1, v4
	v_fma_f32 v8, v1, v3, -v6
	v_fmac_f32_e32 v9, v2, v3
	s_mov_b32 s12, s15
	buffer_store_dword v8, off, s[0:3], 0
	buffer_store_dword v9, off, s[0:3], 0 offset:4
	ds_write_b64 v7, v[8:9]
	s_cbranch_scc1 .LBB173_75
.LBB173_69:                             ; =>This Loop Header: Depth=1
                                        ;     Child Loop BB173_70 Depth 2
                                        ;     Child Loop BB173_73 Depth 2
	s_lshl_b32 s20, s12, 9
	v_add_u32_e32 v6, s20, v73
	ds_read_b64 v[1:2], v6
	v_mov_b32_e32 v3, v5
	s_mov_b32 s15, s13
	s_cmp_le_i32 s9, s12
	s_mov_b32 s21, s9
	s_waitcnt lgkmcnt(0)
	buffer_store_dword v2, off, s[0:3], 0 offset:4
	buffer_store_dword v1, off, s[0:3], 0
	s_cbranch_scc1 .LBB173_72
.LBB173_70:                             ;   Parent Loop BB173_69 Depth=1
                                        ; =>  This Inner Loop Header: Depth=2
	v_mov_b32_e32 v4, s15
	ds_read_b64 v[7:8], v3
	ds_read_b64 v[9:10], v4
	s_add_i32 s21, s21, -1
	s_addk_i32 s15, 0xfe00
	v_add_u32_e32 v3, 0xfffffe00, v3
	s_cmp_gt_i32 s21, s12
	s_waitcnt lgkmcnt(0)
	v_mul_f32_e32 v4, v10, v8
	v_mul_f32_e32 v10, v10, v7
	v_fma_f32 v4, v9, v7, -v4
	v_fmac_f32_e32 v10, v9, v8
	v_sub_f32_e32 v1, v1, v4
	v_sub_f32_e32 v2, v2, v10
	s_cbranch_scc1 .LBB173_70
; %bb.71:                               ;   in Loop: Header=BB173_69 Depth=1
	buffer_store_dword v1, off, s[0:3], 0
	buffer_store_dword v2, off, s[0:3], 0 offset:4
.LBB173_72:                             ;   in Loop: Header=BB173_69 Depth=1
	s_mul_i32 s15, s12, 0x208
	v_mov_b32_e32 v3, s15
	ds_read_b64 v[8:9], v3
	s_addk_i32 s20, 0xfe00
	v_add_u32_e32 v7, s20, v73
	ds_read_b64 v[3:4], v7
	s_cmp_le_i32 s26, s12
	s_waitcnt lgkmcnt(1)
	v_mul_f32_e32 v10, v9, v2
	v_mul_f32_e32 v11, v8, v2
	v_fma_f32 v10, v8, v1, -v10
	v_fmac_f32_e32 v11, v9, v1
	s_mov_b32 s20, s14
	v_mov_b32_e32 v1, v5
	s_mov_b32 s21, s26
	ds_write_b64 v6, v[10:11]
	s_waitcnt lgkmcnt(1)
	buffer_store_dword v3, off, s[0:3], 0
	buffer_store_dword v4, off, s[0:3], 0 offset:4
	s_cbranch_scc1 .LBB173_68
.LBB173_73:                             ;   Parent Loop BB173_69 Depth=1
                                        ; =>  This Inner Loop Header: Depth=2
	v_mov_b32_e32 v2, s20
	ds_read_b64 v[8:9], v1
	ds_read_b64 v[10:11], v2
	s_add_i32 s21, s21, -1
	s_addk_i32 s20, 0xfe00
	v_add_u32_e32 v1, 0xfffffe00, v1
	s_cmp_gt_i32 s21, s12
	s_waitcnt lgkmcnt(0)
	v_mul_f32_e32 v2, v11, v9
	v_mul_f32_e32 v6, v11, v8
	v_fma_f32 v2, v10, v8, -v2
	v_fmac_f32_e32 v6, v10, v9
	v_sub_f32_e32 v3, v3, v2
	v_sub_f32_e32 v4, v4, v6
	s_cbranch_scc1 .LBB173_73
; %bb.74:                               ;   in Loop: Header=BB173_69 Depth=1
	buffer_store_dword v3, off, s[0:3], 0
	buffer_store_dword v4, off, s[0:3], 0 offset:4
	s_branch .LBB173_68
.LBB173_75:
	s_waitcnt lgkmcnt(0)
	; wave barrier
	s_and_saveexec_b64 s[12:13], s[4:5]
	s_cbranch_execz .LBB173_79
; %bb.76:
	s_andn2_b64 vcc, exec, s[6:7]
	s_cbranch_vccnz .LBB173_79
; %bb.77:
	s_lshl_b64 s[4:5], s[18:19], 3
	s_add_u32 s6, s10, s4
	s_addc_u32 s7, s11, s5
	s_lshl_b64 s[4:5], s[16:17], 3
	s_add_u32 s9, s6, s4
	s_addc_u32 s10, s7, s5
	v_mad_i64_i32 v[1:2], s[6:7], s24, v0, 0
	s_mul_hi_i32 s5, s24, s8
	s_mul_i32 s4, s24, s8
	s_lshl_b64 s[4:5], s[4:5], 3
	s_add_u32 s4, s9, s4
	v_lshlrev_b64 v[1:2], 3, v[1:2]
	s_addc_u32 s5, s10, s5
	v_mov_b32_e32 v3, s5
	v_add_co_u32_e32 v1, vcc, s4, v1
	v_addc_co_u32_e32 v2, vcc, v3, v2, vcc
	v_mov_b32_e32 v3, 0x8000
	v_lshl_or_b32 v0, v0, 3, v3
.LBB173_78:                             ; =>This Inner Loop Header: Depth=1
	ds_read_b64 v[3:4], v0
	s_add_i32 s26, s26, -1
	v_add_u32_e32 v0, 0x200, v0
	s_cmp_lg_u32 s26, 0
	s_waitcnt lgkmcnt(0)
	global_store_dwordx2 v[1:2], v[3:4], off
	v_add_co_u32_e32 v1, vcc, 8, v1
	v_addc_co_u32_e32 v2, vcc, 0, v2, vcc
	s_cbranch_scc1 .LBB173_78
.LBB173_79:
	s_endpgm
	.section	.rodata,"a",@progbits
	.p2align	6, 0x0
	.amdhsa_kernel _ZL38rocblas_trsm_small_left_device_sharedBILi64ELi32ELb0E19rocblas_complex_numIfES1_PKS1_PS1_Ev13rocblas_fill_18rocblas_operation_17rocblas_diagonal_iiT3_T4_lilT5_lili
		.amdhsa_group_segment_fixed_size 65536
		.amdhsa_private_segment_fixed_size 272
		.amdhsa_kernarg_size 360
		.amdhsa_user_sgpr_count 6
		.amdhsa_user_sgpr_private_segment_buffer 1
		.amdhsa_user_sgpr_dispatch_ptr 0
		.amdhsa_user_sgpr_queue_ptr 0
		.amdhsa_user_sgpr_kernarg_segment_ptr 1
		.amdhsa_user_sgpr_dispatch_id 0
		.amdhsa_user_sgpr_flat_scratch_init 0
		.amdhsa_user_sgpr_private_segment_size 0
		.amdhsa_uses_dynamic_stack 0
		.amdhsa_system_sgpr_private_segment_wavefront_offset 1
		.amdhsa_system_sgpr_workgroup_id_x 1
		.amdhsa_system_sgpr_workgroup_id_y 0
		.amdhsa_system_sgpr_workgroup_id_z 1
		.amdhsa_system_sgpr_workgroup_info 0
		.amdhsa_system_vgpr_workitem_id 0
		.amdhsa_next_free_vgpr 243
		.amdhsa_next_free_sgpr 98
		.amdhsa_reserve_vcc 1
		.amdhsa_reserve_flat_scratch 0
		.amdhsa_float_round_mode_32 0
		.amdhsa_float_round_mode_16_64 0
		.amdhsa_float_denorm_mode_32 3
		.amdhsa_float_denorm_mode_16_64 3
		.amdhsa_dx10_clamp 1
		.amdhsa_ieee_mode 1
		.amdhsa_fp16_overflow 0
		.amdhsa_exception_fp_ieee_invalid_op 0
		.amdhsa_exception_fp_denorm_src 0
		.amdhsa_exception_fp_ieee_div_zero 0
		.amdhsa_exception_fp_ieee_overflow 0
		.amdhsa_exception_fp_ieee_underflow 0
		.amdhsa_exception_fp_ieee_inexact 0
		.amdhsa_exception_int_div_zero 0
	.end_amdhsa_kernel
	.section	.text._ZL38rocblas_trsm_small_left_device_sharedBILi64ELi32ELb0E19rocblas_complex_numIfES1_PKS1_PS1_Ev13rocblas_fill_18rocblas_operation_17rocblas_diagonal_iiT3_T4_lilT5_lili,"axG",@progbits,_ZL38rocblas_trsm_small_left_device_sharedBILi64ELi32ELb0E19rocblas_complex_numIfES1_PKS1_PS1_Ev13rocblas_fill_18rocblas_operation_17rocblas_diagonal_iiT3_T4_lilT5_lili,comdat
.Lfunc_end173:
	.size	_ZL38rocblas_trsm_small_left_device_sharedBILi64ELi32ELb0E19rocblas_complex_numIfES1_PKS1_PS1_Ev13rocblas_fill_18rocblas_operation_17rocblas_diagonal_iiT3_T4_lilT5_lili, .Lfunc_end173-_ZL38rocblas_trsm_small_left_device_sharedBILi64ELi32ELb0E19rocblas_complex_numIfES1_PKS1_PS1_Ev13rocblas_fill_18rocblas_operation_17rocblas_diagonal_iiT3_T4_lilT5_lili
                                        ; -- End function
	.set _ZL38rocblas_trsm_small_left_device_sharedBILi64ELi32ELb0E19rocblas_complex_numIfES1_PKS1_PS1_Ev13rocblas_fill_18rocblas_operation_17rocblas_diagonal_iiT3_T4_lilT5_lili.num_vgpr, 243
	.set _ZL38rocblas_trsm_small_left_device_sharedBILi64ELi32ELb0E19rocblas_complex_numIfES1_PKS1_PS1_Ev13rocblas_fill_18rocblas_operation_17rocblas_diagonal_iiT3_T4_lilT5_lili.num_agpr, 0
	.set _ZL38rocblas_trsm_small_left_device_sharedBILi64ELi32ELb0E19rocblas_complex_numIfES1_PKS1_PS1_Ev13rocblas_fill_18rocblas_operation_17rocblas_diagonal_iiT3_T4_lilT5_lili.numbered_sgpr, 55
	.set _ZL38rocblas_trsm_small_left_device_sharedBILi64ELi32ELb0E19rocblas_complex_numIfES1_PKS1_PS1_Ev13rocblas_fill_18rocblas_operation_17rocblas_diagonal_iiT3_T4_lilT5_lili.num_named_barrier, 0
	.set _ZL38rocblas_trsm_small_left_device_sharedBILi64ELi32ELb0E19rocblas_complex_numIfES1_PKS1_PS1_Ev13rocblas_fill_18rocblas_operation_17rocblas_diagonal_iiT3_T4_lilT5_lili.private_seg_size, 272
	.set _ZL38rocblas_trsm_small_left_device_sharedBILi64ELi32ELb0E19rocblas_complex_numIfES1_PKS1_PS1_Ev13rocblas_fill_18rocblas_operation_17rocblas_diagonal_iiT3_T4_lilT5_lili.uses_vcc, 1
	.set _ZL38rocblas_trsm_small_left_device_sharedBILi64ELi32ELb0E19rocblas_complex_numIfES1_PKS1_PS1_Ev13rocblas_fill_18rocblas_operation_17rocblas_diagonal_iiT3_T4_lilT5_lili.uses_flat_scratch, 0
	.set _ZL38rocblas_trsm_small_left_device_sharedBILi64ELi32ELb0E19rocblas_complex_numIfES1_PKS1_PS1_Ev13rocblas_fill_18rocblas_operation_17rocblas_diagonal_iiT3_T4_lilT5_lili.has_dyn_sized_stack, 0
	.set _ZL38rocblas_trsm_small_left_device_sharedBILi64ELi32ELb0E19rocblas_complex_numIfES1_PKS1_PS1_Ev13rocblas_fill_18rocblas_operation_17rocblas_diagonal_iiT3_T4_lilT5_lili.has_recursion, 0
	.set _ZL38rocblas_trsm_small_left_device_sharedBILi64ELi32ELb0E19rocblas_complex_numIfES1_PKS1_PS1_Ev13rocblas_fill_18rocblas_operation_17rocblas_diagonal_iiT3_T4_lilT5_lili.has_indirect_call, 0
	.section	.AMDGPU.csdata,"",@progbits
; Kernel info:
; codeLenInByte = 36676
; TotalNumSgprs: 59
; NumVgprs: 243
; ScratchSize: 272
; MemoryBound: 0
; FloatMode: 240
; IeeeMode: 1
; LDSByteSize: 65536 bytes/workgroup (compile time only)
; SGPRBlocks: 12
; VGPRBlocks: 60
; NumSGPRsForWavesPerEU: 102
; NumVGPRsForWavesPerEU: 243
; Occupancy: 1
; WaveLimiterHint : 1
; COMPUTE_PGM_RSRC2:SCRATCH_EN: 1
; COMPUTE_PGM_RSRC2:USER_SGPR: 6
; COMPUTE_PGM_RSRC2:TRAP_HANDLER: 0
; COMPUTE_PGM_RSRC2:TGID_X_EN: 1
; COMPUTE_PGM_RSRC2:TGID_Y_EN: 0
; COMPUTE_PGM_RSRC2:TGID_Z_EN: 1
; COMPUTE_PGM_RSRC2:TIDIG_COMP_CNT: 0
	.section	.text._ZL30rocblas_trsm_small_left_deviceILi64ELi32ELb0E19rocblas_complex_numIfES1_PKS1_PS1_Ev13rocblas_fill_18rocblas_operation_17rocblas_diagonal_iiT3_T4_lilT5_lili,"axG",@progbits,_ZL30rocblas_trsm_small_left_deviceILi64ELi32ELb0E19rocblas_complex_numIfES1_PKS1_PS1_Ev13rocblas_fill_18rocblas_operation_17rocblas_diagonal_iiT3_T4_lilT5_lili,comdat
	.globl	_ZL30rocblas_trsm_small_left_deviceILi64ELi32ELb0E19rocblas_complex_numIfES1_PKS1_PS1_Ev13rocblas_fill_18rocblas_operation_17rocblas_diagonal_iiT3_T4_lilT5_lili ; -- Begin function _ZL30rocblas_trsm_small_left_deviceILi64ELi32ELb0E19rocblas_complex_numIfES1_PKS1_PS1_Ev13rocblas_fill_18rocblas_operation_17rocblas_diagonal_iiT3_T4_lilT5_lili
	.p2align	8
	.type	_ZL30rocblas_trsm_small_left_deviceILi64ELi32ELb0E19rocblas_complex_numIfES1_PKS1_PS1_Ev13rocblas_fill_18rocblas_operation_17rocblas_diagonal_iiT3_T4_lilT5_lili,@function
_ZL30rocblas_trsm_small_left_deviceILi64ELi32ELb0E19rocblas_complex_numIfES1_PKS1_PS1_Ev13rocblas_fill_18rocblas_operation_17rocblas_diagonal_iiT3_T4_lilT5_lili: ; @_ZL30rocblas_trsm_small_left_deviceILi64ELi32ELb0E19rocblas_complex_numIfES1_PKS1_PS1_Ev13rocblas_fill_18rocblas_operation_17rocblas_diagonal_iiT3_T4_lilT5_lili
; %bb.0:
	s_add_u32 s0, s0, s8
	s_load_dwordx4 s[12:15], s[4:5], 0x4
	s_load_dwordx2 s[16:17], s[4:5], 0x14
	s_load_dwordx4 s[8:11], s[4:5], 0x38
	s_load_dwordx2 s[18:19], s[4:5], 0x48
	s_load_dword s27, s[4:5], 0x68
	s_addc_u32 s1, s1, 0
	s_waitcnt lgkmcnt(0)
	s_min_i32 s26, s14, 64
	v_cmp_gt_i32_e32 vcc, s26, v0
	s_and_saveexec_b64 s[20:21], vcc
	s_cbranch_execz .LBB174_15
; %bb.1:
	s_load_dword s24, s[4:5], 0x30
	s_load_dwordx4 s[28:31], s[4:5], 0x20
	s_mul_i32 s9, s9, s7
	s_mul_hi_u32 s14, s8, s7
	s_mul_i32 s8, s8, s7
	s_waitcnt lgkmcnt(0)
	s_ashr_i32 s25, s24, 31
	s_cmpk_lg_i32 s12, 0x71
	s_cselect_b64 s[22:23], -1, 0
	s_add_i32 s9, s14, s9
	s_lshl_b64 s[8:9], s[8:9], 3
	s_lshl_b64 s[30:31], s[30:31], 3
	s_add_u32 s8, s8, s30
	s_addc_u32 s9, s9, s31
	s_add_u32 s8, s28, s8
	v_lshlrev_b32_e32 v5, 3, v0
	s_addc_u32 s9, s29, s9
	v_mov_b32_e32 v1, s9
	v_add_co_u32_e32 v2, vcc, s8, v5
	v_addc_co_u32_e32 v3, vcc, 0, v1, vcc
	v_add_co_u32_e32 v1, vcc, 4, v2
	s_lshl_b64 s[8:9], s[24:25], 3
	v_addc_co_u32_e32 v2, vcc, 0, v3, vcc
	v_mov_b32_e32 v6, s9
	v_mov_b32_e32 v7, v5
	s_mov_b32 s9, s26
	s_branch .LBB174_3
.LBB174_2:                              ;   in Loop: Header=BB174_3 Depth=1
	global_load_dword v3, v[1:2], off offset:-4
	s_add_i32 s9, s9, -1
	v_add_co_u32_e32 v1, vcc, s8, v1
	v_addc_co_u32_e32 v2, vcc, v2, v6, vcc
	s_cmp_eq_u32 s9, 0
	s_waitcnt vmcnt(0)
	ds_write_b64 v7, v[3:4]
	v_add_u32_e32 v7, 0x200, v7
	s_cbranch_scc1 .LBB174_7
.LBB174_3:                              ; =>This Inner Loop Header: Depth=1
	s_mov_b64 s[24:25], -1
	s_and_b64 vcc, exec, s[22:23]
                                        ; implicit-def: $vgpr4
	s_cbranch_vccz .LBB174_5
; %bb.4:                                ;   in Loop: Header=BB174_3 Depth=1
	global_load_dword v4, v[1:2], off
	s_mov_b64 s[24:25], 0
.LBB174_5:                              ;   in Loop: Header=BB174_3 Depth=1
	s_andn2_b64 vcc, exec, s[24:25]
	s_cbranch_vccnz .LBB174_2
; %bb.6:                                ;   in Loop: Header=BB174_3 Depth=1
	global_load_dword v3, v[1:2], off
	s_waitcnt vmcnt(0)
	v_xor_b32_e32 v4, 0x80000000, v3
	s_branch .LBB174_2
.LBB174_7:
	s_cmpk_lg_i32 s13, 0x84
	v_lshlrev_b32_e32 v6, 9, v0
	s_mov_b64 s[8:9], -1
	s_cbranch_scc0 .LBB174_13
; %bb.8:
	v_add_u32_e32 v7, v5, v6
	ds_read_b64 v[1:2], v7
                                        ; implicit-def: $vgpr3
	s_waitcnt lgkmcnt(0)
	v_cmp_ngt_f32_e64 s[8:9], |v1|, |v2|
	s_and_saveexec_b64 s[22:23], s[8:9]
	s_xor_b64 s[8:9], exec, s[22:23]
	s_cbranch_execz .LBB174_10
; %bb.9:
	v_div_scale_f32 v3, s[22:23], v2, v2, v1
	v_div_scale_f32 v4, vcc, v1, v2, v1
	v_rcp_f32_e32 v8, v3
	v_fma_f32 v9, -v3, v8, 1.0
	v_fmac_f32_e32 v8, v9, v8
	v_mul_f32_e32 v9, v4, v8
	v_fma_f32 v10, -v3, v9, v4
	v_fmac_f32_e32 v9, v10, v8
	v_fma_f32 v3, -v3, v9, v4
	v_div_fmas_f32 v3, v3, v8, v9
	v_div_fixup_f32 v3, v3, v2, v1
	v_fmac_f32_e32 v2, v1, v3
	v_div_scale_f32 v1, s[22:23], v2, v2, 1.0
	v_div_scale_f32 v4, vcc, 1.0, v2, 1.0
	v_rcp_f32_e32 v8, v1
	v_fma_f32 v9, -v1, v8, 1.0
	v_fmac_f32_e32 v8, v9, v8
	v_mul_f32_e32 v9, v4, v8
	v_fma_f32 v10, -v1, v9, v4
	v_fmac_f32_e32 v9, v10, v8
	v_fma_f32 v1, -v1, v9, v4
	v_div_fmas_f32 v1, v1, v8, v9
	v_add_f32_e32 v4, 0, v3
	v_fma_f32 v8, v3, 0, -1.0
	v_div_fixup_f32 v1, v1, v2, 1.0
	v_mul_f32_e32 v3, v4, v1
	v_mul_f32_e32 v4, v8, v1
                                        ; implicit-def: $vgpr1_vgpr2
.LBB174_10:
	s_andn2_saveexec_b64 s[8:9], s[8:9]
	s_cbranch_execz .LBB174_12
; %bb.11:
	v_div_scale_f32 v3, s[22:23], v1, v1, v2
	v_div_scale_f32 v4, vcc, v2, v1, v2
	v_rcp_f32_e32 v8, v3
	v_fma_f32 v9, -v3, v8, 1.0
	v_fmac_f32_e32 v8, v9, v8
	v_mul_f32_e32 v9, v4, v8
	v_fma_f32 v10, -v3, v9, v4
	v_fmac_f32_e32 v9, v10, v8
	v_fma_f32 v3, -v3, v9, v4
	v_div_fmas_f32 v3, v3, v8, v9
	v_div_fixup_f32 v4, v3, v1, v2
	v_fmac_f32_e32 v1, v2, v4
	v_div_scale_f32 v2, s[22:23], v1, v1, 1.0
	v_div_scale_f32 v3, vcc, 1.0, v1, 1.0
	v_rcp_f32_e32 v8, v2
	v_fma_f32 v9, -v2, v8, 1.0
	v_fmac_f32_e32 v8, v9, v8
	v_mul_f32_e32 v9, v3, v8
	v_fma_f32 v10, -v2, v9, v3
	v_fmac_f32_e32 v9, v10, v8
	v_fma_f32 v2, -v2, v9, v3
	v_div_fmas_f32 v2, v2, v8, v9
	v_fma_f32 v3, v4, 0, 1.0
	v_div_fixup_f32 v1, v2, v1, 1.0
	v_mul_f32_e32 v3, v3, v1
	v_mul_f32_e64 v4, -v4, v1
.LBB174_12:
	s_or_b64 exec, exec, s[8:9]
	s_mov_b64 s[8:9], 0
	ds_write_b64 v7, v[3:4]
.LBB174_13:
	s_and_b64 vcc, exec, s[8:9]
	s_cbranch_vccz .LBB174_15
; %bb.14:
	v_add_u32_e32 v3, v5, v6
	v_mov_b32_e32 v1, 1.0
	v_mov_b32_e32 v2, 0
	ds_write_b64 v3, v[1:2]
.LBB174_15:
	s_or_b64 exec, exec, s[20:21]
	s_lshl_b32 s8, s6, 6
	s_add_i32 s27, s27, -1
	s_sub_i32 s9, s15, s8
	s_cmp_ge_u32 s6, s27
	s_cselect_b32 s6, s9, 64
	v_cmp_gt_i32_e32 vcc, s6, v0
	s_waitcnt lgkmcnt(0)
	; wave barrier
	s_and_saveexec_b64 s[14:15], vcc
	s_cbranch_execz .LBB174_58
; %bb.16:
	s_load_dwordx2 s[14:15], s[4:5], 0x58
	s_load_dword s6, s[4:5], 0x50
	v_add_u32_e32 v0, s8, v0
	s_waitcnt lgkmcnt(0)
	s_mul_i32 s5, s15, s7
	s_mul_hi_u32 s8, s14, s7
	s_mul_i32 s4, s14, s7
	s_add_i32 s5, s8, s5
	v_mad_i64_i32 v[0:1], s[6:7], s6, v0, 0
	s_lshl_b64 s[4:5], s[4:5], 3
	s_add_u32 s8, s10, s4
	s_addc_u32 s9, s11, s5
	s_lshl_b64 s[6:7], s[18:19], 3
	s_add_u32 s8, s8, s6
	v_lshlrev_b64 v[0:1], 3, v[0:1]
	s_addc_u32 s9, s9, s7
	v_mov_b32_e32 v2, s9
	v_add_co_u32_e32 v6, vcc, s8, v0
	v_addc_co_u32_e32 v7, vcc, v2, v1, vcc
	s_cmpk_eq_i32 s12, 0x6f
	s_mov_b64 s[8:9], -1
	s_cbranch_scc1 .LBB174_38
; %bb.17:
	s_add_u32 s8, s10, s6
	s_addc_u32 s9, s11, s7
	s_add_u32 s8, s8, s4
	s_addc_u32 s9, s9, s5
	v_mov_b32_e32 v2, s9
	v_add_co_u32_e32 v3, vcc, s8, v0
	v_addc_co_u32_e32 v2, vcc, v2, v1, vcc
	v_add_co_u32_e32 v8, vcc, 4, v3
	s_mov_b32 s9, 0
	v_addc_co_u32_e32 v9, vcc, 0, v2, vcc
	s_mov_b32 s12, s9
	s_mov_b32 s14, s9
	s_branch .LBB174_19
.LBB174_18:                             ;   in Loop: Header=BB174_19 Depth=1
	s_cmp_ge_i32 s14, s26
	s_cselect_b64 s[18:19], -1, 0
	s_add_i32 s12, s12, 1
	s_cmp_eq_u32 s12, 3
	s_cselect_b64 s[20:21], -1, 0
	s_or_b64 s[18:19], s[18:19], s[20:21]
	s_andn2_b64 vcc, exec, s[18:19]
	s_cbranch_vccz .LBB174_37
.LBB174_19:                             ; =>This Loop Header: Depth=1
                                        ;     Child Loop BB174_22 Depth 2
                                        ;       Child Loop BB174_23 Depth 3
                                        ;       Child Loop BB174_26 Depth 3
                                        ;         Child Loop BB174_27 Depth 4
                                        ;       Child Loop BB174_31 Depth 3
                                        ;         Child Loop BB174_33 Depth 4
	s_mov_b32 s13, s9
	s_lshl_b64 s[18:19], s[12:13], 2
	s_getpc_b64 s[20:21]
	s_add_u32 s20, s20, __const._ZL30rocblas_trsm_small_left_deviceILi64ELi32ELb0E19rocblas_complex_numIfES1_PKS1_PS1_Ev13rocblas_fill_18rocblas_operation_17rocblas_diagonal_iiT3_T4_lilT5_lili.step_sizes@rel32@lo+4
	s_addc_u32 s21, s21, __const._ZL30rocblas_trsm_small_left_deviceILi64ELi32ELb0E19rocblas_complex_numIfES1_PKS1_PS1_Ev13rocblas_fill_18rocblas_operation_17rocblas_diagonal_iiT3_T4_lilT5_lili.step_sizes@rel32@hi+12
	s_add_u32 s18, s20, s18
	s_addc_u32 s19, s21, s19
	s_load_dword s18, s[18:19], 0x0
	s_waitcnt lgkmcnt(0)
	s_add_i32 s13, s18, -1
	s_add_i32 s8, s13, s14
	s_cmp_ge_i32 s8, s26
	s_cbranch_scc1 .LBB174_18
; %bb.20:                               ;   in Loop: Header=BB174_19 Depth=1
	s_ashr_i32 s15, s14, 31
	s_lshl_b64 s[20:21], s[14:15], 3
	s_ashr_i32 s19, s18, 31
	v_mov_b32_e32 v3, s21
	v_add_co_u32_e32 v2, vcc, s20, v8
	s_lshl_b64 s[20:21], s[18:19], 3
	s_max_i32 s27, s18, 1
	v_addc_co_u32_e32 v3, vcc, v9, v3, vcc
	s_lshl_b32 s15, s14, 9
	s_lshl_b32 s19, s18, 9
	s_mul_i32 s28, s14, 0x208
	s_mul_i32 s29, s18, 0x208
	v_mov_b32_e32 v10, s21
	s_branch .LBB174_22
.LBB174_21:                             ;   in Loop: Header=BB174_22 Depth=2
	s_add_i32 s14, s14, s18
	s_add_i32 s8, s13, s14
	;; [unrolled: 1-line block ×4, first 2 shown]
	v_add_co_u32_e32 v2, vcc, s20, v2
	s_cmp_ge_i32 s8, s26
	v_addc_co_u32_e32 v3, vcc, v3, v10, vcc
	s_cbranch_scc1 .LBB174_18
.LBB174_22:                             ;   Parent Loop BB174_19 Depth=1
                                        ; =>  This Loop Header: Depth=2
                                        ;       Child Loop BB174_23 Depth 3
                                        ;       Child Loop BB174_26 Depth 3
                                        ;         Child Loop BB174_27 Depth 4
                                        ;       Child Loop BB174_31 Depth 3
                                        ;         Child Loop BB174_33 Depth 4
	v_mov_b32_e32 v5, v3
	s_mov_b32 s8, 0
	v_mov_b32_e32 v4, v2
	s_mov_b32 s21, s27
.LBB174_23:                             ;   Parent Loop BB174_19 Depth=1
                                        ;     Parent Loop BB174_22 Depth=2
                                        ; =>    This Inner Loop Header: Depth=3
	global_load_dwordx2 v[11:12], v[4:5], off offset:-4
	v_mov_b32_e32 v13, s8
	s_add_i32 s21, s21, -1
	v_add_co_u32_e32 v4, vcc, 8, v4
	s_add_i32 s8, s8, 8
	v_addc_co_u32_e32 v5, vcc, 0, v5, vcc
	s_cmp_eq_u32 s21, 0
	s_waitcnt vmcnt(0)
	v_mul_f32_e32 v14, s17, v12
	v_mul_f32_e32 v12, s16, v12
	v_fma_f32 v14, v11, s16, -v14
	v_fmac_f32_e32 v12, s17, v11
	buffer_store_dword v14, v13, s[0:3], 0 offen
	buffer_store_dword v12, v13, s[0:3], 0 offen offset:4
	s_cbranch_scc0 .LBB174_23
; %bb.24:                               ;   in Loop: Header=BB174_22 Depth=2
	s_cmp_lt_i32 s14, 1
	s_cbranch_scc1 .LBB174_29
; %bb.25:                               ;   in Loop: Header=BB174_22 Depth=2
	s_mov_b32 s8, 0
	s_mov_b32 s21, s15
.LBB174_26:                             ;   Parent Loop BB174_19 Depth=1
                                        ;     Parent Loop BB174_22 Depth=2
                                        ; =>    This Loop Header: Depth=3
                                        ;         Child Loop BB174_27 Depth 4
	s_lshl_b64 s[22:23], s[8:9], 3
	v_mov_b32_e32 v5, s23
	v_add_co_u32_e32 v4, vcc, s22, v6
	v_addc_co_u32_e32 v5, vcc, v7, v5, vcc
	global_load_dwordx2 v[4:5], v[4:5], off
	s_mov_b32 s22, 0
	s_mov_b32 s23, s21
	;; [unrolled: 1-line block ×3, first 2 shown]
.LBB174_27:                             ;   Parent Loop BB174_19 Depth=1
                                        ;     Parent Loop BB174_22 Depth=2
                                        ;       Parent Loop BB174_26 Depth=3
                                        ; =>      This Inner Loop Header: Depth=4
	v_mov_b32_e32 v13, s22
	buffer_load_dword v14, v13, s[0:3], 0 offen
	buffer_load_dword v15, v13, s[0:3], 0 offen offset:4
	v_mov_b32_e32 v11, s23
	ds_read_b64 v[11:12], v11
	s_add_i32 s24, s24, -1
	s_addk_i32 s23, 0x200
	s_add_i32 s22, s22, 8
	s_cmp_eq_u32 s24, 0
	s_waitcnt vmcnt(2) lgkmcnt(0)
	v_mul_f32_e32 v16, v12, v5
	v_mul_f32_e32 v12, v12, v4
	v_fma_f32 v16, v11, v4, -v16
	v_fmac_f32_e32 v12, v11, v5
	s_waitcnt vmcnt(1)
	v_sub_f32_e32 v11, v14, v16
	s_waitcnt vmcnt(0)
	v_sub_f32_e32 v12, v15, v12
	buffer_store_dword v11, v13, s[0:3], 0 offen
	buffer_store_dword v12, v13, s[0:3], 0 offen offset:4
	s_cbranch_scc0 .LBB174_27
; %bb.28:                               ;   in Loop: Header=BB174_26 Depth=3
	s_add_i32 s8, s8, 1
	s_add_i32 s21, s21, 8
	s_cmp_eq_u32 s8, s14
	s_cbranch_scc0 .LBB174_26
.LBB174_29:                             ;   in Loop: Header=BB174_22 Depth=2
	s_mov_b32 s8, 0
	s_mov_b32 s21, s28
	s_branch .LBB174_31
.LBB174_30:                             ;   in Loop: Header=BB174_31 Depth=3
	s_mul_i32 s23, s22, 0x208
	v_mov_b32_e32 v11, s23
	ds_read_b64 v[11:12], v11
	s_lshl_b32 s23, s8, 3
	v_mov_b32_e32 v15, s23
	s_ashr_i32 s23, s22, 31
	s_lshl_b64 s[22:23], s[22:23], 3
	s_waitcnt vmcnt(0) lgkmcnt(0)
	v_mul_f32_e32 v13, v12, v5
	v_mul_f32_e32 v14, v11, v5
	v_fma_f32 v13, v11, v4, -v13
	v_fmac_f32_e32 v14, v12, v4
	v_mov_b32_e32 v5, s23
	v_add_co_u32_e32 v4, vcc, s22, v6
	s_add_i32 s8, s8, 1
	s_addk_i32 s21, 0x200
	v_addc_co_u32_e32 v5, vcc, v7, v5, vcc
	s_cmp_eq_u32 s8, s27
	buffer_store_dword v13, v15, s[0:3], 0 offen
	buffer_store_dword v14, v15, s[0:3], 0 offen offset:4
	global_store_dwordx2 v[4:5], v[13:14], off
	s_cbranch_scc1 .LBB174_21
.LBB174_31:                             ;   Parent Loop BB174_19 Depth=1
                                        ;     Parent Loop BB174_22 Depth=2
                                        ; =>    This Loop Header: Depth=3
                                        ;         Child Loop BB174_33 Depth 4
	s_cmp_lg_u32 s8, 0
	s_cbranch_scc0 .LBB174_35
; %bb.32:                               ;   in Loop: Header=BB174_31 Depth=3
	s_lshl_b32 s22, s8, 3
	v_mov_b32_e32 v11, s22
	buffer_load_dword v4, v11, s[0:3], 0 offen
	buffer_load_dword v5, v11, s[0:3], 0 offen offset:4
	s_add_i32 s22, s8, s14
	s_mov_b32 s23, 0
	s_mov_b32 s24, s21
	s_mov_b32 s25, s8
.LBB174_33:                             ;   Parent Loop BB174_19 Depth=1
                                        ;     Parent Loop BB174_22 Depth=2
                                        ;       Parent Loop BB174_31 Depth=3
                                        ; =>      This Inner Loop Header: Depth=4
	v_mov_b32_e32 v12, s23
	buffer_load_dword v14, v12, s[0:3], 0 offen offset:4
	buffer_load_dword v15, v12, s[0:3], 0 offen
	v_mov_b32_e32 v12, s24
	ds_read_b64 v[12:13], v12
	s_add_i32 s25, s25, -1
	s_add_i32 s23, s23, 8
	s_add_i32 s24, s24, 8
	s_cmp_eq_u32 s25, 0
	s_waitcnt vmcnt(1) lgkmcnt(0)
	v_mul_f32_e32 v16, v13, v14
	v_mul_f32_e32 v14, v12, v14
	s_waitcnt vmcnt(0)
	v_fma_f32 v12, v12, v15, -v16
	v_fmac_f32_e32 v14, v13, v15
	v_sub_f32_e32 v4, v4, v12
	v_sub_f32_e32 v5, v5, v14
	buffer_store_dword v4, v11, s[0:3], 0 offen
	buffer_store_dword v5, v11, s[0:3], 0 offen offset:4
	s_cbranch_scc0 .LBB174_33
; %bb.34:                               ;   in Loop: Header=BB174_31 Depth=3
	s_branch .LBB174_30
.LBB174_35:                             ;   in Loop: Header=BB174_31 Depth=3
                                        ; implicit-def: $vgpr4
                                        ; implicit-def: $vgpr5
                                        ; implicit-def: $sgpr22
	s_cbranch_execz .LBB174_30
; %bb.36:                               ;   in Loop: Header=BB174_31 Depth=3
	buffer_load_dword v4, off, s[0:3], 0
	buffer_load_dword v5, off, s[0:3], 0 offset:4
	s_mov_b32 s22, s14
	s_branch .LBB174_30
.LBB174_37:
	s_mov_b64 s[8:9], 0
.LBB174_38:
	s_and_b64 vcc, exec, s[8:9]
	s_cbranch_vccz .LBB174_58
; %bb.39:
	s_add_i32 s14, s26, -1
	s_add_u32 s6, s10, s6
	s_addc_u32 s7, s11, s7
	s_add_u32 s4, s6, s4
	s_addc_u32 s5, s7, s5
	v_mov_b32_e32 v2, s5
	v_add_co_u32_e32 v0, vcc, s4, v0
	v_addc_co_u32_e32 v1, vcc, v2, v1, vcc
	v_add_co_u32_e32 v2, vcc, 4, v0
	s_lshl_b32 s15, s26, 9
	s_mov_b32 s5, 0
	v_addc_co_u32_e32 v3, vcc, 0, v1, vcc
	s_addk_i32 s15, 0xfe00
	s_mov_b32 s6, s14
	s_mov_b32 s4, s5
	s_branch .LBB174_41
.LBB174_40:                             ;   in Loop: Header=BB174_41 Depth=1
	s_cmp_lt_i32 s6, 0
	s_cselect_b64 s[8:9], -1, 0
	s_add_i32 s4, s4, 1
	s_cmp_eq_u32 s4, 3
	s_cselect_b64 s[10:11], -1, 0
	s_or_b64 s[8:9], s[8:9], s[10:11]
	s_and_b64 vcc, exec, s[8:9]
	s_cbranch_vccnz .LBB174_58
.LBB174_41:                             ; =>This Loop Header: Depth=1
                                        ;     Child Loop BB174_44 Depth 2
                                        ;       Child Loop BB174_45 Depth 3
                                        ;       Child Loop BB174_47 Depth 3
                                        ;         Child Loop BB174_48 Depth 4
                                        ;       Child Loop BB174_52 Depth 3
                                        ;         Child Loop BB174_54 Depth 4
	s_lshl_b64 s[8:9], s[4:5], 2
	s_getpc_b64 s[10:11]
	s_add_u32 s10, s10, __const._ZL30rocblas_trsm_small_left_deviceILi64ELi32ELb0E19rocblas_complex_numIfES1_PKS1_PS1_Ev13rocblas_fill_18rocblas_operation_17rocblas_diagonal_iiT3_T4_lilT5_lili.step_sizes@rel32@lo+4
	s_addc_u32 s11, s11, __const._ZL30rocblas_trsm_small_left_deviceILi64ELi32ELb0E19rocblas_complex_numIfES1_PKS1_PS1_Ev13rocblas_fill_18rocblas_operation_17rocblas_diagonal_iiT3_T4_lilT5_lili.step_sizes@rel32@hi+12
	s_add_u32 s8, s10, s8
	s_addc_u32 s9, s11, s9
	s_load_dword s18, s[8:9], 0x0
	s_waitcnt lgkmcnt(0)
	s_add_i32 s19, s18, -1
	s_cmp_lt_i32 s6, s19
	s_cbranch_scc1 .LBB174_40
; %bb.42:                               ;   in Loop: Header=BB174_41 Depth=1
	s_lshl_b32 s7, s6, 3
	s_add_i32 s21, s15, s7
	s_lshl_b32 s7, s18, 3
	s_max_i32 s20, s18, 1
	s_sub_i32 s22, 0, s7
	s_mul_i32 s23, s6, 0x208
	s_mul_i32 s24, s18, 0xfffffdf8
	s_branch .LBB174_44
.LBB174_43:                             ;   in Loop: Header=BB174_44 Depth=2
	s_sub_i32 s6, s6, s18
	s_add_i32 s21, s21, s22
	s_add_i32 s23, s23, s24
	s_cmp_lt_i32 s6, s19
	s_cbranch_scc1 .LBB174_40
.LBB174_44:                             ;   Parent Loop BB174_41 Depth=1
                                        ; =>  This Loop Header: Depth=2
                                        ;       Child Loop BB174_45 Depth 3
                                        ;       Child Loop BB174_47 Depth 3
                                        ;         Child Loop BB174_48 Depth 4
                                        ;       Child Loop BB174_52 Depth 3
                                        ;         Child Loop BB174_54 Depth 4
	s_ashr_i32 s7, s6, 31
	s_lshl_b64 s[8:9], s[6:7], 3
	v_mov_b32_e32 v1, s9
	v_add_co_u32_e32 v0, vcc, s8, v2
	v_addc_co_u32_e32 v1, vcc, v3, v1, vcc
	s_mov_b32 s8, 0
	s_mov_b32 s9, s20
.LBB174_45:                             ;   Parent Loop BB174_41 Depth=1
                                        ;     Parent Loop BB174_44 Depth=2
                                        ; =>    This Inner Loop Header: Depth=3
	global_load_dwordx2 v[4:5], v[0:1], off offset:-4
	v_mov_b32_e32 v8, s8
	s_add_i32 s9, s9, -1
	v_add_co_u32_e32 v0, vcc, -8, v0
	s_add_i32 s8, s8, 8
	v_addc_co_u32_e32 v1, vcc, -1, v1, vcc
	s_cmp_eq_u32 s9, 0
	s_waitcnt vmcnt(0)
	v_mul_f32_e32 v9, s17, v5
	v_mul_f32_e32 v5, s16, v5
	v_fma_f32 v9, v4, s16, -v9
	v_fmac_f32_e32 v5, s17, v4
	buffer_store_dword v9, v8, s[0:3], 0 offen
	buffer_store_dword v5, v8, s[0:3], 0 offen offset:4
	s_cbranch_scc0 .LBB174_45
; %bb.46:                               ;   in Loop: Header=BB174_44 Depth=2
	s_cmp_le_i32 s14, s6
	s_mov_b32 s10, s21
	s_mov_b32 s8, s14
	s_cbranch_scc1 .LBB174_50
.LBB174_47:                             ;   Parent Loop BB174_41 Depth=1
                                        ;     Parent Loop BB174_44 Depth=2
                                        ; =>    This Loop Header: Depth=3
                                        ;         Child Loop BB174_48 Depth 4
	s_ashr_i32 s9, s8, 31
	s_lshl_b64 s[12:13], s[8:9], 3
	v_mov_b32_e32 v1, s13
	v_add_co_u32_e32 v0, vcc, s12, v6
	v_addc_co_u32_e32 v1, vcc, v7, v1, vcc
	global_load_dwordx2 v[0:1], v[0:1], off
	s_mov_b32 s9, 0
	s_mov_b32 s11, s10
	s_mov_b32 s12, s20
.LBB174_48:                             ;   Parent Loop BB174_41 Depth=1
                                        ;     Parent Loop BB174_44 Depth=2
                                        ;       Parent Loop BB174_47 Depth=3
                                        ; =>      This Inner Loop Header: Depth=4
	v_mov_b32_e32 v8, s9
	buffer_load_dword v9, v8, s[0:3], 0 offen
	buffer_load_dword v10, v8, s[0:3], 0 offen offset:4
	v_mov_b32_e32 v4, s11
	ds_read_b64 v[4:5], v4
	s_add_i32 s12, s12, -1
	s_add_i32 s11, s11, -8
	s_add_i32 s9, s9, 8
	s_cmp_eq_u32 s12, 0
	s_waitcnt vmcnt(2) lgkmcnt(0)
	v_mul_f32_e32 v11, v5, v1
	v_mul_f32_e32 v5, v5, v0
	v_fma_f32 v11, v4, v0, -v11
	v_fmac_f32_e32 v5, v4, v1
	s_waitcnt vmcnt(1)
	v_sub_f32_e32 v4, v9, v11
	s_waitcnt vmcnt(0)
	v_sub_f32_e32 v5, v10, v5
	buffer_store_dword v4, v8, s[0:3], 0 offen
	buffer_store_dword v5, v8, s[0:3], 0 offen offset:4
	s_cbranch_scc0 .LBB174_48
; %bb.49:                               ;   in Loop: Header=BB174_47 Depth=3
	s_add_i32 s8, s8, -1
	s_addk_i32 s10, 0xfe00
	s_cmp_le_i32 s8, s6
	s_cbranch_scc0 .LBB174_47
.LBB174_50:                             ;   in Loop: Header=BB174_44 Depth=2
	s_mov_b32 s25, 0
	s_mov_b32 s26, s23
	s_branch .LBB174_52
.LBB174_51:                             ;   in Loop: Header=BB174_52 Depth=3
	s_mulk_i32 s10, 0x208
	v_mov_b32_e32 v4, s10
	ds_read_b64 v[4:5], v4
	s_lshl_b64 s[8:9], s[8:9], 3
	s_lshl_b32 s10, s25, 3
	s_add_i32 s25, s25, 1
	s_add_i32 s26, s26, -8
	s_waitcnt vmcnt(0) lgkmcnt(0)
	v_mul_f32_e32 v8, v5, v1
	v_mul_f32_e32 v9, v4, v1
	v_fma_f32 v8, v4, v0, -v8
	v_fmac_f32_e32 v9, v5, v0
	v_mov_b32_e32 v1, s9
	v_add_co_u32_e32 v0, vcc, s8, v6
	v_mov_b32_e32 v10, s10
	v_addc_co_u32_e32 v1, vcc, v7, v1, vcc
	s_cmp_eq_u32 s25, s20
	buffer_store_dword v8, v10, s[0:3], 0 offen
	buffer_store_dword v9, v10, s[0:3], 0 offen offset:4
	global_store_dwordx2 v[0:1], v[8:9], off
	s_cbranch_scc1 .LBB174_43
.LBB174_52:                             ;   Parent Loop BB174_41 Depth=1
                                        ;     Parent Loop BB174_44 Depth=2
                                        ; =>    This Loop Header: Depth=3
                                        ;         Child Loop BB174_54 Depth 4
	s_cmp_lg_u32 s25, 0
	s_cbranch_scc0 .LBB174_56
; %bb.53:                               ;   in Loop: Header=BB174_52 Depth=3
	s_lshl_b32 s8, s25, 3
	v_mov_b32_e32 v4, s8
	buffer_load_dword v0, v4, s[0:3], 0 offen
	buffer_load_dword v1, v4, s[0:3], 0 offen offset:4
	s_mov_b32 s8, 0
	s_mov_b32 s9, s26
	;; [unrolled: 1-line block ×3, first 2 shown]
.LBB174_54:                             ;   Parent Loop BB174_41 Depth=1
                                        ;     Parent Loop BB174_44 Depth=2
                                        ;       Parent Loop BB174_52 Depth=3
                                        ; =>      This Inner Loop Header: Depth=4
	v_mov_b32_e32 v5, s8
	buffer_load_dword v10, v5, s[0:3], 0 offen offset:4
	buffer_load_dword v11, v5, s[0:3], 0 offen
	v_mov_b32_e32 v5, s9
	ds_read_b64 v[8:9], v5
	s_add_i32 s10, s10, -1
	s_addk_i32 s9, 0xfe00
	s_add_i32 s8, s8, 8
	s_cmp_eq_u32 s10, 0
	s_waitcnt vmcnt(1) lgkmcnt(0)
	v_mul_f32_e32 v5, v9, v10
	v_mul_f32_e32 v10, v8, v10
	s_waitcnt vmcnt(0)
	v_fma_f32 v5, v8, v11, -v5
	v_fmac_f32_e32 v10, v9, v11
	v_sub_f32_e32 v0, v0, v5
	v_sub_f32_e32 v1, v1, v10
	buffer_store_dword v0, v4, s[0:3], 0 offen
	buffer_store_dword v1, v4, s[0:3], 0 offen offset:4
	s_cbranch_scc0 .LBB174_54
; %bb.55:                               ;   in Loop: Header=BB174_52 Depth=3
	s_sub_i32 s10, s6, s25
	s_ashr_i32 s11, s10, 31
	s_mov_b64 s[8:9], s[10:11]
	s_branch .LBB174_51
.LBB174_56:                             ;   in Loop: Header=BB174_52 Depth=3
                                        ; implicit-def: $vgpr0
                                        ; implicit-def: $vgpr1
                                        ; implicit-def: $sgpr10
                                        ; implicit-def: $sgpr8_sgpr9
	s_cbranch_execz .LBB174_51
; %bb.57:                               ;   in Loop: Header=BB174_52 Depth=3
	buffer_load_dword v0, off, s[0:3], 0
	buffer_load_dword v1, off, s[0:3], 0 offset:4
	s_mov_b64 s[8:9], s[6:7]
	s_mov_b32 s10, s6
	s_branch .LBB174_51
.LBB174_58:
	s_endpgm
	.section	.rodata,"a",@progbits
	.p2align	6, 0x0
	.amdhsa_kernel _ZL30rocblas_trsm_small_left_deviceILi64ELi32ELb0E19rocblas_complex_numIfES1_PKS1_PS1_Ev13rocblas_fill_18rocblas_operation_17rocblas_diagonal_iiT3_T4_lilT5_lili
		.amdhsa_group_segment_fixed_size 32768
		.amdhsa_private_segment_fixed_size 272
		.amdhsa_kernarg_size 360
		.amdhsa_user_sgpr_count 6
		.amdhsa_user_sgpr_private_segment_buffer 1
		.amdhsa_user_sgpr_dispatch_ptr 0
		.amdhsa_user_sgpr_queue_ptr 0
		.amdhsa_user_sgpr_kernarg_segment_ptr 1
		.amdhsa_user_sgpr_dispatch_id 0
		.amdhsa_user_sgpr_flat_scratch_init 0
		.amdhsa_user_sgpr_private_segment_size 0
		.amdhsa_uses_dynamic_stack 0
		.amdhsa_system_sgpr_private_segment_wavefront_offset 1
		.amdhsa_system_sgpr_workgroup_id_x 1
		.amdhsa_system_sgpr_workgroup_id_y 0
		.amdhsa_system_sgpr_workgroup_id_z 1
		.amdhsa_system_sgpr_workgroup_info 0
		.amdhsa_system_vgpr_workitem_id 0
		.amdhsa_next_free_vgpr 129
		.amdhsa_next_free_sgpr 98
		.amdhsa_reserve_vcc 1
		.amdhsa_reserve_flat_scratch 0
		.amdhsa_float_round_mode_32 0
		.amdhsa_float_round_mode_16_64 0
		.amdhsa_float_denorm_mode_32 3
		.amdhsa_float_denorm_mode_16_64 3
		.amdhsa_dx10_clamp 1
		.amdhsa_ieee_mode 1
		.amdhsa_fp16_overflow 0
		.amdhsa_exception_fp_ieee_invalid_op 0
		.amdhsa_exception_fp_denorm_src 0
		.amdhsa_exception_fp_ieee_div_zero 0
		.amdhsa_exception_fp_ieee_overflow 0
		.amdhsa_exception_fp_ieee_underflow 0
		.amdhsa_exception_fp_ieee_inexact 0
		.amdhsa_exception_int_div_zero 0
	.end_amdhsa_kernel
	.section	.text._ZL30rocblas_trsm_small_left_deviceILi64ELi32ELb0E19rocblas_complex_numIfES1_PKS1_PS1_Ev13rocblas_fill_18rocblas_operation_17rocblas_diagonal_iiT3_T4_lilT5_lili,"axG",@progbits,_ZL30rocblas_trsm_small_left_deviceILi64ELi32ELb0E19rocblas_complex_numIfES1_PKS1_PS1_Ev13rocblas_fill_18rocblas_operation_17rocblas_diagonal_iiT3_T4_lilT5_lili,comdat
.Lfunc_end174:
	.size	_ZL30rocblas_trsm_small_left_deviceILi64ELi32ELb0E19rocblas_complex_numIfES1_PKS1_PS1_Ev13rocblas_fill_18rocblas_operation_17rocblas_diagonal_iiT3_T4_lilT5_lili, .Lfunc_end174-_ZL30rocblas_trsm_small_left_deviceILi64ELi32ELb0E19rocblas_complex_numIfES1_PKS1_PS1_Ev13rocblas_fill_18rocblas_operation_17rocblas_diagonal_iiT3_T4_lilT5_lili
                                        ; -- End function
	.set _ZL30rocblas_trsm_small_left_deviceILi64ELi32ELb0E19rocblas_complex_numIfES1_PKS1_PS1_Ev13rocblas_fill_18rocblas_operation_17rocblas_diagonal_iiT3_T4_lilT5_lili.num_vgpr, 17
	.set _ZL30rocblas_trsm_small_left_deviceILi64ELi32ELb0E19rocblas_complex_numIfES1_PKS1_PS1_Ev13rocblas_fill_18rocblas_operation_17rocblas_diagonal_iiT3_T4_lilT5_lili.num_agpr, 0
	.set _ZL30rocblas_trsm_small_left_deviceILi64ELi32ELb0E19rocblas_complex_numIfES1_PKS1_PS1_Ev13rocblas_fill_18rocblas_operation_17rocblas_diagonal_iiT3_T4_lilT5_lili.numbered_sgpr, 32
	.set _ZL30rocblas_trsm_small_left_deviceILi64ELi32ELb0E19rocblas_complex_numIfES1_PKS1_PS1_Ev13rocblas_fill_18rocblas_operation_17rocblas_diagonal_iiT3_T4_lilT5_lili.num_named_barrier, 0
	.set _ZL30rocblas_trsm_small_left_deviceILi64ELi32ELb0E19rocblas_complex_numIfES1_PKS1_PS1_Ev13rocblas_fill_18rocblas_operation_17rocblas_diagonal_iiT3_T4_lilT5_lili.private_seg_size, 272
	.set _ZL30rocblas_trsm_small_left_deviceILi64ELi32ELb0E19rocblas_complex_numIfES1_PKS1_PS1_Ev13rocblas_fill_18rocblas_operation_17rocblas_diagonal_iiT3_T4_lilT5_lili.uses_vcc, 1
	.set _ZL30rocblas_trsm_small_left_deviceILi64ELi32ELb0E19rocblas_complex_numIfES1_PKS1_PS1_Ev13rocblas_fill_18rocblas_operation_17rocblas_diagonal_iiT3_T4_lilT5_lili.uses_flat_scratch, 0
	.set _ZL30rocblas_trsm_small_left_deviceILi64ELi32ELb0E19rocblas_complex_numIfES1_PKS1_PS1_Ev13rocblas_fill_18rocblas_operation_17rocblas_diagonal_iiT3_T4_lilT5_lili.has_dyn_sized_stack, 0
	.set _ZL30rocblas_trsm_small_left_deviceILi64ELi32ELb0E19rocblas_complex_numIfES1_PKS1_PS1_Ev13rocblas_fill_18rocblas_operation_17rocblas_diagonal_iiT3_T4_lilT5_lili.has_recursion, 0
	.set _ZL30rocblas_trsm_small_left_deviceILi64ELi32ELb0E19rocblas_complex_numIfES1_PKS1_PS1_Ev13rocblas_fill_18rocblas_operation_17rocblas_diagonal_iiT3_T4_lilT5_lili.has_indirect_call, 0
	.section	.AMDGPU.csdata,"",@progbits
; Kernel info:
; codeLenInByte = 2516
; TotalNumSgprs: 36
; NumVgprs: 17
; ScratchSize: 272
; MemoryBound: 0
; FloatMode: 240
; IeeeMode: 1
; LDSByteSize: 32768 bytes/workgroup (compile time only)
; SGPRBlocks: 12
; VGPRBlocks: 32
; NumSGPRsForWavesPerEU: 102
; NumVGPRsForWavesPerEU: 129
; Occupancy: 1
; WaveLimiterHint : 0
; COMPUTE_PGM_RSRC2:SCRATCH_EN: 1
; COMPUTE_PGM_RSRC2:USER_SGPR: 6
; COMPUTE_PGM_RSRC2:TRAP_HANDLER: 0
; COMPUTE_PGM_RSRC2:TGID_X_EN: 1
; COMPUTE_PGM_RSRC2:TGID_Y_EN: 0
; COMPUTE_PGM_RSRC2:TGID_Z_EN: 1
; COMPUTE_PGM_RSRC2:TIDIG_COMP_CNT: 0
	.section	.text._ZL38rocblas_trsm_small_left_device_sharedBILi64ELi32ELb1E19rocblas_complex_numIfES1_PKS1_PS1_Ev13rocblas_fill_18rocblas_operation_17rocblas_diagonal_iiT3_T4_lilT5_lili,"axG",@progbits,_ZL38rocblas_trsm_small_left_device_sharedBILi64ELi32ELb1E19rocblas_complex_numIfES1_PKS1_PS1_Ev13rocblas_fill_18rocblas_operation_17rocblas_diagonal_iiT3_T4_lilT5_lili,comdat
	.globl	_ZL38rocblas_trsm_small_left_device_sharedBILi64ELi32ELb1E19rocblas_complex_numIfES1_PKS1_PS1_Ev13rocblas_fill_18rocblas_operation_17rocblas_diagonal_iiT3_T4_lilT5_lili ; -- Begin function _ZL38rocblas_trsm_small_left_device_sharedBILi64ELi32ELb1E19rocblas_complex_numIfES1_PKS1_PS1_Ev13rocblas_fill_18rocblas_operation_17rocblas_diagonal_iiT3_T4_lilT5_lili
	.p2align	8
	.type	_ZL38rocblas_trsm_small_left_device_sharedBILi64ELi32ELb1E19rocblas_complex_numIfES1_PKS1_PS1_Ev13rocblas_fill_18rocblas_operation_17rocblas_diagonal_iiT3_T4_lilT5_lili,@function
_ZL38rocblas_trsm_small_left_device_sharedBILi64ELi32ELb1E19rocblas_complex_numIfES1_PKS1_PS1_Ev13rocblas_fill_18rocblas_operation_17rocblas_diagonal_iiT3_T4_lilT5_lili: ; @_ZL38rocblas_trsm_small_left_device_sharedBILi64ELi32ELb1E19rocblas_complex_numIfES1_PKS1_PS1_Ev13rocblas_fill_18rocblas_operation_17rocblas_diagonal_iiT3_T4_lilT5_lili
; %bb.0:
	s_add_u32 s0, s0, s8
	s_load_dwordx4 s[12:15], s[4:5], 0x4
	s_load_dwordx2 s[20:21], s[4:5], 0x14
	s_load_dwordx4 s[8:11], s[4:5], 0x38
	s_load_dwordx2 s[16:17], s[4:5], 0x48
	s_load_dword s27, s[4:5], 0x68
	s_addc_u32 s1, s1, 0
	s_waitcnt lgkmcnt(0)
	s_min_i32 s26, s14, 64
	v_cmp_gt_i32_e32 vcc, s26, v0
	s_and_saveexec_b64 s[18:19], vcc
	s_cbranch_execz .LBB175_15
; %bb.1:
	s_load_dword s24, s[4:5], 0x30
	s_load_dwordx4 s[28:31], s[4:5], 0x20
	s_mul_i32 s9, s9, s7
	s_mul_hi_u32 s33, s8, s7
	s_mul_i32 s8, s8, s7
	s_waitcnt lgkmcnt(0)
	s_ashr_i32 s25, s24, 31
	s_cmpk_lg_i32 s12, 0x71
	s_cselect_b64 s[22:23], -1, 0
	s_add_i32 s9, s33, s9
	s_lshl_b64 s[8:9], s[8:9], 3
	s_lshl_b64 s[30:31], s[30:31], 3
	s_add_u32 s8, s8, s30
	s_addc_u32 s9, s9, s31
	s_add_u32 s8, s28, s8
	v_lshlrev_b32_e32 v5, 3, v0
	s_addc_u32 s9, s29, s9
	v_mov_b32_e32 v1, s9
	v_add_co_u32_e32 v2, vcc, s8, v5
	v_addc_co_u32_e32 v3, vcc, 0, v1, vcc
	v_add_co_u32_e32 v1, vcc, 4, v2
	s_lshl_b64 s[8:9], s[24:25], 3
	v_addc_co_u32_e32 v2, vcc, 0, v3, vcc
	v_mov_b32_e32 v6, s9
	v_mov_b32_e32 v7, v5
	s_mov_b32 s9, s26
	s_branch .LBB175_3
.LBB175_2:                              ;   in Loop: Header=BB175_3 Depth=1
	global_load_dword v3, v[1:2], off offset:-4
	s_add_i32 s9, s9, -1
	v_add_co_u32_e32 v1, vcc, s8, v1
	v_addc_co_u32_e32 v2, vcc, v2, v6, vcc
	s_cmp_eq_u32 s9, 0
	s_waitcnt vmcnt(0)
	ds_write_b64 v7, v[3:4]
	v_add_u32_e32 v7, 0x200, v7
	s_cbranch_scc1 .LBB175_7
.LBB175_3:                              ; =>This Inner Loop Header: Depth=1
	s_mov_b64 s[24:25], -1
	s_and_b64 vcc, exec, s[22:23]
                                        ; implicit-def: $vgpr4
	s_cbranch_vccz .LBB175_5
; %bb.4:                                ;   in Loop: Header=BB175_3 Depth=1
	global_load_dword v4, v[1:2], off
	s_mov_b64 s[24:25], 0
.LBB175_5:                              ;   in Loop: Header=BB175_3 Depth=1
	s_andn2_b64 vcc, exec, s[24:25]
	s_cbranch_vccnz .LBB175_2
; %bb.6:                                ;   in Loop: Header=BB175_3 Depth=1
	global_load_dword v3, v[1:2], off
	s_waitcnt vmcnt(0)
	v_xor_b32_e32 v4, 0x80000000, v3
	s_branch .LBB175_2
.LBB175_7:
	v_lshlrev_b32_e32 v1, 9, v0
	s_cmpk_lg_i32 s13, 0x84
	s_mov_b64 s[8:9], -1
	v_add_u32_e32 v5, v5, v1
	s_cbranch_scc0 .LBB175_13
; %bb.8:
	ds_read_b64 v[1:2], v5
                                        ; implicit-def: $vgpr3
	s_waitcnt lgkmcnt(0)
	v_cmp_ngt_f32_e64 s[8:9], |v1|, |v2|
	s_and_saveexec_b64 s[22:23], s[8:9]
	s_xor_b64 s[8:9], exec, s[22:23]
	s_cbranch_execz .LBB175_10
; %bb.9:
	v_div_scale_f32 v3, s[22:23], v2, v2, v1
	v_div_scale_f32 v4, vcc, v1, v2, v1
	v_rcp_f32_e32 v6, v3
	v_fma_f32 v7, -v3, v6, 1.0
	v_fmac_f32_e32 v6, v7, v6
	v_mul_f32_e32 v7, v4, v6
	v_fma_f32 v8, -v3, v7, v4
	v_fmac_f32_e32 v7, v8, v6
	v_fma_f32 v3, -v3, v7, v4
	v_div_fmas_f32 v3, v3, v6, v7
	v_div_fixup_f32 v3, v3, v2, v1
	v_fmac_f32_e32 v2, v1, v3
	v_div_scale_f32 v1, s[22:23], v2, v2, 1.0
	v_div_scale_f32 v4, vcc, 1.0, v2, 1.0
	v_rcp_f32_e32 v6, v1
	v_fma_f32 v7, -v1, v6, 1.0
	v_fmac_f32_e32 v6, v7, v6
	v_mul_f32_e32 v7, v4, v6
	v_fma_f32 v8, -v1, v7, v4
	v_fmac_f32_e32 v7, v8, v6
	v_fma_f32 v1, -v1, v7, v4
	v_div_fmas_f32 v1, v1, v6, v7
	v_add_f32_e32 v4, 0, v3
	v_fma_f32 v6, v3, 0, -1.0
	v_div_fixup_f32 v1, v1, v2, 1.0
	v_mul_f32_e32 v3, v4, v1
	v_mul_f32_e32 v4, v6, v1
                                        ; implicit-def: $vgpr1_vgpr2
.LBB175_10:
	s_andn2_saveexec_b64 s[8:9], s[8:9]
	s_cbranch_execz .LBB175_12
; %bb.11:
	v_div_scale_f32 v3, s[22:23], v1, v1, v2
	v_div_scale_f32 v4, vcc, v2, v1, v2
	v_rcp_f32_e32 v6, v3
	v_fma_f32 v7, -v3, v6, 1.0
	v_fmac_f32_e32 v6, v7, v6
	v_mul_f32_e32 v7, v4, v6
	v_fma_f32 v8, -v3, v7, v4
	v_fmac_f32_e32 v7, v8, v6
	v_fma_f32 v3, -v3, v7, v4
	v_div_fmas_f32 v3, v3, v6, v7
	v_div_fixup_f32 v4, v3, v1, v2
	v_fmac_f32_e32 v1, v2, v4
	v_div_scale_f32 v2, s[22:23], v1, v1, 1.0
	v_div_scale_f32 v3, vcc, 1.0, v1, 1.0
	v_rcp_f32_e32 v6, v2
	v_fma_f32 v7, -v2, v6, 1.0
	v_fmac_f32_e32 v6, v7, v6
	v_mul_f32_e32 v7, v3, v6
	v_fma_f32 v8, -v2, v7, v3
	v_fmac_f32_e32 v7, v8, v6
	v_fma_f32 v2, -v2, v7, v3
	v_div_fmas_f32 v2, v2, v6, v7
	v_fma_f32 v3, v4, 0, 1.0
	v_div_fixup_f32 v1, v2, v1, 1.0
	v_mul_f32_e32 v3, v3, v1
	v_mul_f32_e64 v4, -v4, v1
.LBB175_12:
	s_or_b64 exec, exec, s[8:9]
	s_mov_b64 s[8:9], 0
	ds_write_b64 v5, v[3:4]
.LBB175_13:
	s_and_b64 vcc, exec, s[8:9]
	s_cbranch_vccz .LBB175_15
; %bb.14:
	v_mov_b32_e32 v1, 1.0
	v_mov_b32_e32 v2, 0
	ds_write_b64 v5, v[1:2]
.LBB175_15:
	s_or_b64 exec, exec, s[18:19]
	s_load_dword s24, s[4:5], 0x50
	s_load_dwordx2 s[8:9], s[4:5], 0x58
	s_add_i32 s27, s27, -1
	s_waitcnt lgkmcnt(0)
	s_ashr_i32 s13, s24, 31
	s_mul_i32 s4, s9, s7
	s_mul_hi_u32 s5, s8, s7
	s_mul_i32 s18, s8, s7
	s_lshl_b32 s8, s6, 6
	s_add_i32 s19, s5, s4
	s_sub_i32 s4, s15, s8
	s_cmp_ge_u32 s6, s27
	s_cselect_b32 s4, s4, 64
	s_ashr_i32 s9, s8, 31
	s_cmp_gt_i32 s14, 0
	v_cmp_gt_i32_e64 s[4:5], s4, v0
	s_cselect_b64 s[6:7], -1, 0
	s_and_b64 s[28:29], s[4:5], s[6:7]
	s_and_saveexec_b64 s[22:23], s[28:29]
	s_cbranch_execz .LBB175_18
; %bb.16:
	v_lshlrev_b32_e32 v3, 3, v0
	s_lshl_b64 s[30:31], s[8:9], 3
	s_lshl_b64 s[28:29], s[18:19], 3
	v_mov_b32_e32 v1, s31
	v_add_co_u32_e32 v4, vcc, s30, v3
	s_lshl_b64 s[30:31], s[16:17], 3
	s_add_u32 s9, s10, s30
	s_addc_u32 s15, s11, s31
	s_add_u32 s28, s9, s28
	v_addc_co_u32_e32 v5, vcc, 0, v1, vcc
	s_addc_u32 s29, s15, s29
	v_mov_b32_e32 v1, s28
	v_mov_b32_e32 v2, s29
	v_mad_u64_u32 v[1:2], s[28:29], v4, s24, v[1:2]
	v_mul_lo_u32 v4, v4, s13
	v_mul_lo_u32 v5, v5, s24
	v_add_co_u32_e32 v1, vcc, 4, v1
	v_or_b32_e32 v3, 0x8000, v3
	v_add3_u32 v2, v5, v2, v4
	v_addc_co_u32_e32 v2, vcc, 0, v2, vcc
	s_mov_b32 s9, s26
.LBB175_17:                             ; =>This Inner Loop Header: Depth=1
	global_load_dwordx2 v[4:5], v[1:2], off offset:-4
	s_add_i32 s9, s9, -1
	v_add_co_u32_e32 v1, vcc, 8, v1
	v_addc_co_u32_e32 v2, vcc, 0, v2, vcc
	s_cmp_lg_u32 s9, 0
	s_waitcnt vmcnt(0)
	v_mul_f32_e32 v7, s21, v5
	v_mul_f32_e32 v6, s20, v5
	v_fma_f32 v5, s20, v4, -v7
	v_fmac_f32_e32 v6, s21, v4
	ds_write_b64 v3, v[5:6]
	v_add_u32_e32 v3, 0x200, v3
	s_cbranch_scc1 .LBB175_17
.LBB175_18:
	s_or_b64 exec, exec, s[22:23]
	v_mov_b32_e32 v1, 0x8000
	s_cmpk_eq_i32 s12, 0x6f
	v_lshl_or_b32 v58, v0, 3, v1
	s_mov_b64 s[12:13], -1
	s_waitcnt lgkmcnt(0)
	; wave barrier
	s_cbranch_scc1 .LBB175_54
; %bb.19:
	s_add_i32 s9, s26, -1
	s_cmp_gt_i32 s14, 31
	s_mov_b32 s12, s9
	s_cbranch_scc0 .LBB175_27
; %bb.20:
	v_lshlrev_b32_e32 v1, 3, v0
	v_lshl_or_b32 v1, s26, 9, v1
	s_lshl_b32 s12, s26, 3
	buffer_store_dword v0, off, s[0:3], 0 offset:268 ; 4-byte Folded Spill
	v_add_u32_e32 v0, 0x7e00, v1
	s_addk_i32 s12, 0xc1f8
	s_mov_b32 s14, s9
	buffer_store_dword v0, off, s[0:3], 0 offset:264 ; 4-byte Folded Spill
	s_branch .LBB175_22
.LBB175_21:                             ;   in Loop: Header=BB175_22 Depth=1
	buffer_load_dword v17, off, s[0:3], 0 offset:24
	buffer_load_dword v19, off, s[0:3], 0 offset:28
	s_add_i32 s21, s13, -1
	s_add_i32 s22, s13, -2
	s_lshl_b32 s23, s21, 9
	s_lshl_b32 s27, s21, 3
	;; [unrolled: 1-line block ×4, first 2 shown]
	s_mul_i32 s15, s13, 0x208
	s_lshl_b32 s20, s13, 3
	s_add_i32 s25, s13, -3
	s_add_i32 s28, s21, s28
	v_mov_b32_e32 v7, s15
	s_lshl_b32 s22, s25, 9
	s_add_i32 s27, s23, s27
	s_add_i32 s29, s21, s20
	v_mov_b32_e32 v23, s28
	buffer_load_dword v21, off, s[0:3], 0 offset:32
	buffer_load_dword v38, off, s[0:3], 0 offset:36
	;; [unrolled: 1-line block ×6, first 2 shown]
	s_add_i32 s30, s22, s20
	v_mov_b32_e32 v9, s27
	v_mov_b32_e32 v10, s29
	ds_read_b64 v[7:8], v7
	ds_read2_b64 v[13:16], v9 offset1:1
	ds_read_b64 v[11:12], v10
	ds_read2_b64 v[23:26], v23 offset1:1
	s_lshl_b32 s25, s25, 3
	s_add_i32 s27, s30, -8
	s_add_i32 s25, s22, s25
	v_mov_b32_e32 v9, s27
	s_waitcnt lgkmcnt(3)
	v_mul_f32_e32 v10, v7, v2
	v_mov_b32_e32 v27, s25
	ds_read2_b64 v[30:33], v9 offset1:1
	ds_read2_b64 v[34:37], v27 offset1:1
	v_mul_f32_e32 v9, v8, v2
	v_fmac_f32_e32 v10, v8, v1
	v_fma_f32 v9, v7, v1, -v9
	s_waitcnt lgkmcnt(4)
	v_mul_f32_e32 v2, v15, v10
	v_mul_f32_e32 v1, v16, v10
	v_fmac_f32_e32 v2, v16, v9
	s_waitcnt lgkmcnt(3)
	v_mul_f32_e32 v8, v11, v10
	v_fma_f32 v1, v15, v9, -v1
	s_waitcnt vmcnt(48)
	v_sub_f32_e32 v2, v6, v2
	v_mul_f32_e32 v7, v12, v10
	v_fmac_f32_e32 v8, v12, v9
	v_sub_f32_e32 v1, v5, v1
	v_mul_f32_e32 v12, v13, v2
	v_fma_f32 v7, v11, v9, -v7
	s_waitcnt lgkmcnt(1)
	v_mul_f32_e32 v11, v33, v10
	v_mul_f32_e32 v6, v14, v2
	v_fmac_f32_e32 v12, v14, v1
	v_fma_f32 v5, v32, v9, -v11
	v_fma_f32 v11, v13, v1, -v6
	v_mul_f32_e32 v2, v25, v12
	v_sub_f32_e32 v4, v4, v8
	v_mul_f32_e32 v1, v26, v12
	v_fmac_f32_e32 v2, v26, v11
	v_sub_f32_e32 v3, v3, v7
	v_fma_f32 v1, v25, v11, -v1
	v_sub_f32_e32 v2, v4, v2
	v_mul_f32_e32 v15, v32, v10
	v_sub_f32_e32 v1, v3, v1
	v_mul_f32_e32 v14, v23, v2
	v_fmac_f32_e32 v15, v33, v9
	v_mul_f32_e32 v7, v30, v12
	v_mul_f32_e32 v3, v24, v2
	v_fmac_f32_e32 v14, v24, v1
	v_mul_f32_e32 v6, v31, v12
	v_fmac_f32_e32 v7, v31, v11
	v_fma_f32 v13, v23, v1, -v3
	s_waitcnt lgkmcnt(0)
	v_mul_f32_e32 v2, v36, v14
	v_fma_f32 v6, v30, v11, -v6
	v_mul_f32_e32 v1, v37, v14
	v_fmac_f32_e32 v2, v37, v13
	v_fma_f32 v1, v36, v13, -v1
	s_add_i32 s27, s13, -4
	s_lshl_b32 s25, s27, 9
	s_add_i32 s28, s13, -5
	s_add_i32 s30, s25, s20
	s_lshl_b32 s29, s27, 3
	s_lshl_b32 s27, s28, 9
	s_add_i32 s29, s25, s29
	s_add_i32 s33, s27, s20
	s_lshl_b32 s35, s28, 3
	s_add_i32 s39, s27, s35
	s_waitcnt vmcnt(7)
	v_sub_f32_e32 v3, v17, v5
	s_waitcnt vmcnt(6)
	v_sub_f32_e32 v4, v19, v15
	v_sub_f32_e32 v4, v4, v7
	;; [unrolled: 1-line block ×5, first 2 shown]
	v_mul_f32_e32 v3, v35, v2
	v_mul_f32_e32 v2, v34, v2
	v_fmac_f32_e32 v2, v35, v1
	v_fma_f32 v3, v34, v1, -v3
	buffer_store_dword v2, off, s[0:3], 0 offset:28
	buffer_load_dword v16, off, s[0:3], 0 offset:28
	v_mov_b32_e32 v1, s30
	buffer_store_dword v3, off, s[0:3], 0 offset:24
	buffer_load_dword v15, off, s[0:3], 0 offset:24
	ds_read_b64 v[27:28], v1
	s_add_i32 s30, s30, -16
	v_mov_b32_e32 v2, s29
	s_add_i32 s29, s33, -8
	v_mov_b32_e32 v1, s30
	v_mov_b32_e32 v3, s29
	ds_read2_b64 v[23:26], v1 offset1:1
	ds_read2_b64 v[5:8], v2 offset1:1
	;; [unrolled: 1-line block ×3, first 2 shown]
	s_waitcnt lgkmcnt(3)
	v_mul_f32_e32 v17, v28, v10
	v_mul_f32_e32 v19, v27, v10
	v_fma_f32 v17, v27, v9, -v17
	v_fmac_f32_e32 v19, v28, v9
	s_waitcnt lgkmcnt(2)
	v_mul_f32_e32 v27, v26, v12
	v_mul_f32_e32 v28, v25, v12
	v_fma_f32 v25, v25, v11, -v27
	v_fmac_f32_e32 v28, v26, v11
	v_mul_f32_e32 v27, v23, v14
	s_waitcnt vmcnt(8)
	v_sub_f32_e32 v19, v38, v19
	v_mul_f32_e32 v26, v24, v14
	v_fmac_f32_e32 v27, v24, v13
	v_sub_f32_e32 v17, v21, v17
	v_sub_f32_e32 v19, v19, v28
	v_fma_f32 v23, v23, v13, -v26
	v_sub_f32_e32 v17, v17, v25
	v_sub_f32_e32 v32, v19, v27
	;; [unrolled: 1-line block ×3, first 2 shown]
	buffer_load_dword v17, off, s[0:3], 0 offset:24
	buffer_load_dword v19, off, s[0:3], 0 offset:24
	;; [unrolled: 1-line block ×14, first 2 shown]
	s_sub_i32 s33, s33, 24
	v_mov_b32_e32 v35, s39
	s_waitcnt lgkmcnt(0)
	v_mul_f32_e32 v36, v3, v10
	v_fmac_f32_e32 v36, v4, v9
	s_add_i32 s29, s13, -6
	s_add_i32 s30, s13, -7
	;; [unrolled: 1-line block ×3, first 2 shown]
	s_lshl_b32 s28, s29, 9
	s_lshl_b32 s36, s29, 3
	;; [unrolled: 1-line block ×5, first 2 shown]
	s_add_i32 s40, s28, s20
	s_add_i32 s36, s28, s36
	;; [unrolled: 1-line block ×5, first 2 shown]
	v_mov_b32_e32 v37, s40
	s_add_i32 s39, s40, -16
	s_sub_i32 s43, s42, 32
	v_mov_b32_e32 v38, s39
	v_mov_b32_e32 v56, s43
	s_add_i32 s34, s13, -9
	s_lshl_b32 s38, s31, 3
	s_lshl_b32 s31, s34, 9
	s_add_i32 s38, s30, s38
	s_add_i32 s35, s31, s20
	s_waitcnt vmcnt(16)
	v_mul_f32_e32 v34, v7, v16
	v_mul_f32_e32 v33, v8, v16
	s_waitcnt vmcnt(14)
	v_fmac_f32_e32 v34, v8, v15
	v_fma_f32 v7, v7, v15, -v33
	v_sub_f32_e32 v8, v32, v34
	v_sub_f32_e32 v7, v31, v7
	v_mul_f32_e32 v31, v6, v8
	v_mul_f32_e32 v8, v5, v8
	v_fmac_f32_e32 v8, v6, v7
	v_fma_f32 v5, v5, v7, -v31
	buffer_store_dword v8, off, s[0:3], 0 offset:36
	buffer_load_dword v6, off, s[0:3], 0 offset:36
	v_mov_b32_e32 v31, s33
	buffer_store_dword v5, off, s[0:3], 0 offset:32
	buffer_load_dword v5, off, s[0:3], 0 offset:32
	s_nop 0
	buffer_load_dword v7, off, s[0:3], 0 offset:56
	buffer_load_dword v8, off, s[0:3], 0 offset:60
	;; [unrolled: 1-line block ×8, first 2 shown]
	ds_read2_b64 v[31:34], v31 offset1:1
	ds_read2_b64 v[64:67], v35 offset1:1
	v_mul_f32_e32 v35, v4, v10
	v_fma_f32 v3, v3, v9, -v35
	v_mul_f32_e32 v4, v2, v12
	v_mul_f32_e32 v35, v1, v12
	v_fma_f32 v1, v1, v11, -v4
	v_fmac_f32_e32 v35, v2, v11
	s_waitcnt lgkmcnt(1)
	v_mul_f32_e32 v2, v34, v14
	v_mul_f32_e32 v4, v33, v14
	v_sub_f32_e32 v3, v22, v3
	v_sub_f32_e32 v22, v29, v36
	v_fma_f32 v2, v33, v13, -v2
	v_fmac_f32_e32 v4, v34, v13
	v_sub_f32_e32 v1, v3, v1
	v_sub_f32_e32 v3, v22, v35
	;; [unrolled: 1-line block ×4, first 2 shown]
	v_mul_f32_e32 v4, v31, v16
	v_mul_f32_e32 v3, v32, v16
	v_fmac_f32_e32 v4, v32, v15
	v_fma_f32 v3, v31, v15, -v3
	v_sub_f32_e32 v2, v2, v4
	v_sub_f32_e32 v1, v1, v3
	buffer_load_dword v94, off, s[0:3], 0 offset:32
	buffer_load_dword v55, off, s[0:3], 0 offset:32
	buffer_load_dword v22, off, s[0:3], 0 offset:32
	buffer_load_dword v36, off, s[0:3], 0 offset:32
	buffer_load_dword v44, off, s[0:3], 0 offset:32
	buffer_load_dword v42, off, s[0:3], 0 offset:32
	buffer_load_dword v32, off, s[0:3], 0 offset:32
	buffer_load_dword v104, off, s[0:3], 0 offset:36
	buffer_load_dword v82, off, s[0:3], 0 offset:36
	buffer_load_dword v69, off, s[0:3], 0 offset:36
	buffer_load_dword v70, off, s[0:3], 0 offset:36
	buffer_load_dword v51, off, s[0:3], 0 offset:36
	buffer_load_dword v63, off, s[0:3], 0 offset:36
	buffer_load_dword v33, off, s[0:3], 0 offset:36
	s_sub_i32 s33, s40, 32
	v_mov_b32_e32 v29, s36
	s_add_i32 s36, s41, -8
	s_sub_i32 s40, s41, 24
	s_sub_i32 s41, s41, 40
	v_mov_b32_e32 v31, s37
	v_mov_b32_e32 v34, s42
	s_add_i32 s37, s42, -16
	s_sub_i32 s42, s42, 48
	v_mov_b32_e32 v39, s33
	v_mov_b32_e32 v46, s36
	;; [unrolled: 1-line block ×7, first 2 shown]
	s_add_i32 s38, s35, -8
	v_mov_b32_e32 v68, s38
	s_lshl_b32 s33, s34, 3
	s_add_i32 s33, s31, s33
	s_sub_i32 s34, s35, 24
	s_sub_i32 s36, s35, 40
	s_sub_i32 s35, s35, 56
	s_waitcnt vmcnt(24) lgkmcnt(0)
	v_mul_f32_e32 v4, v66, v6
	v_mul_f32_e32 v3, v67, v6
	s_waitcnt vmcnt(22)
	v_fmac_f32_e32 v4, v67, v5
	v_fma_f32 v3, v66, v5, -v3
	v_sub_f32_e32 v2, v2, v4
	v_sub_f32_e32 v1, v1, v3
	v_mul_f32_e32 v3, v65, v2
	v_mul_f32_e32 v2, v64, v2
	v_fmac_f32_e32 v2, v65, v1
	v_fma_f32 v3, v64, v1, -v3
	buffer_store_dword v2, off, s[0:3], 0 offset:44
	buffer_load_dword v2, off, s[0:3], 0 offset:44
	s_nop 0
	buffer_store_dword v3, off, s[0:3], 0 offset:40
	buffer_load_dword v1, off, s[0:3], 0 offset:40
	ds_read_b64 v[3:4], v37
	ds_read2_b64 v[64:67], v38 offset1:1
	ds_read2_b64 v[75:78], v39 offset1:1
	;; [unrolled: 1-line block ×7, first 2 shown]
	ds_read_b64 v[91:92], v34
	ds_read2_b64 v[119:122], v54 offset1:1
	ds_read2_b64 v[123:126], v56 offset1:1
	;; [unrolled: 1-line block ×3, first 2 shown]
	s_waitcnt lgkmcnt(11)
	v_mul_f32_e32 v29, v4, v10
	v_mul_f32_e32 v31, v3, v10
	v_fma_f32 v3, v3, v9, -v29
	v_fmac_f32_e32 v31, v4, v9
	s_waitcnt lgkmcnt(10)
	v_mul_f32_e32 v4, v67, v12
	v_mul_f32_e32 v29, v66, v12
	v_fma_f32 v4, v66, v11, -v4
	v_fmac_f32_e32 v29, v67, v11
	v_mul_f32_e32 v37, v64, v14
	v_sub_f32_e32 v3, v18, v3
	v_sub_f32_e32 v18, v20, v31
	v_mul_f32_e32 v34, v65, v14
	v_fmac_f32_e32 v37, v65, v13
	v_sub_f32_e32 v3, v3, v4
	v_sub_f32_e32 v4, v18, v29
	s_waitcnt lgkmcnt(9)
	v_mul_f32_e32 v20, v77, v16
	v_fma_f32 v34, v64, v13, -v34
	v_sub_f32_e32 v4, v4, v37
	v_mul_f32_e32 v18, v78, v16
	v_fmac_f32_e32 v20, v78, v15
	v_sub_f32_e32 v3, v3, v34
	v_fma_f32 v18, v77, v15, -v18
	v_sub_f32_e32 v4, v4, v20
	v_mul_f32_e32 v20, v75, v6
	v_sub_f32_e32 v3, v3, v18
	v_mul_f32_e32 v18, v76, v6
	v_fmac_f32_e32 v20, v76, v5
	v_fma_f32 v18, v75, v5, -v18
	v_sub_f32_e32 v4, v4, v20
	v_sub_f32_e32 v3, v3, v18
	buffer_load_dword v18, off, s[0:3], 0 offset:40
	buffer_load_dword v20, off, s[0:3], 0 offset:40
	buffer_load_dword v79, off, s[0:3], 0 offset:40
	buffer_load_dword v83, off, s[0:3], 0 offset:40
	buffer_load_dword v62, off, s[0:3], 0 offset:40
	buffer_load_dword v65, off, s[0:3], 0 offset:40
	buffer_load_dword v38, off, s[0:3], 0 offset:40
	buffer_load_dword v75, off, s[0:3], 0 offset:44
	buffer_load_dword v143, off, s[0:3], 0 offset:44
	buffer_load_dword v81, off, s[0:3], 0 offset:44
	buffer_load_dword v85, off, s[0:3], 0 offset:44
	buffer_load_dword v73, off, s[0:3], 0 offset:44
	buffer_load_dword v71, off, s[0:3], 0 offset:44
	buffer_load_dword v39, off, s[0:3], 0 offset:44
	s_waitcnt lgkmcnt(7)
	v_mul_f32_e32 v34, v102, v10
	v_fma_f32 v34, v101, v9, -v34
	v_mul_f32_e32 v37, v100, v12
	v_mul_f32_e32 v46, v99, v12
	v_fma_f32 v37, v99, v11, -v37
	v_fmac_f32_e32 v46, v100, v11
	s_waitcnt lgkmcnt(6)
	v_mul_f32_e32 v53, v110, v14
	v_mul_f32_e32 v54, v109, v14
	s_waitcnt vmcnt(39)
	v_sub_f32_e32 v7, v7, v34
	v_fma_f32 v53, v109, v13, -v53
	v_fmac_f32_e32 v54, v110, v13
	v_sub_f32_e32 v7, v7, v37
	v_mul_f32_e32 v34, v108, v16
	v_sub_f32_e32 v7, v7, v53
	v_fma_f32 v34, v107, v15, -v34
	v_sub_f32_e32 v7, v7, v34
	s_waitcnt lgkmcnt(5)
	v_mul_f32_e32 v34, v114, v6
	v_fma_f32 v34, v113, v5, -v34
	v_sub_f32_e32 v7, v7, v34
	s_waitcnt vmcnt(16)
	v_mul_f32_e32 v31, v88, v2
	v_mul_f32_e32 v29, v89, v2
	;; [unrolled: 1-line block ×3, first 2 shown]
	s_waitcnt vmcnt(14)
	v_fmac_f32_e32 v31, v89, v1
	v_fma_f32 v29, v88, v1, -v29
	v_sub_f32_e32 v4, v4, v31
	v_sub_f32_e32 v3, v3, v29
	v_mul_f32_e32 v29, v87, v4
	v_mul_f32_e32 v4, v86, v4
	v_fma_f32 v29, v86, v3, -v29
	v_fmac_f32_e32 v4, v87, v3
	buffer_store_dword v29, off, s[0:3], 0 offset:48
	buffer_store_dword v4, off, s[0:3], 0 offset:52
	buffer_load_dword v4, off, s[0:3], 0 offset:52
	s_nop 0
	buffer_load_dword v3, off, s[0:3], 0 offset:48
	ds_read2_b64 v[131:134], v35 offset1:1
	ds_read2_b64 v[135:138], v68 offset1:1
	v_mul_f32_e32 v35, v101, v10
	buffer_store_dword v9, off, s[0:3], 0
	buffer_store_dword v10, off, s[0:3], 0 offset:4
	v_fmac_f32_e32 v35, v102, v9
	buffer_load_dword v86, off, s[0:3], 0
	buffer_load_dword v144, off, s[0:3], 0
	;; [unrolled: 1-line block ×8, first 2 shown]
	buffer_load_dword v139, off, s[0:3], 0 offset:4
	buffer_load_dword v145, off, s[0:3], 0 offset:4
	;; [unrolled: 1-line block ×8, first 2 shown]
	s_nop 0
	buffer_store_dword v11, off, s[0:3], 0 offset:8
	buffer_store_dword v12, off, s[0:3], 0 offset:12
	v_sub_f32_e32 v8, v8, v35
	buffer_load_dword v99, off, s[0:3], 0 offset:8
	buffer_load_dword v140, off, s[0:3], 0 offset:12
	v_sub_f32_e32 v8, v8, v46
	v_mul_f32_e32 v35, v107, v16
	buffer_store_dword v13, off, s[0:3], 0 offset:16
	buffer_store_dword v14, off, s[0:3], 0 offset:20
	v_sub_f32_e32 v8, v8, v54
	v_fmac_f32_e32 v35, v108, v15
	buffer_load_dword v110, off, s[0:3], 0 offset:16
	buffer_load_dword v141, off, s[0:3], 0 offset:20
	v_sub_f32_e32 v8, v8, v35
	v_mul_f32_e32 v35, v113, v6
	v_fmac_f32_e32 v35, v114, v5
	v_sub_f32_e32 v8, v8, v35
	v_mul_f32_e32 v35, v111, v2
	v_fma_f32 v34, v111, v1, -v34
	v_fmac_f32_e32 v35, v112, v1
	v_sub_f32_e32 v7, v7, v34
	v_sub_f32_e32 v8, v8, v35
	buffer_load_dword v112, off, s[0:3], 0 offset:48
	buffer_load_dword v109, off, s[0:3], 0 offset:48
	;; [unrolled: 1-line block ×14, first 2 shown]
	s_waitcnt vmcnt(29) lgkmcnt(5)
	v_mul_f32_e32 v108, v92, v139
	v_mul_f32_e32 v46, v117, v4
	;; [unrolled: 1-line block ×3, first 2 shown]
	v_fmac_f32_e32 v46, v118, v3
	v_fma_f32 v34, v117, v3, -v34
	v_sub_f32_e32 v8, v8, v46
	v_sub_f32_e32 v7, v7, v34
	v_mul_f32_e32 v34, v116, v8
	v_mul_f32_e32 v8, v115, v8
	v_fmac_f32_e32 v8, v116, v7
	buffer_store_dword v8, off, s[0:3], 0 offset:60
	buffer_load_dword v8, off, s[0:3], 0 offset:60
	v_fma_f32 v34, v115, v7, -v34
	buffer_store_dword v34, off, s[0:3], 0 offset:56
	buffer_load_dword v7, off, s[0:3], 0 offset:56
	buffer_load_dword v147, off, s[0:3], 0 offset:8
	buffer_load_dword v148, off, s[0:3], 0 offset:8
	buffer_load_dword v113, off, s[0:3], 0 offset:8
	buffer_load_dword v100, off, s[0:3], 0 offset:8
	buffer_load_dword v87, off, s[0:3], 0 offset:8
	buffer_load_dword v66, off, s[0:3], 0 offset:8
	buffer_load_dword v34, off, s[0:3], 0 offset:8
	buffer_load_dword v149, off, s[0:3], 0 offset:12
	buffer_load_dword v150, off, s[0:3], 0 offset:12
	buffer_load_dword v116, off, s[0:3], 0 offset:12
	buffer_load_dword v101, off, s[0:3], 0 offset:12
	buffer_load_dword v89, off, s[0:3], 0 offset:12
	buffer_load_dword v67, off, s[0:3], 0 offset:12
	buffer_load_dword v46, off, s[0:3], 0 offset:12
	buffer_load_dword v151, off, s[0:3], 0 offset:16
	buffer_load_dword v152, off, s[0:3], 0 offset:16
	buffer_load_dword v115, off, s[0:3], 0 offset:16
	buffer_load_dword v102, off, s[0:3], 0 offset:16
	buffer_load_dword v88, off, s[0:3], 0 offset:16
	buffer_load_dword v68, off, s[0:3], 0 offset:16
	buffer_load_dword v53, off, s[0:3], 0 offset:16
	buffer_load_dword v153, off, s[0:3], 0 offset:20
	buffer_load_dword v154, off, s[0:3], 0 offset:20
	buffer_load_dword v117, off, s[0:3], 0 offset:20
	buffer_load_dword v103, off, s[0:3], 0 offset:20
	buffer_load_dword v90, off, s[0:3], 0 offset:20
	buffer_load_dword v72, off, s[0:3], 0 offset:20
	buffer_load_dword v54, off, s[0:3], 0 offset:20
	v_mul_f32_e32 v118, v91, v139
	v_fma_f32 v91, v91, v86, -v108
	v_fmac_f32_e32 v118, v92, v86
	s_waitcnt vmcnt(50) lgkmcnt(4)
	v_mul_f32_e32 v86, v122, v140
	v_sub_f32_e32 v47, v47, v91
	v_mul_f32_e32 v91, v121, v140
	v_fma_f32 v86, v121, v99, -v86
	v_sub_f32_e32 v74, v74, v118
	v_fmac_f32_e32 v91, v122, v99
	v_sub_f32_e32 v47, v47, v86
	s_waitcnt vmcnt(46)
	v_mul_f32_e32 v86, v120, v141
	v_sub_f32_e32 v74, v74, v91
	v_mul_f32_e32 v91, v119, v141
	v_fma_f32 v86, v119, v110, -v86
	v_fmac_f32_e32 v91, v120, v110
	v_sub_f32_e32 v47, v47, v86
	s_waitcnt lgkmcnt(3)
	v_mul_f32_e32 v86, v126, v43
	v_mul_f32_e32 v43, v125, v43
	v_sub_f32_e32 v74, v74, v91
	v_fma_f32 v86, v125, v17, -v86
	v_fmac_f32_e32 v43, v126, v17
	v_sub_f32_e32 v17, v47, v86
	v_sub_f32_e32 v43, v74, v43
	v_mul_f32_e32 v47, v124, v104
	v_mul_f32_e32 v74, v123, v104
	v_fma_f32 v47, v123, v94, -v47
	v_fmac_f32_e32 v74, v124, v94
	v_sub_f32_e32 v17, v17, v47
	v_sub_f32_e32 v43, v43, v74
	s_waitcnt lgkmcnt(2)
	v_mul_f32_e32 v47, v130, v75
	v_mul_f32_e32 v74, v129, v75
	v_fma_f32 v47, v129, v18, -v47
	v_fmac_f32_e32 v74, v130, v18
	v_sub_f32_e32 v17, v17, v47
	v_sub_f32_e32 v18, v43, v74
	v_mul_f32_e32 v43, v128, v4
	v_mul_f32_e32 v47, v127, v4
	v_fma_f32 v43, v127, v3, -v43
	v_fmac_f32_e32 v47, v128, v3
	v_sub_f32_e32 v17, v17, v43
	v_sub_f32_e32 v18, v18, v47
	buffer_load_dword v86, off, s[0:3], 0 offset:60
	buffer_load_dword v155, off, s[0:3], 0 offset:60
	;; [unrolled: 1-line block ×14, first 2 shown]
	v_mov_b32_e32 v124, s36
	v_mov_b32_e32 v128, s35
	s_waitcnt vmcnt(44) lgkmcnt(1)
	v_mul_f32_e32 v94, v134, v8
	v_mul_f32_e32 v110, v133, v8
	s_waitcnt vmcnt(42)
	v_fma_f32 v94, v133, v7, -v94
	v_fmac_f32_e32 v110, v134, v7
	v_sub_f32_e32 v17, v17, v94
	v_sub_f32_e32 v94, v18, v110
	v_mul_f32_e32 v18, v131, v94
	v_fmac_f32_e32 v18, v132, v17
	v_mul_f32_e32 v94, v132, v94
	buffer_store_dword v18, off, s[0:3], 0 offset:68
	v_fma_f32 v17, v131, v17, -v94
	buffer_load_dword v18, off, s[0:3], 0 offset:68
	v_mov_b32_e32 v94, s33
	buffer_store_dword v17, off, s[0:3], 0 offset:64
	buffer_load_dword v17, off, s[0:3], 0 offset:64
	v_mov_b32_e32 v110, s34
	ds_read2_b64 v[120:123], v110 offset1:1
	ds_read2_b64 v[124:127], v124 offset1:1
	;; [unrolled: 1-line block ×4, first 2 shown]
	s_waitcnt lgkmcnt(4)
	v_mul_f32_e32 v94, v138, v145
	v_fma_f32 v94, v137, v144, -v94
	v_mul_f32_e32 v110, v137, v145
	v_sub_f32_e32 v48, v48, v94
	s_waitcnt vmcnt(38)
	v_mul_f32_e32 v94, v136, v149
	v_fmac_f32_e32 v110, v138, v144
	v_fma_f32 v94, v135, v147, -v94
	v_sub_f32_e32 v50, v50, v110
	buffer_store_dword v48, off, s[0:3], 0 offset:72
	v_mul_f32_e32 v110, v135, v149
	v_sub_f32_e32 v48, v48, v94
	s_waitcnt vmcnt(25) lgkmcnt(3)
	v_mul_f32_e32 v94, v123, v153
	v_fmac_f32_e32 v110, v136, v147
	v_fma_f32 v94, v122, v151, -v94
	v_sub_f32_e32 v50, v50, v110
	v_mul_f32_e32 v110, v122, v153
	v_sub_f32_e32 v48, v48, v94
	v_mul_f32_e32 v94, v121, v40
	v_fmac_f32_e32 v110, v123, v151
	v_mul_f32_e32 v40, v120, v40
	v_fma_f32 v94, v120, v19, -v94
	v_sub_f32_e32 v50, v50, v110
	v_fmac_f32_e32 v40, v121, v19
	v_sub_f32_e32 v19, v48, v94
	s_waitcnt lgkmcnt(2)
	v_mul_f32_e32 v48, v127, v82
	v_sub_f32_e32 v40, v50, v40
	v_mul_f32_e32 v50, v126, v82
	v_fma_f32 v48, v126, v55, -v48
	v_fmac_f32_e32 v50, v127, v55
	v_sub_f32_e32 v19, v19, v48
	v_mul_f32_e32 v48, v125, v143
	v_sub_f32_e32 v40, v40, v50
	v_mul_f32_e32 v50, v124, v143
	v_fma_f32 v48, v124, v20, -v48
	v_fmac_f32_e32 v50, v125, v20
	v_sub_f32_e32 v19, v19, v48
	s_waitcnt lgkmcnt(1)
	v_mul_f32_e32 v48, v130, v114
	v_sub_f32_e32 v20, v40, v50
	v_mul_f32_e32 v40, v131, v114
	v_fmac_f32_e32 v48, v131, v112
	v_fma_f32 v40, v130, v112, -v40
	v_sub_f32_e32 v20, v20, v48
	s_waitcnt vmcnt(18)
	v_mul_f32_e32 v48, v128, v86
	v_sub_f32_e32 v19, v19, v40
	v_mul_f32_e32 v40, v129, v86
	s_waitcnt vmcnt(11)
	v_fmac_f32_e32 v48, v129, v99
	v_fma_f32 v40, v128, v99, -v40
	v_sub_f32_e32 v20, v20, v48
	v_sub_f32_e32 v19, v19, v40
	s_add_i32 s34, s13, -10
	s_lshl_b32 s33, s34, 9
	s_add_i32 s35, s33, s20
	buffer_load_dword v112, off, s[0:3], 0 offset:68
	buffer_load_dword v123, off, s[0:3], 0 offset:68
	;; [unrolled: 1-line block ×14, first 2 shown]
	s_add_i32 s36, s35, -16
	v_mov_b32_e32 v124, s36
	s_sub_i32 s36, s35, 32
	s_lshl_b32 s34, s34, 3
	s_add_i32 s34, s33, s34
	s_waitcnt vmcnt(17) lgkmcnt(0)
	v_mul_f32_e32 v121, v141, v18
	v_mul_f32_e32 v120, v142, v18
	s_waitcnt vmcnt(15)
	v_fmac_f32_e32 v121, v142, v17
	v_fma_f32 v120, v141, v17, -v120
	v_sub_f32_e32 v20, v20, v121
	v_sub_f32_e32 v19, v19, v120
	v_mul_f32_e32 v120, v140, v20
	v_mul_f32_e32 v20, v139, v20
	v_fma_f32 v120, v139, v19, -v120
	v_fmac_f32_e32 v20, v140, v19
	buffer_store_dword v120, off, s[0:3], 0 offset:72
	buffer_store_dword v20, off, s[0:3], 0 offset:76
	v_mov_b32_e32 v20, s35
	ds_read_b64 v[120:121], v20
	buffer_load_dword v20, off, s[0:3], 0 offset:76
	buffer_load_dword v19, off, s[0:3], 0 offset:72
	ds_read2_b64 v[124:127], v124 offset1:1
	s_waitcnt lgkmcnt(1)
	v_mul_f32_e32 v128, v121, v98
	v_mul_f32_e32 v98, v120, v98
	v_fma_f32 v128, v120, v93, -v128
	v_fmac_f32_e32 v98, v121, v93
	s_waitcnt lgkmcnt(0)
	v_mul_f32_e32 v93, v127, v150
	v_sub_f32_e32 v52, v52, v128
	v_fma_f32 v93, v126, v148, -v93
	v_sub_f32_e32 v57, v57, v98
	v_mul_f32_e32 v98, v126, v150
	v_sub_f32_e32 v52, v52, v93
	v_mul_f32_e32 v93, v125, v154
	v_fmac_f32_e32 v98, v127, v148
	v_fma_f32 v93, v124, v152, -v93
	buffer_store_dword v57, off, s[0:3], 0 offset:84
	v_sub_f32_e32 v57, v57, v98
	buffer_store_dword v52, off, s[0:3], 0 offset:80
	v_mul_f32_e32 v98, v124, v154
	v_sub_f32_e32 v52, v52, v93
	v_mov_b32_e32 v93, s36
	s_sub_i32 s36, s35, 48
	v_fmac_f32_e32 v98, v125, v152
	ds_read2_b64 v[124:127], v93 offset1:1
	v_mov_b32_e32 v93, s36
	ds_read2_b64 v[128:131], v93 offset1:1
	buffer_load_dword v133, off, s[0:3], 0 offset:88
	buffer_load_dword v134, off, s[0:3], 0 offset:92
	v_sub_f32_e32 v57, v57, v98
	s_waitcnt lgkmcnt(1)
	v_mul_f32_e32 v93, v127, v45
	v_mul_f32_e32 v45, v126, v45
	v_fmac_f32_e32 v45, v127, v21
	v_fma_f32 v93, v126, v21, -v93
	v_sub_f32_e32 v45, v57, v45
	v_mul_f32_e32 v57, v124, v69
	v_sub_f32_e32 v21, v52, v93
	v_mul_f32_e32 v52, v125, v69
	v_fmac_f32_e32 v57, v125, v22
	v_fma_f32 v52, v124, v22, -v52
	v_sub_f32_e32 v22, v45, v57
	s_waitcnt lgkmcnt(0)
	v_mul_f32_e32 v45, v131, v81
	v_sub_f32_e32 v21, v21, v52
	v_fma_f32 v45, v130, v79, -v45
	v_sub_f32_e32 v21, v21, v45
	v_mul_f32_e32 v45, v129, v146
	v_fma_f32 v45, v128, v109, -v45
	s_sub_i32 s35, s35, 64
	v_sub_f32_e32 v21, v21, v45
	v_mov_b32_e32 v45, s35
	v_mul_f32_e32 v52, v130, v81
	ds_read2_b64 v[124:127], v45 offset1:1
	v_fmac_f32_e32 v52, v131, v79
	v_sub_f32_e32 v22, v22, v52
	v_mul_f32_e32 v52, v128, v146
	v_mov_b32_e32 v45, s34
	v_fmac_f32_e32 v52, v129, v109
	ds_read2_b64 v[128:131], v45 offset1:1
	v_sub_f32_e32 v22, v22, v52
	s_waitcnt lgkmcnt(1)
	v_mul_f32_e32 v52, v126, v155
	v_mul_f32_e32 v45, v127, v155
	v_fmac_f32_e32 v52, v127, v156
	v_fma_f32 v45, v126, v156, -v45
	v_sub_f32_e32 v22, v22, v52
	s_waitcnt vmcnt(21)
	v_mul_f32_e32 v52, v124, v112
	v_sub_f32_e32 v21, v21, v45
	v_mul_f32_e32 v45, v125, v112
	s_waitcnt vmcnt(14)
	v_fmac_f32_e32 v52, v125, v122
	s_add_i32 s35, s13, -11
	v_fma_f32 v45, v124, v122, -v45
	v_sub_f32_e32 v22, v22, v52
	s_lshl_b32 s34, s35, 9
	v_sub_f32_e32 v21, v21, v45
	s_add_i32 s36, s34, s20
	s_add_i32 s37, s36, -8
	buffer_load_dword v135, off, s[0:3], 0 offset:76
	buffer_load_dword v122, off, s[0:3], 0 offset:76
	;; [unrolled: 1-line block ×14, first 2 shown]
	s_lshl_b32 s35, s35, 3
	s_add_i32 s35, s34, s35
	s_waitcnt vmcnt(19) lgkmcnt(0)
	v_mul_f32_e32 v121, v130, v20
	v_mul_f32_e32 v120, v131, v20
	s_waitcnt vmcnt(18)
	v_fmac_f32_e32 v121, v131, v19
	v_fma_f32 v120, v130, v19, -v120
	v_sub_f32_e32 v22, v22, v121
	v_sub_f32_e32 v21, v21, v120
	v_mul_f32_e32 v120, v129, v22
	v_mul_f32_e32 v22, v128, v22
	v_fma_f32 v120, v128, v21, -v120
	v_fmac_f32_e32 v22, v129, v21
	v_mov_b32_e32 v21, s37
	s_sub_i32 s37, s36, 24
	buffer_store_dword v120, off, s[0:3], 0 offset:80
	buffer_store_dword v22, off, s[0:3], 0 offset:84
	v_mov_b32_e32 v120, s37
	ds_read2_b64 v[124:127], v21 offset1:1
	ds_read2_b64 v[128:131], v120 offset1:1
	buffer_load_dword v21, off, s[0:3], 0 offset:80
	s_sub_i32 s37, s36, 40
	s_waitcnt lgkmcnt(1)
	v_mul_f32_e32 v120, v127, v106
	v_fma_f32 v138, v126, v105, -v120
	v_mul_f32_e32 v126, v126, v106
	v_fmac_f32_e32 v126, v127, v105
	buffer_load_dword v139, off, s[0:3], 0 offset:96
	buffer_load_dword v140, off, s[0:3], 0 offset:100
	;; [unrolled: 1-line block ×6, first 2 shown]
	s_waitcnt vmcnt(24)
	v_sub_f32_e32 v127, v133, v138
	v_mul_f32_e32 v133, v125, v116
	v_mul_f32_e32 v116, v124, v116
	s_waitcnt vmcnt(23)
	v_sub_f32_e32 v126, v134, v126
	v_fma_f32 v133, v124, v113, -v133
	v_fmac_f32_e32 v116, v125, v113
	s_waitcnt lgkmcnt(0)
	v_mul_f32_e32 v124, v131, v117
	v_mul_f32_e32 v117, v130, v117
	v_sub_f32_e32 v116, v126, v116
	v_fmac_f32_e32 v117, v131, v115
	v_sub_f32_e32 v113, v127, v133
	buffer_store_dword v116, off, s[0:3], 0 offset:92
	v_fma_f32 v124, v130, v115, -v124
	v_sub_f32_e32 v115, v116, v117
	v_mul_f32_e32 v116, v129, v24
	v_sub_f32_e32 v113, v113, v124
	v_fma_f32 v116, v128, v23, -v116
	v_mul_f32_e32 v24, v128, v24
	buffer_store_dword v113, off, s[0:3], 0 offset:88
	v_fmac_f32_e32 v24, v129, v23
	v_sub_f32_e32 v23, v113, v116
	v_mov_b32_e32 v113, s37
	ds_read2_b64 v[124:127], v113 offset1:1
	s_sub_i32 s37, s36, 56
	v_mov_b32_e32 v113, s37
	ds_read2_b64 v[128:131], v113 offset1:1
	v_sub_f32_e32 v24, v115, v24
	s_waitcnt lgkmcnt(1)
	v_mul_f32_e32 v113, v127, v70
	v_mul_f32_e32 v70, v126, v70
	v_fma_f32 v113, v126, v36, -v113
	v_fmac_f32_e32 v70, v127, v36
	v_mul_f32_e32 v36, v125, v85
	v_sub_f32_e32 v23, v23, v113
	v_fma_f32 v36, v124, v83, -v36
	v_sub_f32_e32 v23, v23, v36
	s_waitcnt lgkmcnt(0)
	v_mul_f32_e32 v36, v131, v111
	v_sub_f32_e32 v24, v24, v70
	v_mul_f32_e32 v70, v124, v85
	v_fma_f32 v36, v130, v107, -v36
	v_fmac_f32_e32 v70, v125, v83
	v_sub_f32_e32 v23, v23, v36
	v_mul_f32_e32 v36, v129, v118
	v_sub_f32_e32 v24, v24, v70
	v_mul_f32_e32 v70, v130, v111
	v_fma_f32 v36, v128, v119, -v36
	s_addk_i32 s36, 0xffb8
	v_fmac_f32_e32 v70, v131, v107
	v_sub_f32_e32 v23, v23, v36
	v_mov_b32_e32 v36, s36
	v_sub_f32_e32 v24, v24, v70
	v_mul_f32_e32 v70, v128, v118
	ds_read2_b64 v[115:118], v36 offset1:1
	v_mov_b32_e32 v36, s35
	ds_read2_b64 v[124:127], v36 offset1:1
	v_fmac_f32_e32 v70, v129, v119
	v_sub_f32_e32 v24, v24, v70
	s_waitcnt lgkmcnt(1)
	v_mul_f32_e32 v70, v117, v123
	v_mul_f32_e32 v36, v118, v123
	v_fmac_f32_e32 v70, v118, v132
	v_fma_f32 v36, v117, v132, -v36
	v_sub_f32_e32 v24, v24, v70
	s_waitcnt vmcnt(24)
	v_mul_f32_e32 v70, v115, v135
	v_sub_f32_e32 v23, v23, v36
	v_mul_f32_e32 v36, v116, v135
	s_waitcnt vmcnt(17)
	v_fmac_f32_e32 v70, v116, v136
	s_waitcnt lgkmcnt(0)
	v_mul_f32_e32 v116, v126, v22
	v_fma_f32 v36, v115, v136, -v36
	v_sub_f32_e32 v24, v24, v70
	v_mul_f32_e32 v115, v127, v22
	s_waitcnt vmcnt(8)
	v_fmac_f32_e32 v116, v127, v21
	v_sub_f32_e32 v23, v23, v36
	v_fma_f32 v115, v126, v21, -v115
	v_sub_f32_e32 v24, v24, v116
	v_sub_f32_e32 v23, v23, v115
	v_mul_f32_e32 v115, v125, v24
	v_fma_f32 v115, v124, v23, -v115
	v_mul_f32_e32 v24, v124, v24
	buffer_load_dword v113, off, s[0:3], 0 offset:80
	buffer_load_dword v111, off, s[0:3], 0 offset:80
	;; [unrolled: 1-line block ×7, first 2 shown]
	v_fmac_f32_e32 v24, v125, v23
	buffer_store_dword v115, off, s[0:3], 0 offset:88
	buffer_store_dword v24, off, s[0:3], 0 offset:92
	buffer_load_dword v125, off, s[0:3], 0 offset:84
	s_add_i32 s36, s13, -12
	s_lshl_b32 s35, s36, 9
	s_add_i32 s37, s35, s20
	v_mov_b32_e32 v23, s37
	ds_read_b64 v[123:124], v23
	buffer_load_dword v23, off, s[0:3], 0 offset:88
	s_add_i32 s38, s37, -16
	v_mov_b32_e32 v115, s38
	ds_read2_b64 v[115:118], v115 offset1:1
	s_waitcnt lgkmcnt(1)
	v_mul_f32_e32 v119, v124, v95
	v_fma_f32 v119, v123, v77, -v119
	v_mul_f32_e32 v95, v123, v95
	v_fmac_f32_e32 v95, v124, v77
	s_waitcnt vmcnt(18)
	v_sub_f32_e32 v77, v139, v119
	s_waitcnt lgkmcnt(0)
	v_mul_f32_e32 v119, v118, v101
	v_mul_f32_e32 v101, v117, v101
	s_waitcnt vmcnt(17)
	v_sub_f32_e32 v95, v140, v95
	v_fma_f32 v119, v117, v100, -v119
	v_fmac_f32_e32 v101, v118, v100
	v_mul_f32_e32 v100, v116, v103
	v_sub_f32_e32 v77, v77, v119
	v_sub_f32_e32 v95, v95, v101
	v_fma_f32 v100, v115, v102, -v100
	v_mul_f32_e32 v101, v115, v103
	s_sub_i32 s38, s37, 32
	v_fmac_f32_e32 v101, v116, v102
	v_sub_f32_e32 v77, v77, v100
	v_mov_b32_e32 v100, s38
	v_sub_f32_e32 v95, v95, v101
	ds_read2_b64 v[100:103], v100 offset1:1
	s_sub_i32 s38, s37, 48
	v_mov_b32_e32 v115, s38
	ds_read2_b64 v[115:118], v115 offset1:1
	s_sub_i32 s38, s37, 64
	s_waitcnt lgkmcnt(1)
	v_mul_f32_e32 v119, v103, v26
	v_fma_f32 v119, v102, v25, -v119
	v_mul_f32_e32 v26, v102, v26
	v_fmac_f32_e32 v26, v103, v25
	v_sub_f32_e32 v25, v77, v119
	v_mul_f32_e32 v77, v101, v51
	v_mul_f32_e32 v51, v100, v51
	v_fma_f32 v77, v100, v44, -v77
	v_fmac_f32_e32 v51, v101, v44
	s_waitcnt lgkmcnt(0)
	v_mul_f32_e32 v44, v118, v73
	buffer_store_dword v25, off, s[0:3], 0 offset:96
	v_sub_f32_e32 v25, v25, v77
	v_fma_f32 v44, v117, v62, -v44
	v_sub_f32_e32 v25, v25, v44
	v_mul_f32_e32 v44, v116, v97
	v_fma_f32 v44, v115, v96, -v44
	v_sub_f32_e32 v25, v25, v44
	v_mov_b32_e32 v44, s38
	v_sub_f32_e32 v26, v95, v26
	ds_read2_b64 v[100:103], v44 offset1:1
	v_sub_f32_e32 v26, v26, v51
	v_mul_f32_e32 v51, v117, v73
	v_fmac_f32_e32 v51, v118, v62
	s_addk_i32 s37, 0xffb0
	v_sub_f32_e32 v26, v26, v51
	v_mul_f32_e32 v51, v115, v97
	v_mov_b32_e32 v44, s37
	v_fmac_f32_e32 v51, v116, v96
	ds_read2_b64 v[115:118], v44 offset1:1
	v_sub_f32_e32 v26, v26, v51
	s_waitcnt lgkmcnt(1)
	v_mul_f32_e32 v51, v102, v104
	v_mul_f32_e32 v44, v103, v104
	v_fmac_f32_e32 v51, v103, v108
	v_fma_f32 v44, v102, v108, -v44
	v_sub_f32_e32 v26, v26, v51
	v_mul_f32_e32 v51, v100, v110
	v_sub_f32_e32 v25, v25, v44
	v_mul_f32_e32 v44, v101, v110
	v_fmac_f32_e32 v51, v101, v114
	v_fma_f32 v44, v100, v114, -v44
	v_sub_f32_e32 v26, v26, v51
	s_waitcnt lgkmcnt(0)
	v_mul_f32_e32 v51, v117, v122
	v_sub_f32_e32 v25, v25, v44
	v_mul_f32_e32 v44, v118, v122
	v_fmac_f32_e32 v51, v118, v137
	v_fma_f32 v44, v117, v137, -v44
	v_sub_f32_e32 v26, v26, v51
	s_waitcnt vmcnt(2)
	v_mul_f32_e32 v51, v116, v125
	s_lshl_b32 s36, s36, 3
	v_sub_f32_e32 v25, v25, v44
	v_fma_f32 v51, v115, v113, -v51
	s_add_i32 s36, s35, s36
	buffer_store_dword v95, off, s[0:3], 0 offset:100
	v_mul_f32_e32 v77, v115, v125
	v_sub_f32_e32 v25, v25, v51
	v_mov_b32_e32 v51, s36
	buffer_load_dword v100, off, s[0:3], 0 offset:84
	buffer_load_dword v102, off, s[0:3], 0 offset:84
	;; [unrolled: 1-line block ×7, first 2 shown]
	v_fmac_f32_e32 v77, v116, v113
	ds_read2_b64 v[113:116], v51 offset1:1
	s_add_i32 s37, s13, -13
	s_lshl_b32 s36, s37, 9
	s_add_i32 s38, s36, s20
	s_add_i32 s39, s38, -8
	v_mov_b32_e32 v51, s39
	ds_read2_b64 v[122:125], v51 offset1:1
	s_waitcnt lgkmcnt(1)
	v_mul_f32_e32 v110, v115, v24
	v_sub_f32_e32 v26, v26, v77
	v_mul_f32_e32 v104, v116, v24
	s_waitcnt vmcnt(9)
	v_fmac_f32_e32 v110, v116, v23
	v_fma_f32 v104, v115, v23, -v104
	v_sub_f32_e32 v26, v26, v110
	v_sub_f32_e32 v25, v25, v104
	v_mul_f32_e32 v104, v114, v26
	v_fma_f32 v104, v113, v25, -v104
	v_mul_f32_e32 v26, v113, v26
	buffer_load_dword v108, off, s[0:3], 0 offset:88
	buffer_load_dword v126, off, s[0:3], 0 offset:88
	;; [unrolled: 1-line block ×7, first 2 shown]
	v_fmac_f32_e32 v26, v114, v25
	buffer_store_dword v104, off, s[0:3], 0 offset:96
	buffer_store_dword v26, off, s[0:3], 0 offset:100
	s_waitcnt lgkmcnt(0)
	v_mul_f32_e32 v104, v125, v80
	v_mul_f32_e32 v80, v124, v80
	v_fmac_f32_e32 v80, v125, v76
	v_sub_f32_e32 v80, v121, v80
	buffer_load_dword v121, off, s[0:3], 0 offset:92
	buffer_load_dword v25, off, s[0:3], 0 offset:96
	v_fma_f32 v104, v124, v76, -v104
	v_sub_f32_e32 v76, v120, v104
	v_mul_f32_e32 v104, v123, v89
	v_mul_f32_e32 v89, v122, v89
	s_sub_i32 s39, s38, 24
	v_fma_f32 v104, v122, v87, -v104
	v_fmac_f32_e32 v89, v123, v87
	v_mov_b32_e32 v87, s39
	ds_read2_b64 v[113:116], v87 offset1:1
	s_sub_i32 s39, s38, 40
	v_mov_b32_e32 v87, s39
	ds_read2_b64 v[117:120], v87 offset1:1
	v_sub_f32_e32 v76, v76, v104
	s_waitcnt lgkmcnt(1)
	v_mul_f32_e32 v87, v116, v90
	v_fma_f32 v87, v115, v88, -v87
	v_sub_f32_e32 v76, v76, v87
	v_mul_f32_e32 v87, v114, v41
	v_fma_f32 v87, v113, v28, -v87
	v_mul_f32_e32 v41, v113, v41
	v_fmac_f32_e32 v41, v114, v28
	v_sub_f32_e32 v28, v76, v87
	s_waitcnt lgkmcnt(0)
	v_mul_f32_e32 v76, v120, v63
	v_mul_f32_e32 v63, v119, v63
	v_fma_f32 v76, v119, v42, -v76
	v_fmac_f32_e32 v63, v120, v42
	v_mul_f32_e32 v42, v118, v71
	v_sub_f32_e32 v80, v80, v89
	v_mul_f32_e32 v89, v115, v90
	v_sub_f32_e32 v28, v28, v76
	v_fma_f32 v42, v117, v65, -v42
	s_sub_i32 s39, s38, 56
	v_fmac_f32_e32 v89, v116, v88
	buffer_store_dword v28, off, s[0:3], 0 offset:104
	v_sub_f32_e32 v28, v28, v42
	v_mov_b32_e32 v42, s39
	v_sub_f32_e32 v80, v80, v89
	ds_read2_b64 v[87:90], v42 offset1:1
	s_add_i32 s39, s38, 0xffffffb8
	v_mov_b32_e32 v42, s39
	ds_read2_b64 v[113:116], v42 offset1:1
	v_sub_f32_e32 v41, v80, v41
	s_waitcnt lgkmcnt(1)
	v_mul_f32_e32 v42, v90, v84
	v_fma_f32 v42, v89, v78, -v42
	buffer_store_dword v41, off, s[0:3], 0 offset:108
	v_sub_f32_e32 v41, v41, v63
	v_mul_f32_e32 v63, v117, v71
	v_sub_f32_e32 v28, v28, v42
	v_mul_f32_e32 v42, v88, v91
	v_fmac_f32_e32 v63, v118, v65
	v_fma_f32 v42, v87, v92, -v42
	v_sub_f32_e32 v41, v41, v63
	v_mul_f32_e32 v63, v89, v84
	v_sub_f32_e32 v28, v28, v42
	s_waitcnt lgkmcnt(0)
	v_mul_f32_e32 v42, v116, v94
	v_fmac_f32_e32 v63, v90, v78
	v_fma_f32 v42, v115, v99, -v42
	v_sub_f32_e32 v41, v41, v63
	v_mul_f32_e32 v63, v87, v91
	v_sub_f32_e32 v28, v28, v42
	v_mul_f32_e32 v42, v114, v109
	v_fmac_f32_e32 v63, v88, v92
	v_fma_f32 v42, v113, v112, -v42
	s_addk_i32 s38, 0xffa8
	v_sub_f32_e32 v41, v41, v63
	v_mul_f32_e32 v63, v115, v94
	v_sub_f32_e32 v28, v28, v42
	v_mov_b32_e32 v42, s38
	s_lshl_b32 s37, s37, 3
	v_fmac_f32_e32 v63, v116, v99
	ds_read2_b64 v[87:90], v42 offset1:1
	s_add_i32 s37, s36, s37
	v_sub_f32_e32 v41, v41, v63
	v_mul_f32_e32 v63, v113, v109
	v_mov_b32_e32 v42, s37
	v_fmac_f32_e32 v63, v114, v112
	ds_read2_b64 v[112:115], v42 offset1:1
	v_sub_f32_e32 v41, v41, v63
	s_waitcnt vmcnt(19) lgkmcnt(1)
	v_mul_f32_e32 v42, v90, v100
	v_mul_f32_e32 v63, v89, v100
	v_fma_f32 v42, v89, v111, -v42
	v_fmac_f32_e32 v63, v90, v111
	s_waitcnt vmcnt(3)
	v_mul_f32_e32 v76, v88, v121
	v_mul_f32_e32 v78, v87, v121
	v_sub_f32_e32 v28, v28, v42
	v_sub_f32_e32 v42, v41, v63
	v_fma_f32 v76, v87, v108, -v76
	v_fmac_f32_e32 v78, v88, v108
	s_waitcnt lgkmcnt(0)
	v_mul_f32_e32 v84, v115, v26
	v_mul_f32_e32 v89, v114, v26
	v_sub_f32_e32 v28, v28, v76
	v_sub_f32_e32 v76, v42, v78
	s_waitcnt vmcnt(2)
	v_fma_f32 v84, v114, v25, -v84
	v_fmac_f32_e32 v89, v115, v25
	v_sub_f32_e32 v84, v28, v84
	v_sub_f32_e32 v28, v76, v89
	s_add_i32 s38, s13, -14
	v_mul_f32_e32 v76, v113, v28
	s_lshl_b32 s37, s38, 9
	v_fma_f32 v76, v112, v84, -v76
	s_add_i32 s39, s37, s20
	buffer_load_dword v63, off, s[0:3], 0 offset:92
	buffer_load_dword v65, off, s[0:3], 0 offset:92
	;; [unrolled: 1-line block ×14, first 2 shown]
	v_mul_f32_e32 v28, v112, v28
	buffer_store_dword v76, off, s[0:3], 0 offset:104
	v_mov_b32_e32 v76, s39
	ds_read_b64 v[111:112], v76
	s_add_i32 s40, s39, -16
	v_mov_b32_e32 v76, s40
	ds_read2_b64 v[89:92], v76 offset1:1
	s_sub_i32 s40, s39, 32
	s_waitcnt lgkmcnt(1)
	v_mul_f32_e32 v76, v112, v56
	v_fma_f32 v76, v111, v49, -v76
	v_mul_f32_e32 v56, v111, v56
	v_fmac_f32_e32 v56, v112, v49
	v_sub_f32_e32 v49, v105, v76
	s_waitcnt lgkmcnt(0)
	v_mul_f32_e32 v76, v92, v67
	v_mul_f32_e32 v67, v91, v67
	v_fma_f32 v76, v91, v66, -v76
	v_fmac_f32_e32 v67, v92, v66
	v_mul_f32_e32 v66, v90, v72
	v_sub_f32_e32 v56, v106, v56
	v_sub_f32_e32 v49, v49, v76
	v_fma_f32 v66, v89, v68, -v66
	v_sub_f32_e32 v56, v56, v67
	v_mul_f32_e32 v67, v89, v72
	v_sub_f32_e32 v49, v49, v66
	v_mov_b32_e32 v66, s40
	v_fmac_f32_e32 v67, v90, v68
	ds_read2_b64 v[89:92], v66 offset1:1
	s_sub_i32 s40, s39, 48
	v_mov_b32_e32 v66, s40
	v_fmac_f32_e32 v28, v113, v84
	ds_read2_b64 v[111:114], v66 offset1:1
	s_waitcnt lgkmcnt(1)
	v_mul_f32_e32 v66, v92, v30
	v_fma_f32 v66, v91, v27, -v66
	v_mul_f32_e32 v30, v91, v30
	v_sub_f32_e32 v56, v56, v67
	buffer_load_dword v67, off, s[0:3], 0 offset:100
	v_fmac_f32_e32 v30, v92, v27
	v_sub_f32_e32 v27, v49, v66
	v_mul_f32_e32 v49, v90, v33
	v_mul_f32_e32 v33, v89, v33
	buffer_store_dword v28, off, s[0:3], 0 offset:108
	v_sub_f32_e32 v30, v56, v30
	v_fma_f32 v49, v89, v32, -v49
	v_fmac_f32_e32 v33, v90, v32
	s_waitcnt lgkmcnt(0)
	v_mul_f32_e32 v32, v114, v39
	v_sub_f32_e32 v27, v27, v49
	v_sub_f32_e32 v30, v30, v33
	v_fma_f32 v32, v113, v38, -v32
	buffer_load_dword v33, off, s[0:3], 0 offset:108
	v_sub_f32_e32 v27, v27, v32
	buffer_load_dword v32, off, s[0:3], 0 offset:104
	v_mul_f32_e32 v39, v113, v39
	v_fmac_f32_e32 v39, v114, v38
	v_mul_f32_e32 v38, v112, v64
	v_fma_f32 v38, v111, v61, -v38
	s_sub_i32 s40, s39, 64
	buffer_store_dword v27, off, s[0:3], 0 offset:112
	v_sub_f32_e32 v27, v27, v38
	v_mov_b32_e32 v38, s40
	ds_read2_b64 v[89:92], v38 offset1:1
	s_add_i32 s40, s39, 0xffffffb0
	buffer_store_dword v30, off, s[0:3], 0 offset:116
	v_sub_f32_e32 v30, v30, v39
	v_mul_f32_e32 v39, v111, v64
	v_mov_b32_e32 v38, s40
	v_fmac_f32_e32 v39, v112, v61
	ds_read2_b64 v[111:114], v38 offset1:1
	s_waitcnt lgkmcnt(1)
	v_mul_f32_e32 v38, v92, v74
	v_fma_f32 v38, v91, v75, -v38
	v_sub_f32_e32 v27, v27, v38
	v_mul_f32_e32 v38, v90, v82
	v_fma_f32 v38, v89, v86, -v38
	v_sub_f32_e32 v27, v27, v38
	s_waitcnt lgkmcnt(0)
	v_mul_f32_e32 v38, v114, v93
	v_fma_f32 v38, v113, v98, -v38
	v_sub_f32_e32 v30, v30, v39
	v_mul_f32_e32 v39, v91, v74
	v_sub_f32_e32 v27, v27, v38
	v_mul_f32_e32 v38, v112, v102
	v_fmac_f32_e32 v39, v92, v75
	v_fma_f32 v38, v111, v107, -v38
	s_addk_i32 s39, 0xffa0
	v_sub_f32_e32 v30, v30, v39
	v_mul_f32_e32 v39, v89, v82
	v_sub_f32_e32 v27, v27, v38
	v_mov_b32_e32 v38, s39
	v_fmac_f32_e32 v39, v90, v86
	buffer_load_dword v56, off, s[0:3], 0 offset:120
	buffer_load_dword v61, off, s[0:3], 0 offset:124
	ds_read2_b64 v[89:92], v38 offset1:1
	s_lshl_b32 s38, s38, 3
	v_sub_f32_e32 v30, v30, v39
	v_mul_f32_e32 v39, v113, v93
	s_add_i32 s38, s37, s38
	v_fmac_f32_e32 v39, v114, v98
	v_mov_b32_e32 v38, s38
	v_sub_f32_e32 v30, v30, v39
	v_mul_f32_e32 v39, v111, v102
	ds_read2_b64 v[118:121], v38 offset1:1
	s_waitcnt vmcnt(22) lgkmcnt(1)
	v_mul_f32_e32 v38, v92, v63
	v_fmac_f32_e32 v39, v112, v107
	v_fma_f32 v38, v91, v126, -v38
	v_sub_f32_e32 v30, v30, v39
	v_mul_f32_e32 v39, v91, v63
	v_sub_f32_e32 v27, v27, v38
	buffer_load_dword v63, off, s[0:3], 0 offset:28
	buffer_load_dword v66, off, s[0:3], 0 offset:100
	;; [unrolled: 1-line block ×9, first 2 shown]
	v_fmac_f32_e32 v39, v92, v126
	v_sub_f32_e32 v30, v30, v39
	s_add_i32 s39, s13, -15
	s_lshl_b32 s38, s39, 9
	s_add_i32 s40, s38, s20
	s_add_i32 s41, s40, -8
	s_lshl_b32 s39, s39, 3
	s_add_i32 s39, s38, s39
	s_waitcnt vmcnt(16)
	v_mul_f32_e32 v64, v89, v67
	v_mul_f32_e32 v39, v90, v67
	v_fmac_f32_e32 v64, v90, v87
	v_fma_f32 v39, v89, v87, -v39
	v_sub_f32_e32 v30, v30, v64
	v_sub_f32_e32 v67, v27, v39
	buffer_load_dword v72, off, s[0:3], 0 offset:108
	buffer_load_dword v154, off, s[0:3], 0 offset:108
	;; [unrolled: 1-line block ×15, first 2 shown]
	s_waitcnt vmcnt(29) lgkmcnt(0)
	v_mul_f32_e32 v64, v121, v33
	v_mul_f32_e32 v33, v120, v33
	s_waitcnt vmcnt(28)
	v_fma_f32 v64, v120, v32, -v64
	v_fmac_f32_e32 v33, v121, v32
	v_sub_f32_e32 v32, v67, v64
	buffer_load_dword v64, off, s[0:3], 0 offset:32
	v_sub_f32_e32 v30, v30, v33
	v_mul_f32_e32 v33, v119, v30
	v_fma_f32 v33, v118, v32, -v33
	v_mul_f32_e32 v102, v118, v30
	v_fmac_f32_e32 v102, v119, v32
	buffer_store_dword v33, off, s[0:3], 0 offset:112
	buffer_store_dword v102, off, s[0:3], 0 offset:116
	v_mov_b32_e32 v30, s41
	ds_read2_b64 v[90:93], v30 offset1:1
	buffer_load_dword v98, off, s[0:3], 0 offset:40
	buffer_load_dword v105, off, s[0:3], 0 offset:44
	s_sub_i32 s41, s40, 24
	v_mov_b32_e32 v30, s41
	ds_read2_b64 v[118:121], v30 offset1:1
	s_waitcnt lgkmcnt(1)
	v_mul_f32_e32 v30, v93, v31
	v_mul_f32_e32 v31, v92, v31
	v_fma_f32 v30, v92, v29, -v30
	v_fmac_f32_e32 v31, v93, v29
	v_mul_f32_e32 v32, v90, v46
	v_fmac_f32_e32 v32, v91, v34
	s_sub_i32 s41, s40, 40
	buffer_load_dword v86, off, s[0:3], 0 offset:128
	buffer_load_dword v89, off, s[0:3], 0 offset:132
	buffer_load_dword v156, off, s[0:3], 0 offset:136
	buffer_load_dword v157, off, s[0:3], 0 offset:140
	buffer_load_dword v137, off, s[0:3], 0 offset:144
	buffer_load_dword v136, off, s[0:3], 0 offset:148
	s_waitcnt vmcnt(36)
	v_sub_f32_e32 v29, v56, v30
	s_waitcnt vmcnt(35)
	v_sub_f32_e32 v30, v61, v31
	v_mul_f32_e32 v31, v91, v46
	v_fma_f32 v31, v90, v34, -v31
	v_sub_f32_e32 v29, v29, v31
	s_waitcnt lgkmcnt(0)
	v_mul_f32_e32 v31, v121, v54
	v_sub_f32_e32 v30, v30, v32
	v_fma_f32 v31, v120, v53, -v31
	v_mul_f32_e32 v32, v120, v54
	v_fmac_f32_e32 v32, v121, v53
	v_sub_f32_e32 v31, v29, v31
	s_waitcnt vmcnt(34)
	v_mul_f32_e32 v33, v119, v63
	v_mul_f32_e32 v34, v118, v63
	v_sub_f32_e32 v32, v30, v32
	buffer_load_dword v67, off, s[0:3], 0 offset:28
	buffer_load_dword v138, off, s[0:3], 0 offset:28
	;; [unrolled: 1-line block ×14, first 2 shown]
	s_waitcnt vmcnt(40)
	v_fma_f32 v33, v118, v68, -v33
	v_fmac_f32_e32 v34, v119, v68
	v_sub_f32_e32 v33, v31, v33
	v_mov_b32_e32 v31, s41
	s_sub_i32 s41, s40, 56
	v_sub_f32_e32 v34, v32, v34
	v_mov_b32_e32 v32, s41
	ds_read2_b64 v[122:125], v31 offset1:1
	ds_read2_b64 v[165:168], v32 offset1:1
	buffer_load_dword v126, off, s[0:3], 0 offset:36
	buffer_load_dword v160, off, s[0:3], 0 offset:36
	;; [unrolled: 1-line block ×14, first 2 shown]
	s_add_i32 s41, s40, 0xffffffb8
	s_waitcnt vmcnt(39) lgkmcnt(1)
	v_mul_f32_e32 v53, v125, v94
	v_mul_f32_e32 v54, v124, v94
	s_waitcnt vmcnt(38)
	v_fma_f32 v53, v124, v64, -v53
	v_fmac_f32_e32 v54, v125, v64
	v_sub_f32_e32 v53, v33, v53
	v_sub_f32_e32 v54, v34, v54
	buffer_load_dword v130, off, s[0:3], 0 offset:44
	buffer_load_dword v163, off, s[0:3], 0 offset:44
	;; [unrolled: 1-line block ×16, first 2 shown]
	s_waitcnt vmcnt(50)
	v_mul_f32_e32 v91, v123, v105
	v_fma_f32 v91, v122, v98, -v91
	v_sub_f32_e32 v53, v53, v91
	s_waitcnt lgkmcnt(0)
	v_mul_f32_e32 v91, v168, v37
	v_fma_f32 v91, v167, v35, -v91
	v_mul_f32_e32 v37, v167, v37
	v_fmac_f32_e32 v37, v168, v35
	v_sub_f32_e32 v35, v53, v91
	v_mul_f32_e32 v53, v166, v43
	v_mul_f32_e32 v43, v165, v43
	v_mul_f32_e32 v105, v122, v105
	v_fma_f32 v53, v165, v47, -v53
	v_fmac_f32_e32 v43, v166, v47
	v_mov_b32_e32 v47, s41
	v_fmac_f32_e32 v105, v123, v98
	ds_read2_b64 v[122:125], v47 offset1:1
	v_sub_f32_e32 v54, v54, v105
	v_sub_f32_e32 v37, v54, v37
	s_add_i32 s41, s40, 0xffffffa8
	v_sub_f32_e32 v37, v37, v43
	v_mov_b32_e32 v43, s41
	ds_read2_b64 v[165:168], v43 offset1:1
	s_waitcnt lgkmcnt(1)
	v_mul_f32_e32 v43, v125, v50
	buffer_store_dword v35, off, s[0:3], 0 offset:120
	v_sub_f32_e32 v35, v35, v53
	v_fma_f32 v43, v124, v55, -v43
	v_sub_f32_e32 v35, v35, v43
	v_mul_f32_e32 v43, v123, v57
	v_fma_f32 v43, v122, v81, -v43
	v_sub_f32_e32 v35, v35, v43
	s_waitcnt lgkmcnt(0)
	v_mul_f32_e32 v43, v168, v97
	v_mul_f32_e32 v47, v124, v50
	v_fma_f32 v43, v167, v85, -v43
	v_fmac_f32_e32 v47, v125, v55
	v_sub_f32_e32 v35, v35, v43
	v_mul_f32_e32 v43, v166, v65
	v_sub_f32_e32 v37, v37, v47
	v_mul_f32_e32 v47, v122, v57
	v_fma_f32 v43, v165, v101, -v43
	s_addk_i32 s40, 0xff98
	v_fmac_f32_e32 v47, v123, v81
	v_sub_f32_e32 v35, v35, v43
	v_mov_b32_e32 v43, s40
	v_sub_f32_e32 v37, v37, v47
	v_mul_f32_e32 v47, v167, v97
	ds_read2_b64 v[122:125], v43 offset1:1
	v_fmac_f32_e32 v47, v168, v85
	v_sub_f32_e32 v37, v37, v47
	v_mul_f32_e32 v47, v165, v65
	v_mov_b32_e32 v43, s39
	v_fmac_f32_e32 v47, v166, v101
	ds_read2_b64 v[165:168], v43 offset1:1
	v_sub_f32_e32 v37, v37, v47
	s_waitcnt lgkmcnt(1)
	v_mul_f32_e32 v47, v124, v66
	v_mul_f32_e32 v43, v125, v66
	v_fmac_f32_e32 v47, v125, v88
	v_fma_f32 v43, v124, v88, -v43
	v_sub_f32_e32 v37, v37, v47
	v_mul_f32_e32 v47, v122, v72
	v_sub_f32_e32 v35, v35, v43
	v_mul_f32_e32 v43, v123, v72
	v_fmac_f32_e32 v47, v123, v74
	v_fma_f32 v43, v122, v74, -v43
	v_sub_f32_e32 v37, v37, v47
	v_sub_f32_e32 v43, v35, v43
	buffer_load_dword v178, off, s[0:3], 0 offset:116
	buffer_load_dword v155, off, s[0:3], 0 offset:116
	;; [unrolled: 1-line block ×14, first 2 shown]
	s_waitcnt vmcnt(23) lgkmcnt(0)
	v_mul_f32_e32 v50, v167, v118
	v_mul_f32_e32 v47, v168, v118
	s_waitcnt vmcnt(15)
	v_fmac_f32_e32 v50, v168, v120
	v_fma_f32 v47, v167, v120, -v47
	v_sub_f32_e32 v37, v37, v50
	v_sub_f32_e32 v43, v43, v47
	v_mul_f32_e32 v47, v166, v37
	v_fma_f32 v47, v165, v43, -v47
	buffer_store_dword v47, off, s[0:3], 0 offset:120
	buffer_load_dword v53, off, s[0:3], 0 offset:120
	buffer_load_dword v50, off, s[0:3], 0 offset:4
	buffer_load_dword v55, off, s[0:3], 0
	ds_write_b64 v60, v[9:10]
	v_add_u32_e32 v9, s23, v58
	ds_write_b64 v9, v[11:12]
	buffer_load_dword v9, off, s[0:3], 0 offset:12
	v_add_u32_e32 v10, s21, v58
	ds_write_b64 v10, v[13:14]
	buffer_load_dword v14, off, s[0:3], 0 offset:8
	v_add_u32_e32 v10, s22, v58
	ds_write_b64 v10, v[15:16]
	v_add_u32_e32 v10, s25, v58
	ds_write_b64 v10, v[5:6]
	;; [unrolled: 2-line block ×5, first 2 shown]
	buffer_load_dword v7, off, s[0:3], 0 offset:20
	buffer_load_dword v8, off, s[0:3], 0 offset:16
	v_add_u32_e32 v1, s30, v58
	ds_write_b64 v1, v[17:18]
	v_add_u32_e32 v1, s31, v58
	ds_write_b64 v1, v[19:20]
	v_add_u32_e32 v1, s33, v58
	ds_write_b64 v1, v[21:22]
	v_add_u32_e32 v1, s34, v58
	ds_write_b64 v1, v[23:24]
	v_add_u32_e32 v1, s35, v58
	ds_write_b64 v1, v[25:26]
	v_add_u32_e32 v1, s36, v58
	buffer_store_dword v54, off, s[0:3], 0 offset:124
	v_mul_f32_e32 v54, v165, v37
	ds_write_b64 v1, v[27:28]
	v_add_u32_e32 v1, s37, v58
	v_fmac_f32_e32 v54, v166, v43
	buffer_store_dword v54, off, s[0:3], 0 offset:124
	v_add_u32_e32 v2, s38, v58
	s_add_i32 s22, s13, -16
	s_lshl_b32 s21, s22, 9
	s_add_i32 s23, s21, s20
	s_add_i32 s25, s23, -16
	v_mov_b32_e32 v4, s25
	s_sub_i32 s25, s23, 32
	s_lshl_b32 s22, s22, 3
	s_add_i32 s22, s21, s22
	s_waitcnt vmcnt(16)
	ds_write_b64 v1, v[101:102]
	buffer_load_dword v180, off, s[0:3], 0 offset:120
	buffer_load_dword v1, off, s[0:3], 0 offset:120
	;; [unrolled: 1-line block ×7, first 2 shown]
	s_waitcnt vmcnt(15)
	ds_write_b64 v2, v[53:54]
	buffer_load_dword v24, off, s[0:3], 0 offset:48
	buffer_load_dword v65, off, s[0:3], 0 offset:52
	v_mov_b32_e32 v2, s23
	ds_read_b64 v[2:3], v2
	ds_read2_b64 v[16:19], v4 offset1:1
	buffer_load_dword v181, off, s[0:3], 0 offset:4
	buffer_load_dword v4, off, s[0:3], 0 offset:4
	buffer_load_dword v21, off, s[0:3], 0 offset:4
	buffer_load_dword v27, off, s[0:3], 0 offset:4
	buffer_load_dword v81, off, s[0:3], 0 offset:4
	buffer_load_dword v43, off, s[0:3], 0 offset:4
	buffer_load_dword v10, off, s[0:3], 0 offset:4
	buffer_load_dword v182, off, s[0:3], 0
	buffer_load_dword v5, off, s[0:3], 0
	;; [unrolled: 1-line block ×7, first 2 shown]
	s_waitcnt vmcnt(30) lgkmcnt(1)
	v_mul_f32_e32 v12, v3, v50
	s_waitcnt vmcnt(29)
	v_fma_f32 v12, v2, v55, -v12
	v_mul_f32_e32 v2, v2, v50
	v_fmac_f32_e32 v2, v3, v55
	s_waitcnt vmcnt(28) lgkmcnt(0)
	v_mul_f32_e32 v15, v19, v9
	v_mul_f32_e32 v9, v18, v9
	v_sub_f32_e32 v2, v89, v2
	s_waitcnt vmcnt(27)
	v_fmac_f32_e32 v9, v19, v14
	v_sub_f32_e32 v3, v86, v12
	buffer_load_dword v183, off, s[0:3], 0 offset:12
	buffer_load_dword v23, off, s[0:3], 0 offset:12
	;; [unrolled: 1-line block ×14, first 2 shown]
	v_fma_f32 v15, v18, v14, -v15
	v_sub_f32_e32 v2, v2, v9
	buffer_load_dword v9, off, s[0:3], 0 offset:60
	buffer_load_dword v185, off, s[0:3], 0 offset:20
	;; [unrolled: 1-line block ×8, first 2 shown]
	v_sub_f32_e32 v3, v3, v15
	buffer_load_dword v186, off, s[0:3], 0 offset:56
	buffer_load_dword v187, off, s[0:3], 0 offset:16
	buffer_load_dword v165, off, s[0:3], 0 offset:16
	buffer_load_dword v148, off, s[0:3], 0 offset:16
	buffer_load_dword v124, off, s[0:3], 0 offset:16
	buffer_load_dword v91, off, s[0:3], 0 offset:16
	buffer_load_dword v55, off, s[0:3], 0 offset:16
	buffer_load_dword v15, off, s[0:3], 0 offset:16
	s_waitcnt vmcnt(56)
	v_mul_f32_e32 v18, v17, v7
	v_mul_f32_e32 v7, v16, v7
	s_waitcnt vmcnt(55)
	v_fma_f32 v18, v16, v8, -v18
	v_fmac_f32_e32 v7, v17, v8
	v_mov_b32_e32 v8, s25
	v_sub_f32_e32 v3, v3, v18
	ds_read2_b64 v[16:19], v8 offset1:1
	s_sub_i32 s25, s23, 48
	v_sub_f32_e32 v2, v2, v7
	v_mov_b32_e32 v7, s25
	ds_read2_b64 v[168:171], v7 offset1:1
	s_waitcnt lgkmcnt(1)
	v_mul_f32_e32 v8, v18, v67
	v_mul_f32_e32 v7, v19, v67
	v_fmac_f32_e32 v8, v19, v93
	v_fma_f32 v7, v18, v93, -v7
	v_sub_f32_e32 v2, v2, v8
	v_mul_f32_e32 v8, v16, v126
	v_sub_f32_e32 v3, v3, v7
	v_mul_f32_e32 v7, v17, v126
	v_fmac_f32_e32 v8, v17, v127
	v_fma_f32 v7, v16, v127, -v7
	v_sub_f32_e32 v2, v2, v8
	s_waitcnt lgkmcnt(0)
	v_mul_f32_e32 v8, v170, v130
	v_sub_f32_e32 v3, v3, v7
	v_mul_f32_e32 v7, v171, v130
	v_fmac_f32_e32 v8, v171, v149
	v_fma_f32 v7, v170, v149, -v7
	v_sub_f32_e32 v2, v2, v8
	buffer_load_dword v8, off, s[0:3], 0 offset:52
	buffer_load_dword v166, off, s[0:3], 0 offset:52
	;; [unrolled: 1-line block ×15, first 2 shown]
	v_sub_f32_e32 v3, v3, v7
	s_sub_i32 s25, s23, 64
	s_waitcnt vmcnt(59)
	v_mul_f32_e32 v7, v169, v65
	v_mul_f32_e32 v18, v168, v65
	v_fma_f32 v7, v168, v24, -v7
	v_fmac_f32_e32 v18, v169, v24
	v_sub_f32_e32 v3, v3, v7
	v_sub_f32_e32 v2, v2, v18
	v_mov_b32_e32 v7, s25
	s_add_i32 s25, s23, 0xffffffb0
	buffer_store_dword v2, off, s[0:3], 0 offset:132
	v_mov_b32_e32 v18, s25
	ds_read2_b64 v[170:173], v7 offset1:1
	ds_read2_b64 v[174:177], v18 offset1:1
	buffer_load_dword v190, off, s[0:3], 0 offset:60
	buffer_load_dword v168, off, s[0:3], 0 offset:60
	;; [unrolled: 1-line block ×14, first 2 shown]
	s_add_i32 s25, s23, 0xffffffa0
	s_waitcnt vmcnt(45) lgkmcnt(1)
	v_mul_f32_e32 v7, v173, v9
	s_waitcnt vmcnt(37)
	v_fma_f32 v7, v172, v186, -v7
	v_sub_f32_e32 v3, v3, v7
	v_mul_f32_e32 v7, v171, v40
	v_fma_f32 v7, v170, v48, -v7
	buffer_store_dword v3, off, s[0:3], 0 offset:128
	v_sub_f32_e32 v3, v3, v7
	s_waitcnt lgkmcnt(0)
	v_mul_f32_e32 v7, v177, v69
	v_fma_f32 v7, v176, v79, -v7
	v_mul_f32_e32 v9, v172, v9
	v_sub_f32_e32 v3, v3, v7
	v_mul_f32_e32 v7, v175, v95
	v_fmac_f32_e32 v9, v173, v186
	v_fma_f32 v7, v174, v83, -v7
	v_sub_f32_e32 v2, v2, v9
	v_mul_f32_e32 v9, v170, v40
	v_sub_f32_e32 v3, v3, v7
	v_mov_b32_e32 v7, s25
	v_fmac_f32_e32 v9, v171, v48
	ds_read2_b64 v[170:173], v7 offset1:1
	v_sub_f32_e32 v2, v2, v9
	v_mul_f32_e32 v9, v176, v69
	v_fmac_f32_e32 v9, v177, v79
	s_addk_i32 s23, 0xff90
	v_sub_f32_e32 v2, v2, v9
	v_mul_f32_e32 v9, v174, v95
	v_mov_b32_e32 v7, s23
	v_fmac_f32_e32 v9, v175, v83
	ds_read2_b64 v[174:177], v7 offset1:1
	s_waitcnt lgkmcnt(1)
	v_mul_f32_e32 v7, v173, v110
	v_fma_f32 v7, v172, v103, -v7
	v_sub_f32_e32 v3, v3, v7
	v_mul_f32_e32 v7, v171, v131
	v_sub_f32_e32 v2, v2, v9
	v_mul_f32_e32 v9, v172, v110
	v_fma_f32 v7, v170, v129, -v7
	v_fmac_f32_e32 v9, v173, v103
	v_sub_f32_e32 v3, v3, v7
	s_waitcnt lgkmcnt(0)
	v_mul_f32_e32 v7, v177, v154
	v_sub_f32_e32 v2, v2, v9
	v_mul_f32_e32 v9, v170, v131
	v_fma_f32 v7, v176, v162, -v7
	v_fmac_f32_e32 v9, v171, v129
	v_sub_f32_e32 v3, v3, v7
	v_mul_f32_e32 v7, v175, v178
	v_sub_f32_e32 v2, v2, v9
	v_mul_f32_e32 v9, v176, v154
	v_fma_f32 v7, v174, v179, -v7
	s_sub_i32 s23, s13, 17
	v_fmac_f32_e32 v9, v177, v162
	v_sub_f32_e32 v3, v3, v7
	v_mov_b32_e32 v7, s22
	s_lshl_b32 s22, s23, 9
	v_sub_f32_e32 v2, v2, v9
	v_mul_f32_e32 v9, v174, v178
	s_add_i32 s25, s22, s20
	v_fmac_f32_e32 v9, v175, v179
	s_add_i32 s27, s25, -8
	v_sub_f32_e32 v2, v2, v9
	v_mov_b32_e32 v9, s27
	ds_read2_b64 v[170:173], v7 offset1:1
	ds_read2_b64 v[174:177], v9 offset1:1
	buffer_load_dword v83, off, s[0:3], 0 offset:124
	buffer_load_dword v7, off, s[0:3], 0 offset:124
	;; [unrolled: 1-line block ×8, first 2 shown]
	s_sub_i32 s27, s25, 24
	s_waitcnt vmcnt(24) lgkmcnt(1)
	v_mul_f32_e32 v40, v172, v189
	v_mul_f32_e32 v9, v173, v189
	v_fmac_f32_e32 v40, v173, v180
	v_fma_f32 v9, v172, v180, -v9
	v_sub_f32_e32 v2, v2, v40
	v_sub_f32_e32 v3, v3, v9
	v_mul_f32_e32 v9, v171, v2
	v_mul_f32_e32 v2, v170, v2
	v_fma_f32 v9, v170, v3, -v9
	v_fmac_f32_e32 v2, v171, v3
	buffer_load_dword v3, off, s[0:3], 0 offset:64
	s_waitcnt lgkmcnt(0)
	v_mul_f32_e32 v48, v175, v183
	buffer_store_dword v9, off, s[0:3], 0 offset:128
	v_mul_f32_e32 v9, v177, v181
	v_fma_f32 v9, v176, v182, -v9
	v_sub_f32_e32 v9, v156, v9
	v_fma_f32 v48, v174, v184, -v48
	v_sub_f32_e32 v9, v9, v48
	v_mov_b32_e32 v48, s27
	ds_read2_b64 v[170:173], v48 offset1:1
	s_sub_i32 s27, s25, 40
	v_mul_f32_e32 v40, v176, v181
	v_mul_f32_e32 v79, v174, v183
	v_mov_b32_e32 v48, s27
	v_fmac_f32_e32 v40, v177, v182
	v_fmac_f32_e32 v79, v175, v184
	ds_read2_b64 v[174:177], v48 offset1:1
	s_waitcnt lgkmcnt(1)
	v_mul_f32_e32 v48, v173, v185
	v_fma_f32 v48, v172, v187, -v48
	v_sub_f32_e32 v40, v157, v40
	v_sub_f32_e32 v9, v9, v48
	v_mul_f32_e32 v48, v171, v138
	v_sub_f32_e32 v40, v40, v79
	v_mul_f32_e32 v79, v172, v185
	v_fma_f32 v48, v170, v158, -v48
	v_fmac_f32_e32 v79, v173, v187
	v_sub_f32_e32 v9, v9, v48
	s_waitcnt lgkmcnt(0)
	v_mul_f32_e32 v48, v177, v160
	v_sub_f32_e32 v40, v40, v79
	v_mul_f32_e32 v79, v170, v138
	v_fma_f32 v48, v176, v161, -v48
	v_fmac_f32_e32 v79, v171, v158
	v_sub_f32_e32 v9, v9, v48
	v_mul_f32_e32 v48, v175, v163
	v_sub_f32_e32 v40, v40, v79
	v_mul_f32_e32 v79, v176, v160
	v_fma_f32 v48, v174, v164, -v48
	s_sub_i32 s27, s25, 56
	v_fmac_f32_e32 v79, v177, v161
	v_sub_f32_e32 v9, v9, v48
	v_mov_b32_e32 v48, s27
	v_sub_f32_e32 v40, v40, v79
	v_mul_f32_e32 v79, v174, v163
	ds_read2_b64 v[160:163], v48 offset1:1
	s_add_i32 s27, s25, 0xffffffb8
	v_mov_b32_e32 v48, s27
	ds_read2_b64 v[170:173], v48 offset1:1
	v_fmac_f32_e32 v79, v175, v164
	s_waitcnt lgkmcnt(1)
	v_mul_f32_e32 v48, v163, v8
	v_fma_f32 v48, v162, v188, -v48
	v_mul_f32_e32 v8, v162, v8
	v_sub_f32_e32 v40, v40, v79
	v_fmac_f32_e32 v8, v163, v188
	v_sub_f32_e32 v9, v9, v48
	s_waitcnt vmcnt(24)
	v_mul_f32_e32 v48, v160, v190
	v_sub_f32_e32 v8, v40, v8
	s_waitcnt vmcnt(17)
	v_fmac_f32_e32 v48, v161, v191
	v_mul_f32_e32 v40, v161, v190
	v_sub_f32_e32 v161, v8, v48
	buffer_store_dword v2, off, s[0:3], 0 offset:132
	v_fma_f32 v40, v160, v191, -v40
	buffer_store_dword v161, off, s[0:3], 0 offset:140
	v_sub_f32_e32 v157, v9, v40
	buffer_load_dword v174, off, s[0:3], 0 offset:132
	buffer_load_dword v180, off, s[0:3], 0 offset:68
	;; [unrolled: 1-line block ×16, first 2 shown]
	s_add_i32 s27, s25, 0xffffffa8
	s_lshl_b32 s23, s23, 3
	s_add_i32 s23, s22, s23
	s_waitcnt vmcnt(20) lgkmcnt(0)
	v_mul_f32_e32 v162, v173, v178
	v_mul_f32_e32 v163, v172, v178
	s_waitcnt vmcnt(19)
	v_fma_f32 v162, v172, v3, -v162
	v_fmac_f32_e32 v163, v173, v3
	v_sub_f32_e32 v3, v157, v162
	v_sub_f32_e32 v157, v161, v163
	v_mul_f32_e32 v161, v171, v45
	v_mul_f32_e32 v45, v170, v45
	v_fma_f32 v161, v170, v52, -v161
	v_fmac_f32_e32 v45, v171, v52
	v_mov_b32_e32 v52, s27
	buffer_store_dword v3, off, s[0:3], 0 offset:136
	v_sub_f32_e32 v3, v3, v161
	ds_read2_b64 v[161:164], v52 offset1:1
	s_add_i32 s27, s25, 0xffffff98
	v_mov_b32_e32 v52, s27
	ds_read2_b64 v[170:173], v52 offset1:1
	v_sub_f32_e32 v45, v157, v45
	s_waitcnt lgkmcnt(1)
	v_mul_f32_e32 v52, v164, v73
	v_fma_f32 v52, v163, v70, -v52
	v_sub_f32_e32 v3, v3, v52
	v_mul_f32_e32 v52, v162, v104
	v_fma_f32 v52, v161, v96, -v52
	v_sub_f32_e32 v3, v3, v52
	s_waitcnt lgkmcnt(0)
	v_mul_f32_e32 v52, v173, v117
	v_fma_f32 v52, v172, v109, -v52
	v_mul_f32_e32 v73, v163, v73
	v_sub_f32_e32 v3, v3, v52
	v_mul_f32_e32 v52, v171, v128
	v_fmac_f32_e32 v73, v164, v70
	v_mul_f32_e32 v70, v161, v104
	v_fma_f32 v52, v170, v133, -v52
	s_addk_i32 s25, 0xff88
	v_sub_f32_e32 v45, v45, v73
	v_fmac_f32_e32 v70, v162, v96
	v_sub_f32_e32 v3, v3, v52
	v_mov_b32_e32 v52, s25
	v_sub_f32_e32 v45, v45, v70
	v_mul_f32_e32 v70, v172, v117
	ds_read2_b64 v[161:164], v52 offset1:1
	v_fmac_f32_e32 v70, v173, v109
	v_sub_f32_e32 v45, v45, v70
	v_mul_f32_e32 v70, v170, v128
	v_mov_b32_e32 v52, s23
	v_fmac_f32_e32 v70, v171, v133
	ds_read2_b64 v[170:173], v52 offset1:1
	v_sub_f32_e32 v45, v45, v70
	s_waitcnt lgkmcnt(1)
	v_mul_f32_e32 v70, v163, v155
	v_mul_f32_e32 v52, v164, v155
	v_fmac_f32_e32 v70, v164, v159
	v_fma_f32 v52, v163, v159, -v52
	v_sub_f32_e32 v45, v45, v70
	v_mul_f32_e32 v70, v161, v83
	v_sub_f32_e32 v3, v3, v52
	v_mul_f32_e32 v52, v162, v83
	v_fmac_f32_e32 v70, v162, v1
	s_sub_i32 s25, s13, 18
	v_fma_f32 v52, v161, v1, -v52
	s_waitcnt vmcnt(16) lgkmcnt(0)
	v_mul_f32_e32 v109, v172, v174
	v_sub_f32_e32 v45, v45, v70
	v_mul_f32_e32 v83, v173, v174
	s_waitcnt vmcnt(8)
	v_fmac_f32_e32 v109, v173, v175
	s_lshl_b32 s23, s25, 9
	v_sub_f32_e32 v73, v3, v52
	v_fma_f32 v83, v172, v175, -v83
	v_sub_f32_e32 v45, v45, v109
	s_add_i32 s27, s23, s20
	v_sub_f32_e32 v73, v73, v83
	v_mul_f32_e32 v83, v171, v45
	v_mul_f32_e32 v179, v170, v45
	v_mov_b32_e32 v45, s27
	buffer_load_dword v182, off, s[0:3], 0 offset:132
	buffer_load_dword v161, off, s[0:3], 0 offset:132
	;; [unrolled: 1-line block ×14, first 2 shown]
	ds_read_b64 v[162:163], v45
	s_add_i32 s28, s27, -16
	v_mov_b32_e32 v45, s28
	v_fma_f32 v83, v170, v73, -v83
	v_fmac_f32_e32 v179, v171, v73
	buffer_load_dword v184, off, s[0:3], 0 offset:76
	ds_read2_b64 v[170:173], v45 offset1:1
	s_waitcnt lgkmcnt(1)
	v_mul_f32_e32 v45, v163, v4
	v_fma_f32 v45, v162, v5, -v45
	v_mul_f32_e32 v4, v162, v4
	buffer_load_dword v162, off, s[0:3], 0 offset:72
	v_fmac_f32_e32 v4, v163, v5
	v_sub_f32_e32 v5, v137, v45
	s_waitcnt lgkmcnt(0)
	v_mul_f32_e32 v45, v173, v23
	v_mul_f32_e32 v23, v172, v23
	v_sub_f32_e32 v4, v136, v4
	v_fmac_f32_e32 v23, v173, v25
	v_fma_f32 v45, v172, v25, -v45
	v_sub_f32_e32 v4, v4, v23
	v_mul_f32_e32 v23, v171, v26
	v_sub_f32_e32 v5, v5, v45
	v_fma_f32 v23, v170, v165, -v23
	s_sub_i32 s28, s27, 32
	v_mul_f32_e32 v25, v170, v26
	v_sub_f32_e32 v5, v5, v23
	v_mov_b32_e32 v23, s28
	v_fmac_f32_e32 v25, v171, v165
	ds_read2_b64 v[170:173], v23 offset1:1
	s_sub_i32 s28, s27, 48
	v_mov_b32_e32 v23, s28
	ds_read2_b64 v[174:177], v23 offset1:1
	v_sub_f32_e32 v4, v4, v25
	s_waitcnt lgkmcnt(1)
	v_mul_f32_e32 v23, v173, v135
	v_fma_f32 v23, v172, v140, -v23
	v_sub_f32_e32 v5, v5, v23
	v_mul_f32_e32 v23, v171, v144
	v_fma_f32 v23, v170, v146, -v23
	v_sub_f32_e32 v5, v5, v23
	s_waitcnt lgkmcnt(0)
	v_mul_f32_e32 v23, v177, v147
	v_fma_f32 v23, v176, v150, -v23
	v_mul_f32_e32 v25, v172, v135
	v_sub_f32_e32 v5, v5, v23
	v_mul_f32_e32 v23, v175, v166
	v_fmac_f32_e32 v25, v173, v140
	v_fma_f32 v23, v174, v167, -v23
	s_sub_i32 s28, s27, 64
	v_sub_f32_e32 v4, v4, v25
	v_mul_f32_e32 v25, v170, v144
	v_sub_f32_e32 v5, v5, v23
	v_mov_b32_e32 v23, s28
	v_fmac_f32_e32 v25, v171, v146
	ds_read2_b64 v[170:173], v23 offset1:1
	v_sub_f32_e32 v4, v4, v25
	v_mul_f32_e32 v25, v176, v147
	v_fmac_f32_e32 v25, v177, v150
	v_sub_f32_e32 v4, v4, v25
	v_mul_f32_e32 v25, v174, v166
	v_fmac_f32_e32 v25, v175, v167
	s_add_i32 s28, s27, 0xffffffb0
	v_sub_f32_e32 v4, v4, v25
	v_mov_b32_e32 v23, s28
	s_waitcnt lgkmcnt(0)
	v_mul_f32_e32 v25, v172, v168
	ds_read2_b64 v[174:177], v23 offset1:1
	v_mul_f32_e32 v23, v173, v168
	v_fmac_f32_e32 v25, v173, v169
	v_fma_f32 v23, v172, v169, -v23
	v_sub_f32_e32 v4, v4, v25
	v_mul_f32_e32 v25, v170, v180
	buffer_store_dword v83, off, s[0:3], 0 offset:136
	buffer_store_dword v179, off, s[0:3], 0 offset:140
	v_sub_f32_e32 v5, v5, v23
	v_mul_f32_e32 v23, v171, v180
	s_waitcnt vmcnt(25)
	v_fmac_f32_e32 v25, v171, v181
	v_fma_f32 v23, v170, v181, -v23
	v_sub_f32_e32 v136, v4, v25
	buffer_load_dword v135, off, s[0:3], 0 offset:140
	buffer_load_dword v180, off, s[0:3], 0 offset:76
	;; [unrolled: 1-line block ×8, first 2 shown]
	v_sub_f32_e32 v23, v5, v23
	buffer_load_dword v178, off, s[0:3], 0 offset:136
	buffer_load_dword v146, off, s[0:3], 0 offset:136
	;; [unrolled: 1-line block ×9, first 2 shown]
	s_add_i32 s28, s27, 0xffffffa0
	s_lshl_b32 s25, s25, 3
	s_add_i32 s25, s23, s25
	s_waitcnt vmcnt(20) lgkmcnt(0)
	v_mul_f32_e32 v26, v177, v184
	v_mul_f32_e32 v144, v176, v184
	s_waitcnt vmcnt(19)
	v_fma_f32 v26, v176, v162, -v26
	v_fmac_f32_e32 v144, v177, v162
	v_sub_f32_e32 v23, v23, v26
	v_sub_f32_e32 v26, v136, v144
	v_mul_f32_e32 v144, v175, v62
	v_mul_f32_e32 v62, v174, v62
	v_fma_f32 v144, v174, v36, -v144
	v_fmac_f32_e32 v62, v175, v36
	v_mov_b32_e32 v36, s28
	ds_read2_b64 v[165:168], v36 offset1:1
	s_add_i32 s28, s27, 0xffffff90
	v_mov_b32_e32 v36, s28
	ds_read2_b64 v[169:172], v36 offset1:1
	buffer_store_dword v23, off, s[0:3], 0 offset:144
	s_waitcnt lgkmcnt(1)
	v_mul_f32_e32 v36, v168, v80
	v_sub_f32_e32 v23, v23, v144
	v_fma_f32 v36, v167, v77, -v36
	v_sub_f32_e32 v23, v23, v36
	v_mul_f32_e32 v36, v166, v108
	v_fma_f32 v36, v165, v100, -v36
	v_sub_f32_e32 v23, v23, v36
	s_waitcnt lgkmcnt(0)
	v_mul_f32_e32 v36, v172, v112
	v_sub_f32_e32 v26, v26, v62
	v_mul_f32_e32 v62, v167, v80
	v_fma_f32 v36, v171, v114, -v36
	v_fmac_f32_e32 v62, v168, v77
	v_sub_f32_e32 v23, v23, v36
	v_mul_f32_e32 v36, v170, v132
	v_sub_f32_e32 v26, v26, v62
	v_mul_f32_e32 v62, v165, v108
	v_fma_f32 v36, v169, v139, -v36
	s_addk_i32 s27, 0xff80
	v_fmac_f32_e32 v62, v166, v100
	v_sub_f32_e32 v23, v23, v36
	v_mov_b32_e32 v36, s27
	v_sub_f32_e32 v26, v26, v62
	v_mul_f32_e32 v62, v171, v112
	ds_read2_b64 v[165:168], v36 offset1:1
	v_fmac_f32_e32 v62, v172, v114
	v_sub_f32_e32 v26, v26, v62
	v_mul_f32_e32 v62, v169, v132
	v_mov_b32_e32 v36, s25
	v_fmac_f32_e32 v62, v170, v139
	ds_read2_b64 v[169:172], v36 offset1:1
	s_waitcnt lgkmcnt(1)
	v_mul_f32_e32 v36, v168, v7
	v_mul_f32_e32 v7, v167, v7
	v_sub_f32_e32 v26, v26, v62
	v_fmac_f32_e32 v7, v168, v6
	v_fma_f32 v36, v167, v6, -v36
	v_sub_f32_e32 v7, v26, v7
	v_mul_f32_e32 v26, v165, v182
	v_sub_f32_e32 v6, v23, v36
	v_mul_f32_e32 v23, v166, v182
	v_fmac_f32_e32 v26, v166, v183
	v_fma_f32 v23, v165, v183, -v23
	v_sub_f32_e32 v62, v7, v26
	v_sub_f32_e32 v36, v6, v23
	buffer_load_dword v7, off, s[0:3], 0 offset:88
	buffer_load_dword v174, off, s[0:3], 0 offset:140
	;; [unrolled: 1-line block ×8, first 2 shown]
	s_waitcnt vmcnt(25) lgkmcnt(0)
	v_mul_f32_e32 v108, v171, v135
	v_mul_f32_e32 v100, v172, v135
	s_waitcnt vmcnt(16)
	v_fmac_f32_e32 v108, v172, v146
	v_fma_f32 v100, v171, v146, -v100
	v_sub_f32_e32 v62, v62, v108
	v_sub_f32_e32 v36, v36, v100
	v_mul_f32_e32 v100, v170, v62
	v_fma_f32 v100, v169, v36, -v100
	buffer_load_dword v175, off, s[0:3], 0 offset:136
	buffer_load_dword v163, off, s[0:3], 0 offset:136
	buffer_load_dword v144, off, s[0:3], 0 offset:136
	buffer_load_dword v114, off, s[0:3], 0 offset:136
	buffer_load_dword v80, off, s[0:3], 0 offset:136
	buffer_load_dword v26, off, s[0:3], 0 offset:136
	s_nop 0
	buffer_store_dword v100, off, s[0:3], 0 offset:144
	buffer_load_dword v135, off, s[0:3], 0 offset:144
	buffer_load_dword v108, off, s[0:3], 0 offset:152
	;; [unrolled: 1-line block ×3, first 2 shown]
	v_add_u32_e32 v100, s21, v58
	ds_write_b64 v100, v[1:2]
	v_add_u32_e32 v1, s22, v58
	s_sub_i32 s22, s13, 19
	s_lshl_b32 s21, s22, 9
	v_add_u32_e32 v2, s23, v58
	s_add_i32 s23, s21, s20
	s_add_i32 s25, s23, -8
	ds_write_b64 v1, v[178:179]
	v_mov_b32_e32 v1, s25
	buffer_store_dword v136, off, s[0:3], 0 offset:148
	v_mul_f32_e32 v136, v169, v62
	ds_read2_b64 v[166:169], v1 offset1:1
	v_fmac_f32_e32 v136, v170, v36
	buffer_store_dword v136, off, s[0:3], 0 offset:148
	s_sub_i32 s25, s23, 24
	buffer_load_dword v177, off, s[0:3], 0 offset:144
	buffer_load_dword v165, off, s[0:3], 0 offset:144
	;; [unrolled: 1-line block ×7, first 2 shown]
	s_waitcnt lgkmcnt(0)
	v_mul_f32_e32 v62, v167, v142
	v_fma_f32 v62, v166, v143, -v62
	s_lshl_b32 s22, s22, 3
	s_add_i32 s22, s21, s22
	s_waitcnt vmcnt(11)
	ds_write_b64 v2, v[135:136]
	v_mov_b32_e32 v2, s25
	ds_read2_b64 v[170:173], v2 offset1:1
	v_mul_f32_e32 v2, v169, v21
	v_mul_f32_e32 v21, v168, v21
	v_fma_f32 v2, v168, v141, -v2
	v_fmac_f32_e32 v21, v169, v141
	buffer_load_dword v178, off, s[0:3], 0 offset:80
	buffer_load_dword v179, off, s[0:3], 0 offset:160
	;; [unrolled: 1-line block ×7, first 2 shown]
	s_waitcnt vmcnt(17)
	v_sub_f32_e32 v2, v108, v2
	v_mul_f32_e32 v108, v166, v142
	s_waitcnt vmcnt(16)
	v_sub_f32_e32 v21, v176, v21
	v_fmac_f32_e32 v108, v167, v143
	v_sub_f32_e32 v2, v2, v62
	v_sub_f32_e32 v21, v21, v108
	s_waitcnt lgkmcnt(0)
	v_mul_f32_e32 v62, v173, v145
	v_mul_f32_e32 v108, v172, v145
	v_fma_f32 v62, v172, v148, -v62
	v_fmac_f32_e32 v108, v173, v148
	v_sub_f32_e32 v2, v2, v62
	v_sub_f32_e32 v21, v21, v108
	v_mul_f32_e32 v62, v171, v111
	v_mul_f32_e32 v108, v170, v111
	v_fma_f32 v62, v170, v113, -v62
	v_fmac_f32_e32 v108, v171, v113
	buffer_load_dword v113, off, s[0:3], 0 offset:148
	s_sub_i32 s25, s23, 40
	v_sub_f32_e32 v2, v2, v62
	v_mov_b32_e32 v62, s25
	ds_read2_b64 v[166:169], v62 offset1:1
	s_sub_i32 s25, s23, 56
	v_mov_b32_e32 v62, s25
	ds_read2_b64 v[170:173], v62 offset1:1
	v_sub_f32_e32 v21, v21, v108
	s_waitcnt lgkmcnt(1)
	v_mul_f32_e32 v62, v169, v115
	v_fma_f32 v62, v168, v116, -v62
	v_sub_f32_e32 v2, v2, v62
	v_mul_f32_e32 v62, v167, v119
	v_fma_f32 v62, v166, v121, -v62
	v_sub_f32_e32 v2, v2, v62
	s_waitcnt lgkmcnt(0)
	v_mul_f32_e32 v62, v173, v149
	v_mul_f32_e32 v108, v168, v115
	v_fma_f32 v62, v172, v151, -v62
	v_fmac_f32_e32 v108, v169, v116
	v_sub_f32_e32 v2, v2, v62
	v_mul_f32_e32 v62, v171, v152
	v_sub_f32_e32 v21, v21, v108
	v_mul_f32_e32 v108, v166, v119
	v_fma_f32 v62, v170, v153, -v62
	s_add_i32 s25, s23, 0xffffffb8
	v_fmac_f32_e32 v108, v167, v121
	v_sub_f32_e32 v2, v2, v62
	v_mov_b32_e32 v62, s25
	v_sub_f32_e32 v21, v21, v108
	v_mul_f32_e32 v108, v172, v149
	ds_read2_b64 v[166:169], v62 offset1:1
	v_fmac_f32_e32 v108, v173, v151
	s_add_i32 s25, s23, 0xffffffa8
	v_sub_f32_e32 v21, v21, v108
	v_mul_f32_e32 v108, v170, v152
	v_mov_b32_e32 v62, s25
	v_fmac_f32_e32 v108, v171, v153
	ds_read2_b64 v[170:173], v62 offset1:1
	v_sub_f32_e32 v21, v21, v108
	s_waitcnt lgkmcnt(1)
	v_mul_f32_e32 v108, v168, v158
	v_fmac_f32_e32 v108, v169, v160
	v_sub_f32_e32 v21, v21, v108
	v_mul_f32_e32 v108, v166, v180
	v_mul_f32_e32 v62, v169, v158
	v_fmac_f32_e32 v108, v167, v181
	s_waitcnt lgkmcnt(0)
	v_mul_f32_e32 v119, v173, v44
	v_mul_f32_e32 v44, v172, v44
	v_fma_f32 v62, v168, v160, -v62
	v_sub_f32_e32 v115, v21, v108
	v_sub_f32_e32 v2, v2, v62
	v_mul_f32_e32 v62, v167, v180
	s_add_i32 s25, s23, 0xffffff98
	v_fma_f32 v62, v166, v181, -v62
	v_sub_f32_e32 v2, v2, v62
	buffer_load_dword v142, off, s[0:3], 0 offset:80
	buffer_load_dword v116, off, s[0:3], 0 offset:80
	;; [unrolled: 1-line block ×6, first 2 shown]
	s_waitcnt vmcnt(13)
	v_fmac_f32_e32 v44, v173, v178
	v_sub_f32_e32 v44, v115, v44
	v_mul_f32_e32 v115, v171, v71
	v_mul_f32_e32 v71, v170, v71
	v_fma_f32 v115, v170, v51, -v115
	v_fmac_f32_e32 v71, v171, v51
	v_mov_b32_e32 v51, s25
	ds_read2_b64 v[166:169], v51 offset1:1
	s_add_i32 s25, s23, 0xffffff88
	v_mov_b32_e32 v51, s25
	v_fma_f32 v119, v172, v178, -v119
	ds_read2_b64 v[170:173], v51 offset1:1
	v_sub_f32_e32 v44, v44, v71
	s_waitcnt lgkmcnt(1)
	v_mul_f32_e32 v71, v168, v84
	v_sub_f32_e32 v2, v2, v119
	v_mul_f32_e32 v51, v169, v84
	v_fmac_f32_e32 v71, v169, v78
	v_sub_f32_e32 v2, v2, v115
	v_fma_f32 v51, v168, v78, -v51
	v_sub_f32_e32 v44, v44, v71
	v_mul_f32_e32 v71, v166, v106
	v_sub_f32_e32 v2, v2, v51
	v_mul_f32_e32 v51, v167, v106
	v_fmac_f32_e32 v71, v167, v107
	v_fma_f32 v51, v166, v107, -v51
	v_sub_f32_e32 v44, v44, v71
	s_waitcnt lgkmcnt(0)
	v_mul_f32_e32 v71, v172, v122
	v_sub_f32_e32 v2, v2, v51
	v_mul_f32_e32 v51, v173, v122
	v_fmac_f32_e32 v71, v173, v134
	v_fma_f32 v51, v172, v134, -v51
	v_sub_f32_e32 v44, v44, v71
	v_mul_f32_e32 v71, v170, v154
	v_sub_f32_e32 v2, v2, v51
	v_mul_f32_e32 v51, v171, v154
	v_fmac_f32_e32 v71, v171, v20
	s_addk_i32 s23, 0xff78
	v_fma_f32 v51, v170, v20, -v51
	v_sub_f32_e32 v20, v44, v71
	v_mov_b32_e32 v44, s23
	ds_read2_b64 v[151:154], v44 offset1:1
	v_mov_b32_e32 v44, s22
	ds_read2_b64 v[166:169], v44 offset1:1
	v_sub_f32_e32 v2, v2, v51
	s_waitcnt lgkmcnt(1)
	v_mul_f32_e32 v51, v153, v161
	v_mul_f32_e32 v44, v154, v161
	v_fmac_f32_e32 v51, v154, v164
	v_fma_f32 v44, v153, v164, -v44
	v_sub_f32_e32 v20, v20, v51
	v_mul_f32_e32 v51, v151, v174
	v_sub_f32_e32 v2, v2, v44
	v_mul_f32_e32 v44, v152, v174
	v_fmac_f32_e32 v51, v152, v175
	s_waitcnt vmcnt(6) lgkmcnt(0)
	v_mul_f32_e32 v107, v168, v113
	v_fma_f32 v44, v151, v175, -v44
	v_sub_f32_e32 v51, v20, v51
	v_mul_f32_e32 v78, v169, v113
	v_fmac_f32_e32 v107, v169, v177
	v_sub_f32_e32 v71, v2, v44
	v_fma_f32 v78, v168, v177, -v78
	v_sub_f32_e32 v51, v51, v107
	v_sub_f32_e32 v71, v71, v78
	v_mul_f32_e32 v78, v167, v51
	v_fma_f32 v121, v166, v71, -v78
	v_mul_f32_e32 v122, v166, v51
	buffer_load_dword v134, off, s[0:3], 0 offset:148
	buffer_load_dword v115, off, s[0:3], 0 offset:148
	;; [unrolled: 1-line block ×7, first 2 shown]
	v_fmac_f32_e32 v122, v167, v71
	buffer_store_dword v121, off, s[0:3], 0 offset:152
	buffer_store_dword v122, off, s[0:3], 0 offset:156
	buffer_load_dword v71, off, s[0:3], 0 offset:84
	buffer_load_dword v143, off, s[0:3], 0 offset:88
	v_add_u32_e32 v51, s21, v58
	s_sub_i32 s21, s13, 20
	s_lshl_b32 s22, s21, 9
	s_add_i32 s23, s22, s20
	ds_write_b64 v51, v[121:122]
	v_mov_b32_e32 v51, s23
	ds_read_b64 v[121:122], v51
	s_add_i32 s25, s23, -16
	v_mov_b32_e32 v51, s25
	ds_read2_b64 v[151:154], v51 offset1:1
	s_sub_i32 s25, s23, 32
	s_waitcnt lgkmcnt(1)
	v_mul_f32_e32 v51, v122, v27
	v_fma_f32 v51, v121, v28, -v51
	v_mul_f32_e32 v27, v121, v27
	v_fmac_f32_e32 v27, v122, v28
	v_sub_f32_e32 v28, v179, v51
	s_waitcnt lgkmcnt(0)
	v_mul_f32_e32 v51, v154, v118
	v_fma_f32 v51, v153, v120, -v51
	v_sub_f32_e32 v28, v28, v51
	v_mul_f32_e32 v51, v152, v123
	v_fma_f32 v51, v151, v124, -v51
	v_mul_f32_e32 v78, v153, v118
	v_sub_f32_e32 v28, v28, v51
	v_mov_b32_e32 v51, s25
	v_fmac_f32_e32 v78, v154, v120
	ds_read2_b64 v[118:121], v51 offset1:1
	v_sub_f32_e32 v27, v182, v27
	s_sub_i32 s25, s23, 48
	v_sub_f32_e32 v27, v27, v78
	v_mul_f32_e32 v78, v151, v123
	v_mov_b32_e32 v51, s25
	v_fmac_f32_e32 v78, v152, v124
	ds_read2_b64 v[151:154], v51 offset1:1
	s_waitcnt lgkmcnt(1)
	v_mul_f32_e32 v51, v121, v82
	v_fma_f32 v51, v120, v87, -v51
	v_sub_f32_e32 v28, v28, v51
	v_mul_f32_e32 v51, v119, v90
	v_fma_f32 v51, v118, v92, -v51
	v_sub_f32_e32 v28, v28, v51
	s_waitcnt lgkmcnt(0)
	v_mul_f32_e32 v51, v154, v94
	v_fma_f32 v51, v153, v99, -v51
	v_sub_f32_e32 v27, v27, v78
	v_mul_f32_e32 v78, v120, v82
	v_sub_f32_e32 v28, v28, v51
	v_mul_f32_e32 v51, v152, v125
	v_fmac_f32_e32 v78, v121, v87
	v_fma_f32 v51, v151, v126, -v51
	s_sub_i32 s25, s23, 64
	v_sub_f32_e32 v27, v27, v78
	v_mul_f32_e32 v78, v118, v90
	v_sub_f32_e32 v28, v28, v51
	v_mov_b32_e32 v51, s25
	v_fmac_f32_e32 v78, v119, v92
	ds_read2_b64 v[118:121], v51 offset1:1
	v_sub_f32_e32 v27, v27, v78
	v_mul_f32_e32 v78, v153, v94
	v_fmac_f32_e32 v78, v154, v99
	s_add_i32 s25, s23, 0xffffffb0
	v_sub_f32_e32 v27, v27, v78
	v_mul_f32_e32 v78, v151, v125
	v_mov_b32_e32 v51, s25
	v_fmac_f32_e32 v78, v152, v126
	ds_read2_b64 v[122:125], v51 offset1:1
	v_sub_f32_e32 v27, v27, v78
	s_waitcnt lgkmcnt(1)
	v_mul_f32_e32 v51, v121, v127
	v_mul_f32_e32 v78, v120, v127
	v_fma_f32 v51, v120, v130, -v51
	v_fmac_f32_e32 v78, v121, v130
	v_sub_f32_e32 v28, v28, v51
	v_sub_f32_e32 v27, v27, v78
	v_mul_f32_e32 v51, v119, v138
	v_mul_f32_e32 v78, v118, v138
	v_fma_f32 v51, v118, v156, -v51
	v_fmac_f32_e32 v78, v119, v156
	v_sub_f32_e32 v28, v28, v51
	v_sub_f32_e32 v27, v27, v78
	s_waitcnt lgkmcnt(0)
	v_mul_f32_e32 v51, v125, v150
	v_mul_f32_e32 v78, v124, v150
	v_fma_f32 v51, v124, v159, -v51
	v_fmac_f32_e32 v78, v125, v159
	v_sub_f32_e32 v28, v28, v51
	v_sub_f32_e32 v27, v27, v78
	buffer_load_dword v127, off, s[0:3], 0 offset:84
	buffer_load_dword v107, off, s[0:3], 0 offset:84
	;; [unrolled: 1-line block ×6, first 2 shown]
	s_waitcnt vmcnt(7)
	v_mul_f32_e32 v82, v123, v71
	v_mul_f32_e32 v71, v122, v71
	v_fmac_f32_e32 v71, v123, v142
	s_add_i32 s25, s23, 0xffffffa0
	v_sub_f32_e32 v27, v27, v71
	v_mov_b32_e32 v71, s25
	s_add_i32 s25, s23, 0xffffff90
	v_fma_f32 v82, v122, v142, -v82
	ds_read2_b64 v[118:121], v71 offset1:1
	v_mov_b32_e32 v71, s25
	v_sub_f32_e32 v28, v28, v82
	ds_read2_b64 v[122:125], v71 offset1:1
	buffer_load_dword v130, off, s[0:3], 0 offset:152
	buffer_load_dword v138, off, s[0:3], 0 offset:88
	;; [unrolled: 1-line block ×5, first 2 shown]
	s_waitcnt lgkmcnt(1)
	v_mul_f32_e32 v71, v121, v41
	v_mul_f32_e32 v41, v120, v41
	s_waitcnt vmcnt(11)
	v_fmac_f32_e32 v41, v121, v143
	v_fma_f32 v71, v120, v143, -v71
	v_sub_f32_e32 v27, v27, v41
	v_mul_f32_e32 v41, v119, v49
	v_sub_f32_e32 v28, v28, v71
	v_fma_f32 v41, v118, v42, -v41
	v_sub_f32_e32 v28, v28, v41
	s_waitcnt lgkmcnt(0)
	v_mul_f32_e32 v41, v125, v75
	v_fma_f32 v41, v124, v76, -v41
	v_sub_f32_e32 v28, v28, v41
	v_mul_f32_e32 v41, v123, v98
	v_fma_f32 v41, v122, v105, -v41
	s_add_i32 s25, s23, 0xffffff80
	v_mul_f32_e32 v49, v118, v49
	v_sub_f32_e32 v28, v28, v41
	v_mov_b32_e32 v41, s25
	v_fmac_f32_e32 v49, v119, v42
	ds_read2_b64 v[118:121], v41 offset1:1
	v_mul_f32_e32 v42, v124, v75
	v_sub_f32_e32 v27, v27, v49
	v_fmac_f32_e32 v42, v125, v76
	s_addk_i32 s23, 0xff70
	v_sub_f32_e32 v27, v27, v42
	v_mul_f32_e32 v42, v122, v98
	v_mov_b32_e32 v41, s23
	v_fmac_f32_e32 v42, v123, v105
	ds_read2_b64 v[122:125], v41 offset1:1
	s_waitcnt lgkmcnt(1)
	v_mul_f32_e32 v41, v121, v131
	v_sub_f32_e32 v27, v27, v42
	v_fma_f32 v41, v120, v22, -v41
	v_mul_f32_e32 v42, v120, v131
	v_fmac_f32_e32 v42, v121, v22
	v_sub_f32_e32 v22, v28, v41
	v_mul_f32_e32 v28, v119, v155
	v_fma_f32 v28, v118, v157, -v28
	v_sub_f32_e32 v22, v22, v28
	s_waitcnt lgkmcnt(0)
	v_mul_f32_e32 v28, v125, v162
	v_mul_f32_e32 v41, v118, v155
	v_fma_f32 v28, v124, v163, -v28
	v_sub_f32_e32 v27, v27, v42
	v_fmac_f32_e32 v41, v119, v157
	v_sub_f32_e32 v22, v22, v28
	v_mul_f32_e32 v28, v123, v134
	s_lshl_b32 s21, s21, 3
	v_sub_f32_e32 v27, v27, v41
	v_mul_f32_e32 v41, v124, v162
	v_fma_f32 v28, v122, v165, -v28
	s_add_i32 s21, s22, s21
	s_sub_i32 s23, s13, 21
	v_fmac_f32_e32 v41, v125, v163
	v_sub_f32_e32 v42, v22, v28
	v_mov_b32_e32 v22, s21
	s_lshl_b32 s21, s23, 9
	v_sub_f32_e32 v27, v27, v41
	v_mul_f32_e32 v41, v122, v134
	s_add_i32 s25, s21, s20
	v_fmac_f32_e32 v41, v123, v165
	s_add_i32 s27, s25, -8
	v_sub_f32_e32 v98, v27, v41
	v_mov_b32_e32 v27, s27
	ds_read2_b64 v[119:122], v22 offset1:1
	ds_read2_b64 v[123:126], v27 offset1:1
	buffer_load_dword v131, off, s[0:3], 0 offset:156
	buffer_load_dword v105, off, s[0:3], 0 offset:156
	buffer_load_dword v92, off, s[0:3], 0 offset:156
	buffer_load_dword v75, off, s[0:3], 0 offset:156
	buffer_load_dword v49, off, s[0:3], 0 offset:156
	buffer_load_dword v22, off, s[0:3], 0 offset:156
	buffer_load_dword v27, off, s[0:3], 0 offset:156
	buffer_load_dword v142, off, s[0:3], 0 offset:152
	buffer_load_dword v118, off, s[0:3], 0 offset:152
	buffer_load_dword v94, off, s[0:3], 0 offset:152
	buffer_load_dword v76, off, s[0:3], 0 offset:152
	buffer_load_dword v71, off, s[0:3], 0 offset:152
	buffer_load_dword v41, off, s[0:3], 0 offset:152
	buffer_load_dword v28, off, s[0:3], 0 offset:152
	s_waitcnt vmcnt(19) lgkmcnt(1)
	v_mul_f32_e32 v134, v122, v99
	v_mul_f32_e32 v99, v121, v99
	s_waitcnt vmcnt(18)
	v_fmac_f32_e32 v99, v122, v130
	v_fma_f32 v134, v121, v130, -v134
	v_sub_f32_e32 v99, v98, v99
	v_sub_f32_e32 v42, v42, v134
	v_mul_f32_e32 v98, v120, v99
	v_mul_f32_e32 v99, v119, v99
	v_fma_f32 v98, v119, v42, -v98
	v_fmac_f32_e32 v99, v120, v42
	v_add_u32_e32 v42, s22, v58
	buffer_store_dword v98, off, s[0:3], 0 offset:160
	buffer_store_dword v99, off, s[0:3], 0 offset:164
	ds_write_b64 v42, v[98:99]
	s_waitcnt lgkmcnt(1)
	v_mul_f32_e32 v42, v126, v81
	v_mul_f32_e32 v81, v125, v81
	v_fma_f32 v42, v125, v85, -v42
	v_fmac_f32_e32 v81, v126, v85
	v_mul_f32_e32 v85, v124, v86
	v_sub_f32_e32 v42, v141, v42
	v_fma_f32 v85, v123, v88, -v85
	s_sub_i32 s22, s25, 24
	v_sub_f32_e32 v42, v42, v85
	v_mov_b32_e32 v85, s22
	ds_read2_b64 v[119:122], v85 offset1:1
	v_mul_f32_e32 v86, v123, v86
	v_fmac_f32_e32 v86, v124, v88
	buffer_load_dword v88, off, s[0:3], 0 offset:92
	s_sub_i32 s22, s25, 40
	v_mov_b32_e32 v85, s22
	v_sub_f32_e32 v81, v147, v81
	ds_read2_b64 v[123:126], v85 offset1:1
	s_waitcnt lgkmcnt(1)
	v_mul_f32_e32 v85, v122, v89
	v_sub_f32_e32 v81, v81, v86
	v_fma_f32 v85, v121, v91, -v85
	v_mul_f32_e32 v86, v121, v89
	buffer_load_dword v89, off, s[0:3], 0 offset:96
	v_sub_f32_e32 v42, v42, v85
	v_mul_f32_e32 v85, v120, v46
	v_mul_f32_e32 v46, v119, v46
	v_fma_f32 v85, v119, v56, -v85
	v_fmac_f32_e32 v46, v120, v56
	buffer_load_dword v56, off, s[0:3], 0 offset:104
	v_fmac_f32_e32 v86, v122, v91
	v_sub_f32_e32 v81, v81, v86
	v_sub_f32_e32 v46, v81, v46
	s_waitcnt lgkmcnt(0)
	v_mul_f32_e32 v81, v126, v61
	v_mul_f32_e32 v61, v125, v61
	v_fmac_f32_e32 v61, v126, v63
	v_sub_f32_e32 v42, v42, v85
	v_fma_f32 v81, v125, v63, -v81
	v_sub_f32_e32 v46, v46, v61
	v_mul_f32_e32 v61, v124, v64
	v_sub_f32_e32 v42, v42, v81
	v_fma_f32 v61, v123, v68, -v61
	s_sub_i32 s22, s25, 56
	v_sub_f32_e32 v42, v42, v61
	v_mov_b32_e32 v61, s22
	ds_read2_b64 v[119:122], v61 offset1:1
	s_add_i32 s22, s25, 0xffffffb8
	v_mul_f32_e32 v63, v123, v64
	v_mov_b32_e32 v61, s22
	v_fmac_f32_e32 v63, v124, v68
	ds_read2_b64 v[123:126], v61 offset1:1
	s_waitcnt lgkmcnt(1)
	v_mul_f32_e32 v61, v122, v93
	v_fma_f32 v61, v121, v97, -v61
	v_sub_f32_e32 v42, v42, v61
	v_mul_f32_e32 v61, v120, v101
	v_fma_f32 v61, v119, v102, -v61
	v_sub_f32_e32 v42, v42, v61
	s_waitcnt lgkmcnt(0)
	v_mul_f32_e32 v61, v126, v110
	v_fma_f32 v61, v125, v129, -v61
	v_sub_f32_e32 v46, v46, v63
	v_mul_f32_e32 v63, v121, v93
	v_sub_f32_e32 v42, v42, v61
	v_mul_f32_e32 v61, v124, v137
	v_fmac_f32_e32 v63, v122, v97
	v_fma_f32 v61, v123, v140, -v61
	s_add_i32 s22, s25, 0xffffffa8
	v_sub_f32_e32 v46, v46, v63
	v_mul_f32_e32 v63, v119, v101
	v_sub_f32_e32 v42, v42, v61
	v_mov_b32_e32 v61, s22
	v_fmac_f32_e32 v63, v120, v102
	ds_read2_b64 v[119:122], v61 offset1:1
	v_sub_f32_e32 v46, v46, v63
	v_mul_f32_e32 v63, v125, v110
	v_fmac_f32_e32 v63, v126, v129
	s_add_i32 s22, s25, 0xffffff98
	v_sub_f32_e32 v46, v46, v63
	v_mul_f32_e32 v63, v123, v137
	v_mov_b32_e32 v61, s22
	v_fmac_f32_e32 v63, v124, v140
	ds_read2_b64 v[123:126], v61 offset1:1
	s_waitcnt lgkmcnt(1)
	v_mul_f32_e32 v61, v122, v127
	v_sub_f32_e32 v46, v46, v63
	v_fma_f32 v61, v121, v116, -v61
	v_mul_f32_e32 v63, v121, v127
	v_fmac_f32_e32 v63, v122, v116
	v_sub_f32_e32 v42, v42, v61
	v_sub_f32_e32 v46, v46, v63
	s_add_i32 s22, s25, 0xffffff88
	buffer_load_dword v86, off, s[0:3], 0 offset:92
	buffer_load_dword v98, off, s[0:3], 0 offset:92
	;; [unrolled: 1-line block ×4, first 2 shown]
	s_waitcnt vmcnt(6)
	v_mul_f32_e32 v61, v120, v88
	v_fma_f32 v61, v119, v138, -v61
	v_mul_f32_e32 v63, v119, v88
	v_fmac_f32_e32 v63, v120, v138
	v_sub_f32_e32 v42, v42, v61
	s_waitcnt lgkmcnt(0)
	v_mul_f32_e32 v61, v126, v38
	v_mul_f32_e32 v38, v125, v38
	v_sub_f32_e32 v46, v46, v63
	buffer_load_dword v88, off, s[0:3], 0 offset:160
	buffer_load_dword v93, off, s[0:3], 0 offset:96
	;; [unrolled: 1-line block ×4, first 2 shown]
	s_waitcnt vmcnt(9)
	v_fmac_f32_e32 v38, v126, v89
	v_fma_f32 v61, v125, v89, -v61
	v_sub_f32_e32 v38, v46, v38
	v_mul_f32_e32 v46, v124, v39
	v_sub_f32_e32 v42, v42, v61
	buffer_load_dword v110, off, s[0:3], 0 offset:104
	buffer_load_dword v99, off, s[0:3], 0 offset:104
	;; [unrolled: 1-line block ×3, first 2 shown]
	s_waitcnt vmcnt(11)
	v_fma_f32 v46, v123, v56, -v46
	v_sub_f32_e32 v42, v42, v46
	v_mov_b32_e32 v46, s22
	ds_read2_b64 v[119:122], v46 offset1:1
	v_mul_f32_e32 v39, v123, v39
	v_fmac_f32_e32 v39, v124, v56
	s_add_i32 s22, s25, 0xffffff78
	v_sub_f32_e32 v38, v38, v39
	v_mov_b32_e32 v39, s22
	ds_read2_b64 v[123:126], v39 offset1:1
	s_waitcnt lgkmcnt(1)
	v_mul_f32_e32 v39, v122, v66
	v_fma_f32 v39, v121, v72, -v39
	v_sub_f32_e32 v39, v42, v39
	v_mul_f32_e32 v42, v120, v103
	v_fma_f32 v42, v119, v74, -v42
	v_sub_f32_e32 v39, v39, v42
	s_waitcnt lgkmcnt(0)
	v_mul_f32_e32 v42, v126, v128
	v_fma_f32 v42, v125, v133, -v42
	v_mul_f32_e32 v46, v121, v66
	v_sub_f32_e32 v39, v39, v42
	v_mul_f32_e32 v42, v124, v139
	v_fmac_f32_e32 v46, v122, v72
	v_fma_f32 v42, v123, v144, -v42
	s_add_i32 s22, s25, 0xffffff68
	v_sub_f32_e32 v38, v38, v46
	v_mul_f32_e32 v46, v119, v103
	v_sub_f32_e32 v39, v39, v42
	v_mov_b32_e32 v42, s22
	v_fmac_f32_e32 v46, v120, v74
	ds_read2_b64 v[119:122], v42 offset1:1
	v_sub_f32_e32 v38, v38, v46
	v_mul_f32_e32 v46, v125, v128
	v_fmac_f32_e32 v46, v126, v133
	v_sub_f32_e32 v38, v38, v46
	v_mul_f32_e32 v46, v123, v139
	v_fmac_f32_e32 v46, v124, v144
	v_sub_f32_e32 v38, v38, v46
	s_waitcnt lgkmcnt(0)
	v_mul_f32_e32 v46, v121, v115
	s_lshl_b32 s22, s23, 3
	v_fmac_f32_e32 v46, v122, v146
	s_add_i32 s22, s21, s22
	v_sub_f32_e32 v38, v38, v46
	v_mul_f32_e32 v46, v119, v131
	v_mov_b32_e32 v42, s22
	v_fmac_f32_e32 v46, v120, v142
	ds_read2_b64 v[123:126], v42 offset1:1
	v_sub_f32_e32 v103, v38, v46
	buffer_load_dword v74, off, s[0:3], 0 offset:164
	buffer_load_dword v89, off, s[0:3], 0 offset:164
	;; [unrolled: 1-line block ×7, first 2 shown]
	v_mul_f32_e32 v42, v122, v115
	v_fma_f32 v42, v121, v146, -v42
	v_sub_f32_e32 v39, v39, v42
	v_mul_f32_e32 v42, v120, v131
	v_fma_f32 v42, v119, v142, -v42
	v_sub_f32_e32 v102, v39, v42
	s_sub_i32 s22, s13, 22
	s_waitcnt vmcnt(14) lgkmcnt(0)
	v_mul_f32_e32 v115, v126, v91
	v_mul_f32_e32 v91, v125, v91
	s_waitcnt vmcnt(13)
	v_fmac_f32_e32 v91, v126, v88
	v_fma_f32 v115, v125, v88, -v115
	v_sub_f32_e32 v91, v103, v91
	v_sub_f32_e32 v88, v102, v115
	v_mul_f32_e32 v102, v124, v91
	v_mul_f32_e32 v103, v123, v91
	v_fma_f32 v102, v123, v88, -v102
	v_fmac_f32_e32 v103, v124, v88
	v_add_u32_e32 v88, s21, v58
	s_lshl_b32 s21, s22, 9
	s_add_i32 s23, s21, s20
	v_mov_b32_e32 v91, s23
	s_add_i32 s25, s23, -16
	s_lshl_b32 s22, s22, 3
	s_add_i32 s22, s21, s22
	s_waitcnt vmcnt(0)
	buffer_store_dword v0, off, s[0:3], 0 offset:256 ; 4-byte Folded Spill
	buffer_load_dword v127, off, s[0:3], 0 offset:160
	buffer_load_dword v101, off, s[0:3], 0 offset:160
	;; [unrolled: 1-line block ×7, first 2 shown]
	s_waitcnt vmcnt(0)
	buffer_store_dword v0, off, s[0:3], 0 offset:260 ; 4-byte Folded Spill
	buffer_store_dword v102, off, s[0:3], 0 offset:168
	buffer_store_dword v103, off, s[0:3], 0 offset:172
	ds_read_b64 v[115:116], v91
	ds_write_b64 v88, v[102:103]
	v_mov_b32_e32 v88, s25
	ds_read2_b64 v[119:122], v88 offset1:1
	s_sub_i32 s25, s23, 32
	s_waitcnt lgkmcnt(2)
	v_mul_f32_e32 v88, v116, v43
	v_fma_f32 v88, v115, v47, -v88
	v_mul_f32_e32 v43, v115, v43
	v_fmac_f32_e32 v43, v116, v47
	v_sub_f32_e32 v47, v135, v88
	s_waitcnt lgkmcnt(0)
	v_mul_f32_e32 v88, v122, v50
	v_mul_f32_e32 v50, v121, v50
	v_sub_f32_e32 v43, v136, v43
	v_fmac_f32_e32 v50, v122, v53
	v_fma_f32 v88, v121, v53, -v88
	v_sub_f32_e32 v43, v43, v50
	v_mul_f32_e32 v50, v120, v54
	v_mul_f32_e32 v53, v119, v54
	buffer_load_dword v54, off, s[0:3], 0 offset:100
	v_fmac_f32_e32 v53, v120, v55
	v_sub_f32_e32 v43, v43, v53
	buffer_load_dword v53, off, s[0:3], 0 offset:108
	v_fma_f32 v50, v119, v55, -v50
	buffer_load_dword v55, off, s[0:3], 0 offset:112
	v_sub_f32_e32 v47, v47, v88
	v_sub_f32_e32 v47, v47, v50
	v_mov_b32_e32 v50, s25
	ds_read2_b64 v[119:122], v50 offset1:1
	s_sub_i32 s25, s23, 48
	v_mov_b32_e32 v50, s25
	ds_read2_b64 v[123:126], v50 offset1:1
	s_sub_i32 s25, s23, 64
	s_waitcnt lgkmcnt(1)
	v_mul_f32_e32 v50, v122, v29
	v_mul_f32_e32 v29, v121, v29
	v_fmac_f32_e32 v29, v122, v30
	v_sub_f32_e32 v29, v43, v29
	v_mul_f32_e32 v43, v120, v31
	v_mul_f32_e32 v31, v119, v31
	v_fma_f32 v50, v121, v30, -v50
	v_fma_f32 v43, v119, v32, -v43
	v_fmac_f32_e32 v31, v120, v32
	s_waitcnt lgkmcnt(0)
	v_mul_f32_e32 v32, v125, v33
	v_sub_f32_e32 v30, v47, v50
	v_sub_f32_e32 v29, v29, v31
	v_mul_f32_e32 v31, v126, v33
	v_fmac_f32_e32 v32, v126, v34
	v_sub_f32_e32 v30, v30, v43
	v_fma_f32 v31, v125, v34, -v31
	v_sub_f32_e32 v33, v29, v32
	v_mul_f32_e32 v29, v124, v57
	v_sub_f32_e32 v30, v30, v31
	v_fma_f32 v29, v123, v60, -v29
	v_sub_f32_e32 v43, v30, v29
	v_mov_b32_e32 v29, s25
	ds_read2_b64 v[29:32], v29 offset1:1
	v_mul_f32_e32 v34, v123, v57
	v_fmac_f32_e32 v34, v124, v60
	s_add_i32 s25, s23, 0xffffffb0
	v_sub_f32_e32 v33, v33, v34
	v_mov_b32_e32 v34, s25
	ds_read2_b64 v[119:122], v34 offset1:1
	s_waitcnt lgkmcnt(1)
	v_mul_f32_e32 v34, v32, v65
	v_fma_f32 v34, v31, v67, -v34
	v_mul_f32_e32 v31, v31, v65
	v_fmac_f32_e32 v31, v32, v67
	v_sub_f32_e32 v31, v33, v31
	v_mul_f32_e32 v33, v30, v79
	v_sub_f32_e32 v32, v43, v34
	v_fma_f32 v33, v29, v95, -v33
	v_mul_f32_e32 v29, v29, v79
	v_fmac_f32_e32 v29, v30, v95
	v_sub_f32_e32 v30, v32, v33
	s_waitcnt lgkmcnt(0)
	v_mul_f32_e32 v32, v121, v109
	v_sub_f32_e32 v29, v31, v29
	v_mul_f32_e32 v31, v122, v109
	v_fmac_f32_e32 v32, v122, v117
	v_fma_f32 v31, v121, v117, -v31
	v_sub_f32_e32 v33, v29, v32
	v_mul_f32_e32 v29, v120, v107
	v_sub_f32_e32 v30, v30, v31
	v_fma_f32 v29, v119, v111, -v29
	s_add_i32 s25, s23, 0xffffffa0
	v_sub_f32_e32 v43, v30, v29
	v_mov_b32_e32 v29, s25
	ds_read2_b64 v[29:32], v29 offset1:1
	v_mul_f32_e32 v34, v119, v107
	v_fmac_f32_e32 v34, v120, v111
	s_add_i32 s25, s23, 0xffffff90
	v_sub_f32_e32 v33, v33, v34
	v_mov_b32_e32 v34, s25
	ds_read2_b64 v[119:122], v34 offset1:1
	s_waitcnt lgkmcnt(1)
	v_mul_f32_e32 v34, v32, v86
	v_fma_f32 v34, v31, v113, -v34
	v_mul_f32_e32 v31, v31, v86
	v_fmac_f32_e32 v31, v32, v113
	v_sub_f32_e32 v31, v33, v31
	v_sub_f32_e32 v32, v43, v34
	buffer_load_dword v47, off, s[0:3], 0 offset:100
	buffer_load_dword v88, off, s[0:3], 0 offset:100
	s_waitcnt vmcnt(4)
	v_mul_f32_e32 v33, v30, v54
	v_fma_f32 v33, v29, v93, -v33
	v_mul_f32_e32 v29, v29, v54
	buffer_load_dword v57, off, s[0:3], 0 offset:172
	buffer_load_dword v50, off, s[0:3], 0 offset:108
	;; [unrolled: 1-line block ×3, first 2 shown]
	v_fmac_f32_e32 v29, v30, v93
	v_sub_f32_e32 v30, v32, v33
	s_waitcnt vmcnt(6) lgkmcnt(0)
	v_mul_f32_e32 v32, v121, v53
	buffer_load_dword v60, off, s[0:3], 0 offset:168
	buffer_load_dword v67, off, s[0:3], 0 offset:112
	;; [unrolled: 1-line block ×3, first 2 shown]
	v_sub_f32_e32 v29, v31, v29
	v_mul_f32_e32 v31, v122, v53
	v_fmac_f32_e32 v32, v122, v110
	v_fma_f32 v31, v121, v110, -v31
	v_sub_f32_e32 v33, v29, v32
	v_mul_f32_e32 v29, v120, v35
	v_sub_f32_e32 v30, v30, v31
	s_waitcnt vmcnt(8)
	v_fma_f32 v29, v119, v55, -v29
	s_add_i32 s25, s23, 0xffffff80
	v_mul_f32_e32 v34, v119, v35
	v_sub_f32_e32 v35, v30, v29
	v_mov_b32_e32 v29, s25
	ds_read2_b64 v[29:32], v29 offset1:1
	v_fmac_f32_e32 v34, v120, v55
	s_add_i32 s25, s23, 0xffffff70
	v_sub_f32_e32 v33, v33, v34
	v_mov_b32_e32 v34, s25
	ds_read2_b64 v[119:122], v34 offset1:1
	s_waitcnt lgkmcnt(1)
	v_mul_f32_e32 v34, v32, v69
	v_fma_f32 v34, v31, v37, -v34
	v_mul_f32_e32 v31, v31, v69
	v_fmac_f32_e32 v31, v32, v37
	buffer_load_dword v55, off, s[0:3], 0 offset:184
	buffer_load_dword v69, off, s[0:3], 0 offset:188
	v_sub_f32_e32 v31, v33, v31
	v_mul_f32_e32 v33, v30, v96
	v_sub_f32_e32 v32, v35, v34
	v_fma_f32 v33, v29, v104, -v33
	v_mul_f32_e32 v29, v29, v96
	buffer_load_dword v79, off, s[0:3], 0 offset:28
	buffer_load_dword v86, off, s[0:3], 0 offset:24
	v_fmac_f32_e32 v29, v30, v104
	v_sub_f32_e32 v30, v32, v33
	s_waitcnt lgkmcnt(0)
	v_mul_f32_e32 v32, v121, v112
	v_sub_f32_e32 v29, v31, v29
	v_mul_f32_e32 v31, v122, v112
	v_fmac_f32_e32 v32, v122, v114
	v_fma_f32 v31, v121, v114, -v31
	v_sub_f32_e32 v29, v29, v32
	v_mul_f32_e32 v32, v119, v106
	v_sub_f32_e32 v30, v30, v31
	v_mul_f32_e32 v31, v120, v106
	v_fmac_f32_e32 v32, v120, v132
	s_addk_i32 s23, 0xff60
	v_fma_f32 v31, v119, v132, -v31
	v_sub_f32_e32 v34, v29, v32
	v_mov_b32_e32 v29, s23
	v_sub_f32_e32 v33, v30, v31
	ds_read2_b64 v[29:32], v29 offset1:1
	v_mov_b32_e32 v35, s22
	ds_read2_b64 v[111:114], v35 offset1:1
	s_sub_i32 s22, s13, 23
	s_waitcnt lgkmcnt(1)
	v_mul_f32_e32 v35, v32, v105
	v_fma_f32 v35, v31, v118, -v35
	v_mul_f32_e32 v31, v31, v105
	v_fmac_f32_e32 v31, v32, v118
	v_sub_f32_e32 v32, v33, v35
	v_mul_f32_e32 v33, v30, v74
	v_fma_f32 v33, v29, v127, -v33
	v_mul_f32_e32 v29, v29, v74
	v_sub_f32_e32 v31, v34, v31
	v_fmac_f32_e32 v29, v30, v127
	v_sub_f32_e32 v65, v32, v33
	buffer_load_dword v107, off, s[0:3], 0 offset:32
	buffer_load_dword v109, off, s[0:3], 0 offset:36
	;; [unrolled: 1-line block ×9, first 2 shown]
	v_sub_f32_e32 v74, v31, v29
	buffer_load_dword v119, off, s[0:3], 0 offset:40
	buffer_load_dword v120, off, s[0:3], 0 offset:44
	buffer_load_dword v121, off, s[0:3], 0 offset:168
	buffer_load_dword v95, off, s[0:3], 0 offset:168
	buffer_load_dword v53, off, s[0:3], 0 offset:168
	buffer_load_dword v37, off, s[0:3], 0 offset:168
	buffer_load_dword v35, off, s[0:3], 0 offset:168
	buffer_load_dword v29, off, s[0:3], 0 offset:168
	buffer_load_dword v31, off, s[0:3], 0 offset:168
	s_waitcnt vmcnt(27) lgkmcnt(0)
	v_mul_f32_e32 v96, v114, v57
	v_mul_f32_e32 v57, v113, v57
	s_waitcnt vmcnt(24)
	v_fmac_f32_e32 v57, v114, v60
	v_fma_f32 v96, v113, v60, -v96
	v_sub_f32_e32 v57, v74, v57
	v_sub_f32_e32 v60, v65, v96
	v_mul_f32_e32 v65, v112, v57
	v_mul_f32_e32 v103, v111, v57
	v_add_u32_e32 v57, s21, v58
	s_lshl_b32 s21, s22, 9
	s_add_i32 s23, s21, s20
	v_fma_f32 v102, v111, v60, -v65
	s_add_i32 s25, s23, -8
	v_fmac_f32_e32 v103, v112, v60
	buffer_store_dword v102, off, s[0:3], 0 offset:176
	buffer_store_dword v103, off, s[0:3], 0 offset:180
	v_mov_b32_e32 v60, s25
	ds_read2_b64 v[111:114], v60 offset1:1
	s_sub_i32 s25, s23, 24
	ds_write_b64 v57, v[102:103]
	v_mov_b32_e32 v57, s25
	ds_read2_b64 v[115:118], v57 offset1:1
	s_waitcnt lgkmcnt(2)
	v_mul_f32_e32 v57, v114, v10
	v_fma_f32 v57, v113, v11, -v57
	v_mul_f32_e32 v10, v113, v10
	v_fmac_f32_e32 v10, v114, v11
	s_sub_i32 s25, s23, 40
	s_waitcnt vmcnt(23)
	v_sub_f32_e32 v11, v55, v57
	v_mul_f32_e32 v55, v112, v12
	v_mul_f32_e32 v12, v111, v12
	s_waitcnt vmcnt(22)
	v_sub_f32_e32 v10, v69, v10
	v_fma_f32 v55, v111, v13, -v55
	v_fmac_f32_e32 v12, v112, v13
	s_waitcnt lgkmcnt(0)
	v_mul_f32_e32 v13, v117, v14
	v_sub_f32_e32 v10, v10, v12
	v_mul_f32_e32 v12, v118, v14
	v_fmac_f32_e32 v13, v118, v15
	v_sub_f32_e32 v11, v11, v55
	v_fma_f32 v12, v117, v15, -v12
	v_sub_f32_e32 v10, v10, v13
	s_waitcnt vmcnt(21)
	v_mul_f32_e32 v13, v115, v79
	v_sub_f32_e32 v11, v11, v12
	v_mul_f32_e32 v12, v116, v79
	s_waitcnt vmcnt(20)
	v_fmac_f32_e32 v13, v116, v86
	v_fma_f32 v12, v115, v86, -v12
	v_sub_f32_e32 v15, v10, v13
	v_mov_b32_e32 v10, s25
	buffer_load_dword v103, off, s[0:3], 0 offset:192
	buffer_load_dword v104, off, s[0:3], 0 offset:196
	;; [unrolled: 1-line block ×8, first 2 shown]
	v_sub_f32_e32 v14, v11, v12
	ds_read2_b64 v[10:13], v10 offset1:1
	s_sub_i32 s25, s23, 56
	v_mov_b32_e32 v69, s25
	ds_read2_b64 v[111:114], v69 offset1:1
	buffer_load_dword v105, off, s[0:3], 0 offset:36
	buffer_load_dword v69, off, s[0:3], 0 offset:36
	;; [unrolled: 1-line block ×5, first 2 shown]
	s_add_i32 s25, s23, 0xffffffb8
	s_lshl_b32 s22, s22, 3
	s_add_i32 s22, s21, s22
	s_waitcnt vmcnt(31) lgkmcnt(1)
	v_mul_f32_e32 v79, v13, v109
	v_fma_f32 v79, v12, v107, -v79
	v_mul_f32_e32 v12, v12, v109
	v_fmac_f32_e32 v12, v13, v107
	v_sub_f32_e32 v13, v14, v79
	buffer_load_dword v116, off, s[0:3], 0 offset:120
	buffer_load_dword v107, off, s[0:3], 0 offset:44
	;; [unrolled: 1-line block ×3, first 2 shown]
	s_waitcnt vmcnt(25)
	v_mul_f32_e32 v14, v11, v120
	v_fma_f32 v14, v10, v119, -v14
	v_mul_f32_e32 v10, v10, v120
	v_sub_f32_e32 v12, v15, v12
	v_fmac_f32_e32 v10, v11, v119
	v_sub_f32_e32 v11, v13, v14
	s_waitcnt lgkmcnt(0)
	v_mul_f32_e32 v13, v113, v16
	v_sub_f32_e32 v10, v12, v10
	v_mul_f32_e32 v12, v114, v16
	v_fmac_f32_e32 v13, v114, v17
	v_fma_f32 v12, v113, v17, -v12
	v_sub_f32_e32 v14, v10, v13
	v_mul_f32_e32 v10, v112, v18
	v_sub_f32_e32 v11, v11, v12
	v_fma_f32 v10, v111, v19, -v10
	v_mul_f32_e32 v15, v111, v18
	v_sub_f32_e32 v18, v11, v10
	v_mov_b32_e32 v10, s25
	buffer_load_dword v109, off, s[0:3], 0 offset:40
	buffer_load_dword v86, off, s[0:3], 0 offset:40
	ds_read2_b64 v[10:13], v10 offset1:1
	v_fmac_f32_e32 v15, v112, v19
	s_add_i32 s25, s23, 0xffffffa8
	v_sub_f32_e32 v19, v14, v15
	v_mov_b32_e32 v14, s25
	ds_read2_b64 v[14:17], v14 offset1:1
	s_waitcnt lgkmcnt(1)
	v_mul_f32_e32 v111, v13, v40
	v_fma_f32 v111, v12, v48, -v111
	v_mul_f32_e32 v12, v12, v40
	v_fmac_f32_e32 v12, v13, v48
	v_sub_f32_e32 v13, v18, v111
	v_mul_f32_e32 v18, v11, v73
	v_fma_f32 v18, v10, v83, -v18
	v_mul_f32_e32 v10, v10, v73
	v_sub_f32_e32 v12, v19, v12
	v_fmac_f32_e32 v10, v11, v83
	v_sub_f32_e32 v11, v13, v18
	s_waitcnt lgkmcnt(0)
	v_mul_f32_e32 v13, v16, v87
	v_sub_f32_e32 v10, v12, v10
	v_mul_f32_e32 v12, v17, v87
	v_fmac_f32_e32 v13, v17, v108
	v_fma_f32 v12, v16, v108, -v12
	v_sub_f32_e32 v16, v10, v13
	v_mul_f32_e32 v10, v15, v98
	v_sub_f32_e32 v11, v11, v12
	v_fma_f32 v10, v14, v90, -v10
	s_add_i32 s25, s23, 0xffffff98
	v_sub_f32_e32 v18, v11, v10
	v_mov_b32_e32 v10, s25
	ds_read2_b64 v[10:13], v10 offset1:1
	v_mul_f32_e32 v14, v14, v98
	v_fmac_f32_e32 v14, v15, v90
	s_add_i32 s25, s23, 0xffffff88
	v_sub_f32_e32 v19, v16, v14
	v_mov_b32_e32 v14, s25
	ds_read2_b64 v[14:17], v14 offset1:1
	s_waitcnt lgkmcnt(1)
	v_mul_f32_e32 v40, v13, v47
	v_fma_f32 v40, v12, v97, -v40
	v_mul_f32_e32 v12, v12, v47
	v_fmac_f32_e32 v12, v13, v97
	v_sub_f32_e32 v13, v18, v40
	v_mul_f32_e32 v18, v11, v50
	v_fma_f32 v18, v10, v99, -v18
	v_mul_f32_e32 v10, v10, v50
	v_sub_f32_e32 v12, v19, v12
	v_fmac_f32_e32 v10, v11, v99
	v_sub_f32_e32 v11, v13, v18
	s_waitcnt vmcnt(7) lgkmcnt(0)
	v_mul_f32_e32 v13, v16, v115
	v_sub_f32_e32 v10, v12, v10
	v_mul_f32_e32 v12, v17, v115
	v_fmac_f32_e32 v13, v17, v67
	buffer_load_dword v40, off, s[0:3], 0 offset:180
	v_fma_f32 v12, v16, v67, -v12
	v_sub_f32_e32 v16, v10, v13
	v_mul_f32_e32 v10, v15, v24
	v_sub_f32_e32 v11, v11, v12
	buffer_load_dword v48, off, s[0:3], 0 offset:176
	s_add_i32 s25, s23, 0xffffff78
	s_waitcnt vmcnt(6)
	v_fma_f32 v10, v14, v116, -v10
	v_mul_f32_e32 v14, v14, v24
	v_fmac_f32_e32 v14, v15, v116
	v_sub_f32_e32 v15, v11, v10
	v_mov_b32_e32 v10, s25
	ds_read2_b64 v[10:13], v10 offset1:1
	s_add_i32 s25, s23, 0xffffff68
	v_sub_f32_e32 v14, v16, v14
	v_mov_b32_e32 v16, s25
	ds_read2_b64 v[111:114], v16 offset1:1
	s_waitcnt lgkmcnt(1)
	v_mul_f32_e32 v16, v13, v52
	v_fma_f32 v16, v12, v70, -v16
	v_mul_f32_e32 v12, v12, v52
	v_fmac_f32_e32 v12, v13, v70
	v_sub_f32_e32 v12, v14, v12
	v_mul_f32_e32 v14, v11, v77
	buffer_load_dword v24, off, s[0:3], 0 offset:4
	v_fma_f32 v14, v10, v80, -v14
	v_mul_f32_e32 v10, v10, v77
	buffer_load_dword v52, off, s[0:3], 0
	buffer_load_dword v73, off, s[0:3], 0 offset:12
	v_fmac_f32_e32 v10, v11, v80
	buffer_load_dword v77, off, s[0:3], 0 offset:8
	buffer_load_dword v80, off, s[0:3], 0 offset:20
	;; [unrolled: 1-line block ×3, first 2 shown]
	v_sub_f32_e32 v13, v15, v16
	v_sub_f32_e32 v11, v13, v14
	s_waitcnt lgkmcnt(0)
	v_mul_f32_e32 v13, v113, v84
	v_sub_f32_e32 v10, v12, v10
	v_mul_f32_e32 v12, v114, v84
	v_fmac_f32_e32 v13, v114, v100
	v_fma_f32 v12, v113, v100, -v12
	v_sub_f32_e32 v10, v10, v13
	v_mul_f32_e32 v13, v111, v92
	v_sub_f32_e32 v11, v11, v12
	v_mul_f32_e32 v12, v112, v92
	v_fmac_f32_e32 v13, v112, v94
	s_addk_i32 s23, 0xff58
	v_fma_f32 v12, v111, v94, -v12
	v_sub_f32_e32 v15, v10, v13
	v_mov_b32_e32 v10, s23
	v_sub_f32_e32 v14, v11, v12
	ds_read2_b64 v[10:13], v10 offset1:1
	v_mov_b32_e32 v16, s22
	ds_read2_b64 v[97:100], v16 offset1:1
	buffer_load_dword v19, off, s[0:3], 0 offset:116
	buffer_load_dword v17, off, s[0:3], 0 offset:120
	s_waitcnt lgkmcnt(1)
	v_mul_f32_e32 v16, v13, v89
	v_fma_f32 v16, v12, v101, -v16
	v_mul_f32_e32 v12, v12, v89
	v_fmac_f32_e32 v12, v13, v101
	v_sub_f32_e32 v13, v14, v16
	v_mul_f32_e32 v14, v11, v110
	v_fma_f32 v14, v10, v121, -v14
	v_mul_f32_e32 v10, v10, v110
	v_sub_f32_e32 v12, v15, v12
	v_fmac_f32_e32 v10, v11, v121
	v_sub_f32_e32 v83, v13, v14
	v_sub_f32_e32 v84, v12, v10
	buffer_load_dword v15, off, s[0:3], 0 offset:180
	buffer_load_dword v67, off, s[0:3], 0 offset:180
	;; [unrolled: 1-line block ×18, first 2 shown]
	s_waitcnt vmcnt(27) lgkmcnt(0)
	v_mul_f32_e32 v87, v100, v40
	v_mul_f32_e32 v40, v99, v40
	s_waitcnt vmcnt(26)
	v_fmac_f32_e32 v40, v100, v48
	v_fma_f32 v87, v99, v48, -v87
	v_sub_f32_e32 v40, v84, v40
	v_sub_f32_e32 v48, v83, v87
	v_mul_f32_e32 v83, v98, v40
	v_mul_f32_e32 v84, v97, v40
	v_add_u32_e32 v40, s21, v58
	s_add_i32 s21, s14, 0xffffd000
	v_fma_f32 v83, v97, v48, -v83
	v_fmac_f32_e32 v84, v98, v48
	s_add_i32 s22, s21, s20
	buffer_store_dword v83, off, s[0:3], 0 offset:184
	buffer_store_dword v84, off, s[0:3], 0 offset:188
	ds_write_b64 v40, v[83:84]
	v_mov_b32_e32 v40, s22
	s_add_i32 s23, s22, -16
	ds_read_b64 v[110:111], v40
	v_mov_b32_e32 v40, s23
	ds_read2_b64 v[97:100], v40 offset1:1
	s_sub_i32 s23, s22, 32
	buffer_load_dword v83, off, s[0:3], 0 offset:4
	buffer_load_dword v84, off, s[0:3], 0
	s_waitcnt vmcnt(29) lgkmcnt(1)
	v_mul_f32_e32 v40, v111, v24
	s_waitcnt vmcnt(28)
	v_fma_f32 v40, v110, v52, -v40
	v_mul_f32_e32 v24, v110, v24
	s_waitcnt vmcnt(27) lgkmcnt(0)
	v_mul_f32_e32 v48, v100, v73
	v_fmac_f32_e32 v24, v111, v52
	v_sub_f32_e32 v40, v103, v40
	s_waitcnt vmcnt(26)
	v_fma_f32 v48, v99, v77, -v48
	v_mul_f32_e32 v52, v99, v73
	s_waitcnt vmcnt(25)
	v_mul_f32_e32 v73, v98, v80
	v_sub_f32_e32 v48, v40, v48
	s_waitcnt vmcnt(24)
	v_fma_f32 v73, v97, v90, -v73
	v_fmac_f32_e32 v52, v100, v77
	v_mul_f32_e32 v77, v97, v80
	v_sub_f32_e32 v48, v48, v73
	v_mov_b32_e32 v73, s23
	v_fmac_f32_e32 v77, v98, v90
	ds_read2_b64 v[97:100], v73 offset1:1
	s_sub_i32 s23, s22, 48
	v_mov_b32_e32 v73, s23
	ds_read2_b64 v[110:113], v73 offset1:1
	v_sub_f32_e32 v24, v104, v24
	s_waitcnt lgkmcnt(1)
	v_mul_f32_e32 v73, v100, v96
	v_fma_f32 v73, v99, v102, -v73
	v_sub_f32_e32 v52, v24, v52
	v_sub_f32_e32 v48, v48, v73
	v_mul_f32_e32 v73, v98, v105
	v_sub_f32_e32 v52, v52, v77
	v_mul_f32_e32 v77, v99, v96
	v_fma_f32 v73, v97, v106, -v73
	buffer_load_dword v80, off, s[0:3], 0 offset:124
	v_fmac_f32_e32 v77, v100, v102
	v_sub_f32_e32 v48, v48, v73
	s_waitcnt lgkmcnt(0)
	v_mul_f32_e32 v73, v113, v107
	v_sub_f32_e32 v52, v52, v77
	v_mul_f32_e32 v77, v97, v105
	v_fma_f32 v73, v112, v109, -v73
	s_waitcnt vmcnt(14)
	v_mul_f32_e32 v90, v111, v101
	buffer_load_dword v105, off, s[0:3], 0 offset:128
	v_sub_f32_e32 v48, v48, v73
	v_fma_f32 v90, v110, v94, -v90
	s_sub_i32 s23, s22, 64
	v_sub_f32_e32 v48, v48, v90
	v_mov_b32_e32 v90, s23
	v_fmac_f32_e32 v77, v98, v106
	ds_read2_b64 v[97:100], v90 offset1:1
	s_add_i32 s23, s22, 0xffffffb0
	v_mov_b32_e32 v90, s23
	v_mul_f32_e32 v96, v110, v101
	ds_read2_b64 v[101:104], v90 offset1:1
	v_sub_f32_e32 v52, v52, v77
	v_mul_f32_e32 v77, v112, v107
	s_waitcnt vmcnt(7) lgkmcnt(1)
	v_mul_f32_e32 v90, v100, v114
	v_fmac_f32_e32 v77, v113, v109
	s_waitcnt vmcnt(6)
	v_fma_f32 v90, v99, v115, -v90
	v_sub_f32_e32 v52, v52, v77
	v_fmac_f32_e32 v96, v111, v94
	v_mul_f32_e32 v99, v99, v114
	v_sub_f32_e32 v48, v48, v90
	v_mul_f32_e32 v90, v98, v8
	v_sub_f32_e32 v52, v52, v96
	v_fmac_f32_e32 v99, v100, v115
	v_fma_f32 v90, v97, v9, -v90
	v_mul_f32_e32 v8, v97, v8
	v_sub_f32_e32 v52, v52, v99
	v_fmac_f32_e32 v8, v98, v9
	v_sub_f32_e32 v9, v48, v90
	s_waitcnt lgkmcnt(0)
	v_mul_f32_e32 v48, v104, v25
	v_mul_f32_e32 v25, v103, v25
	v_sub_f32_e32 v8, v52, v8
	v_fmac_f32_e32 v25, v104, v45
	v_fma_f32 v48, v103, v45, -v48
	v_sub_f32_e32 v8, v8, v25
	v_mul_f32_e32 v25, v102, v78
	v_sub_f32_e32 v9, v9, v48
	v_fma_f32 v25, v101, v62, -v25
	s_add_i32 s23, s22, 0xffffffa0
	v_sub_f32_e32 v9, v9, v25
	v_mov_b32_e32 v25, s23
	ds_read2_b64 v[97:100], v25 offset1:1
	s_add_i32 s23, s22, 0xffffff90
	v_mul_f32_e32 v45, v101, v78
	v_mov_b32_e32 v25, s23
	v_fmac_f32_e32 v45, v102, v62
	ds_read2_b64 v[101:104], v25 offset1:1
	s_waitcnt lgkmcnt(1)
	v_mul_f32_e32 v25, v100, v68
	v_fma_f32 v25, v99, v82, -v25
	v_sub_f32_e32 v9, v9, v25
	v_mul_f32_e32 v25, v98, v88
	v_fma_f32 v25, v97, v81, -v25
	v_sub_f32_e32 v9, v9, v25
	s_waitcnt lgkmcnt(0)
	v_mul_f32_e32 v25, v104, v91
	v_fma_f32 v25, v103, v85, -v25
	v_sub_f32_e32 v9, v9, v25
	v_mul_f32_e32 v25, v102, v19
	v_fma_f32 v25, v101, v93, -v25
	v_sub_f32_e32 v9, v9, v25
	buffer_load_dword v25, off, s[0:3], 0 offset:188
	v_sub_f32_e32 v8, v8, v45
	v_mul_f32_e32 v45, v99, v68
	buffer_load_dword v68, off, s[0:3], 0 offset:184
	buffer_load_dword v87, off, s[0:3], 0 offset:12
	;; [unrolled: 1-line block ×3, first 2 shown]
	v_fmac_f32_e32 v45, v100, v82
	v_sub_f32_e32 v8, v8, v45
	v_mul_f32_e32 v45, v97, v88
	v_fmac_f32_e32 v45, v98, v81
	v_sub_f32_e32 v8, v8, v45
	v_mul_f32_e32 v45, v103, v91
	v_fmac_f32_e32 v45, v104, v85
	v_mul_f32_e32 v19, v101, v19
	v_sub_f32_e32 v8, v8, v45
	v_fmac_f32_e32 v19, v102, v93
	s_add_i32 s23, s22, 0xffffff80
	v_sub_f32_e32 v8, v8, v19
	v_mov_b32_e32 v19, s23
	ds_read2_b64 v[97:100], v19 offset1:1
	s_add_i32 s23, s22, 0xffffff70
	v_mov_b32_e32 v19, s23
	ds_read2_b64 v[101:104], v19 offset1:1
	s_add_i32 s23, s22, 0xffffff60
	s_waitcnt vmcnt(5) lgkmcnt(1)
	v_mul_f32_e32 v45, v99, v80
	v_fmac_f32_e32 v45, v100, v17
	v_mul_f32_e32 v62, v98, v3
	v_mul_f32_e32 v3, v97, v3
	;; [unrolled: 1-line block ×3, first 2 shown]
	v_sub_f32_e32 v52, v8, v45
	s_waitcnt vmcnt(4)
	v_fmac_f32_e32 v3, v98, v105
	v_fma_f32 v19, v99, v17, -v19
	v_sub_f32_e32 v3, v52, v3
	s_waitcnt lgkmcnt(0)
	v_mul_f32_e32 v52, v104, v23
	v_mul_f32_e32 v23, v103, v23
	v_sub_f32_e32 v19, v9, v19
	v_fma_f32 v62, v97, v105, -v62
	v_fmac_f32_e32 v23, v104, v26
	v_sub_f32_e32 v19, v19, v62
	v_fma_f32 v52, v103, v26, -v52
	v_sub_f32_e32 v3, v3, v23
	v_mul_f32_e32 v23, v102, v44
	v_sub_f32_e32 v19, v19, v52
	v_fma_f32 v23, v101, v36, -v23
	v_sub_f32_e32 v19, v19, v23
	v_mov_b32_e32 v23, s23
	buffer_load_dword v24, off, s[0:3], 0 offset:20
	buffer_load_dword v40, off, s[0:3], 0 offset:16
	;; [unrolled: 1-line block ×13, first 2 shown]
	ds_read2_b64 v[97:100], v23 offset1:1
	s_addk_i32 s22, 0xff50
	v_mul_f32_e32 v26, v101, v44
	v_mov_b32_e32 v23, s22
	v_fmac_f32_e32 v26, v102, v36
	ds_read2_b64 v[101:104], v23 offset1:1
	s_waitcnt lgkmcnt(1)
	v_mul_f32_e32 v23, v100, v75
	v_sub_f32_e32 v3, v3, v26
	v_fma_f32 v23, v99, v76, -v23
	v_mul_f32_e32 v26, v99, v75
	v_fmac_f32_e32 v26, v100, v76
	v_sub_f32_e32 v19, v19, v23
	v_mul_f32_e32 v23, v98, v66
	v_sub_f32_e32 v3, v3, v26
	v_fma_f32 v23, v97, v72, -v23
	v_mul_f32_e32 v26, v97, v66
	v_fmac_f32_e32 v26, v98, v72
	v_sub_f32_e32 v19, v19, v23
	s_waitcnt lgkmcnt(0)
	v_mul_f32_e32 v23, v104, v54
	v_sub_f32_e32 v3, v3, v26
	v_fma_f32 v23, v103, v95, -v23
	v_mul_f32_e32 v26, v103, v54
	v_fmac_f32_e32 v26, v104, v95
	v_sub_f32_e32 v19, v19, v23
	v_mul_f32_e32 v23, v102, v15
	v_mul_f32_e32 v15, v101, v15
	v_sub_f32_e32 v3, v3, v26
	v_fmac_f32_e32 v15, v102, v108
	s_add_i32 s22, s15, 0xffffcf40
	v_sub_f32_e32 v36, v3, v15
	v_mov_b32_e32 v3, s22
	s_add_i32 s22, s14, 0xffffce00
	s_add_i32 s23, s22, s20
	s_add_i32 s25, s23, -8
	v_fma_f32 v23, v101, v108, -v23
	v_mov_b32_e32 v15, s25
	v_sub_f32_e32 v23, v19, v23
	ds_read2_b64 v[97:100], v3 offset1:1
	ds_read2_b64 v[101:104], v15 offset1:1
	buffer_load_dword v85, off, s[0:3], 0 offset:188
	buffer_load_dword v161, off, s[0:3], 0 offset:188
	;; [unrolled: 1-line block ×16, first 2 shown]
	s_waitcnt vmcnt(32) lgkmcnt(1)
	v_mul_f32_e32 v44, v100, v25
	v_mul_f32_e32 v25, v99, v25
	s_waitcnt vmcnt(31)
	v_fmac_f32_e32 v25, v100, v68
	v_fma_f32 v44, v99, v68, -v44
	v_sub_f32_e32 v25, v36, v25
	v_sub_f32_e32 v23, v23, v44
	v_mul_f32_e32 v36, v98, v25
	v_mul_f32_e32 v76, v97, v25
	v_fma_f32 v75, v97, v23, -v36
	v_fmac_f32_e32 v76, v98, v23
	v_add_u32_e32 v23, s21, v58
	buffer_store_dword v75, off, s[0:3], 0 offset:192
	buffer_store_dword v76, off, s[0:3], 0 offset:196
	ds_write_b64 v23, v[75:76]
	s_waitcnt lgkmcnt(1)
	v_mul_f32_e32 v23, v104, v83
	v_fma_f32 v23, v103, v84, -v23
	s_waitcnt vmcnt(32)
	v_mul_f32_e32 v36, v102, v87
	v_sub_f32_e32 v23, v60, v23
	s_waitcnt vmcnt(31)
	v_fma_f32 v36, v101, v92, -v36
	s_sub_i32 s21, s23, 24
	v_mul_f32_e32 v25, v103, v83
	v_sub_f32_e32 v23, v23, v36
	v_mov_b32_e32 v36, s21
	v_fmac_f32_e32 v25, v104, v84
	ds_read2_b64 v[81:84], v36 offset1:1
	buffer_load_dword v36, off, s[0:3], 0 offset:92
	v_mul_f32_e32 v44, v101, v87
	v_sub_f32_e32 v25, v65, v25
	v_fmac_f32_e32 v44, v102, v92
	s_sub_i32 s21, s23, 40
	v_sub_f32_e32 v25, v25, v44
	v_mov_b32_e32 v44, s21
	ds_read2_b64 v[97:100], v44 offset1:1
	s_waitcnt vmcnt(31) lgkmcnt(1)
	v_mul_f32_e32 v44, v84, v24
	v_mul_f32_e32 v24, v83, v24
	s_waitcnt vmcnt(30)
	v_fma_f32 v44, v83, v40, -v44
	v_fmac_f32_e32 v24, v84, v40
	v_mul_f32_e32 v40, v81, v55
	v_sub_f32_e32 v24, v25, v24
	v_fmac_f32_e32 v40, v82, v57
	s_sub_i32 s21, s23, 56
	v_mul_f32_e32 v25, v82, v55
	v_sub_f32_e32 v24, v24, v40
	s_waitcnt lgkmcnt(0)
	v_mul_f32_e32 v40, v99, v69
	v_mov_b32_e32 v55, s21
	v_sub_f32_e32 v23, v23, v44
	v_fma_f32 v25, v81, v57, -v25
	v_fmac_f32_e32 v40, v100, v74
	ds_read2_b64 v[81:84], v55 offset1:1
	v_sub_f32_e32 v23, v23, v25
	v_mul_f32_e32 v25, v100, v69
	v_sub_f32_e32 v24, v24, v40
	v_mul_f32_e32 v40, v97, v79
	v_fma_f32 v25, v99, v74, -v25
	v_fmac_f32_e32 v40, v98, v86
	s_add_i32 s21, s23, 0xffffffb8
	v_sub_f32_e32 v23, v23, v25
	v_mul_f32_e32 v25, v98, v79
	v_sub_f32_e32 v24, v24, v40
	v_mov_b32_e32 v40, s21
	v_fma_f32 v25, v97, v86, -v25
	ds_read2_b64 v[97:100], v40 offset1:1
	s_waitcnt vmcnt(29) lgkmcnt(1)
	v_mul_f32_e32 v55, v83, v73
	buffer_load_dword v44, off, s[0:3], 0 offset:100
	v_mul_f32_e32 v40, v84, v73
	s_waitcnt vmcnt(29)
	v_fmac_f32_e32 v55, v84, v77
	v_sub_f32_e32 v23, v23, v25
	buffer_load_dword v25, off, s[0:3], 0 offset:96
	v_fma_f32 v40, v83, v77, -v40
	v_sub_f32_e32 v24, v24, v55
	s_waitcnt vmcnt(29)
	v_mul_f32_e32 v55, v82, v94
	v_sub_f32_e32 v23, v23, v40
	s_waitcnt vmcnt(28)
	v_fma_f32 v55, v81, v96, -v55
	buffer_load_dword v40, off, s[0:3], 0 offset:108
	buffer_load_dword v60, off, s[0:3], 0 offset:104
	v_sub_f32_e32 v23, v23, v55
	s_waitcnt vmcnt(15) lgkmcnt(0)
	v_mul_f32_e32 v55, v100, v54
	buffer_load_dword v65, off, s[0:3], 0 offset:116
	buffer_load_dword v68, off, s[0:3], 0 offset:124
	;; [unrolled: 1-line block ×3, first 2 shown]
	v_mul_f32_e32 v54, v99, v54
	s_waitcnt vmcnt(10)
	v_fma_f32 v55, v99, v66, -v55
	v_fmac_f32_e32 v54, v100, v66
	buffer_load_dword v66, off, s[0:3], 0 offset:112
	s_add_i32 s21, s23, 0xffffffa8
	v_sub_f32_e32 v23, v23, v55
	v_mov_b32_e32 v55, s21
	v_mul_f32_e32 v57, v81, v94
	ds_read2_b64 v[72:75], v55 offset1:1
	v_fmac_f32_e32 v57, v82, v96
	v_sub_f32_e32 v24, v24, v57
	v_sub_f32_e32 v24, v24, v54
	v_mul_f32_e32 v54, v98, v4
	v_mul_f32_e32 v4, v97, v4
	v_fma_f32 v54, v97, v5, -v54
	v_fmac_f32_e32 v4, v98, v5
	v_sub_f32_e32 v5, v23, v54
	v_sub_f32_e32 v4, v24, v4
	s_waitcnt lgkmcnt(0)
	v_mul_f32_e32 v23, v75, v51
	v_mul_f32_e32 v24, v74, v51
	buffer_load_dword v87, off, s[0:3], 0 offset:92
	buffer_load_dword v164, off, s[0:3], 0 offset:92
	;; [unrolled: 1-line block ×7, first 2 shown]
	v_fma_f32 v23, v74, v21, -v23
	v_sub_f32_e32 v5, v5, v23
	v_fmac_f32_e32 v24, v75, v21
	s_add_i32 s21, s23, 0xffffff98
	s_waitcnt vmcnt(15)
	v_mul_f32_e32 v23, v73, v36
	v_fma_f32 v23, v72, v7, -v23
	v_sub_f32_e32 v21, v4, v24
	v_mul_f32_e32 v24, v72, v36
	v_sub_f32_e32 v23, v5, v23
	v_mov_b32_e32 v5, s21
	s_add_i32 s21, s23, 0xffffff88
	v_fmac_f32_e32 v24, v73, v7
	v_mov_b32_e32 v7, s21
	v_sub_f32_e32 v21, v21, v24
	ds_read2_b64 v[72:75], v5 offset1:1
	ds_read2_b64 v[76:79], v7 offset1:1
	buffer_load_dword v120, off, s[0:3], 0 offset:100
	buffer_load_dword v166, off, s[0:3], 0 offset:100
	;; [unrolled: 1-line block ×14, first 2 shown]
	s_add_i32 s21, s23, 0xffffff78
	s_waitcnt vmcnt(28) lgkmcnt(1)
	v_mul_f32_e32 v36, v75, v44
	v_mul_f32_e32 v44, v74, v44
	s_waitcnt vmcnt(27)
	v_fma_f32 v36, v74, v25, -v36
	v_fmac_f32_e32 v44, v75, v25
	v_sub_f32_e32 v25, v23, v36
	v_sub_f32_e32 v21, v21, v44
	buffer_load_dword v128, off, s[0:3], 0 offset:104
	buffer_load_dword v132, off, s[0:3], 0 offset:108
	;; [unrolled: 1-line block ×7, first 2 shown]
	s_waitcnt vmcnt(33)
	v_mul_f32_e32 v36, v73, v40
	v_mul_f32_e32 v40, v72, v40
	s_waitcnt vmcnt(32)
	v_fma_f32 v36, v72, v60, -v36
	v_fmac_f32_e32 v40, v73, v60
	s_waitcnt vmcnt(31) lgkmcnt(0)
	v_mul_f32_e32 v44, v79, v65
	v_mul_f32_e32 v60, v78, v65
	v_sub_f32_e32 v25, v25, v36
	v_sub_f32_e32 v40, v21, v40
	buffer_load_dword v133, off, s[0:3], 0 offset:116
	buffer_load_dword v173, off, s[0:3], 0 offset:116
	;; [unrolled: 1-line block ×7, first 2 shown]
	s_waitcnt vmcnt(35)
	v_fma_f32 v44, v78, v66, -v44
	v_fmac_f32_e32 v60, v79, v66
	v_mul_f32_e32 v66, v77, v68
	v_sub_f32_e32 v44, v25, v44
	v_fma_f32 v66, v76, v69, -v66
	v_mul_f32_e32 v68, v76, v68
	v_sub_f32_e32 v65, v40, v60
	v_fmac_f32_e32 v68, v77, v69
	v_sub_f32_e32 v66, v44, v66
	v_mov_b32_e32 v44, s21
	s_add_i32 s21, s23, 0xffffff68
	v_sub_f32_e32 v68, v65, v68
	v_mov_b32_e32 v65, s21
	buffer_load_dword v156, off, s[0:3], 0 offset:124
	buffer_load_dword v175, off, s[0:3], 0 offset:124
	;; [unrolled: 1-line block ×11, first 2 shown]
	ds_read2_b64 v[72:75], v44 offset1:1
	ds_read2_b64 v[76:79], v65 offset1:1
	buffer_load_dword v162, off, s[0:3], 0 offset:132
	buffer_load_dword v180, off, s[0:3], 0 offset:132
	;; [unrolled: 1-line block ×7, first 2 shown]
	s_add_i32 s21, s23, 0xffffff58
	s_waitcnt vmcnt(46) lgkmcnt(1)
	v_mul_f32_e32 v69, v75, v81
	v_fma_f32 v69, v74, v45, -v69
	v_mul_f32_e32 v74, v74, v81
	v_fmac_f32_e32 v74, v75, v45
	v_sub_f32_e32 v69, v66, v69
	buffer_load_dword v81, off, s[0:3], 0 offset:192
	buffer_load_dword v163, off, s[0:3], 0 offset:136
	buffer_load_dword v181, off, s[0:3], 0 offset:136
	buffer_load_dword v140, off, s[0:3], 0 offset:136
	buffer_load_dword v100, off, s[0:3], 0 offset:136
	buffer_load_dword v66, off, s[0:3], 0 offset:136
	buffer_load_dword v45, off, s[0:3], 0 offset:136
	v_sub_f32_e32 v68, v68, v74
	v_mul_f32_e32 v74, v73, v6
	v_mul_f32_e32 v6, v72, v6
	s_waitcnt vmcnt(46)
	v_fmac_f32_e32 v6, v73, v82
	v_sub_f32_e32 v6, v68, v6
	s_waitcnt lgkmcnt(0)
	v_mul_f32_e32 v68, v79, v20
	v_mul_f32_e32 v20, v78, v20
	v_fma_f32 v74, v72, v82, -v74
	v_fmac_f32_e32 v20, v79, v1
	v_sub_f32_e32 v69, v69, v74
	v_fma_f32 v68, v78, v1, -v68
	v_sub_f32_e32 v6, v6, v20
	v_mul_f32_e32 v20, v77, v49
	v_sub_f32_e32 v1, v69, v68
	v_fma_f32 v20, v76, v71, -v20
	v_mul_f32_e32 v49, v76, v49
	v_sub_f32_e32 v1, v1, v20
	v_mov_b32_e32 v20, s21
	v_fmac_f32_e32 v49, v77, v71
	ds_read2_b64 v[71:74], v20 offset1:1
	s_add_i32 s21, s23, 0xffffff48
	v_mov_b32_e32 v20, s21
	v_sub_f32_e32 v6, v6, v49
	ds_read2_b64 v[75:78], v20 offset1:1
	buffer_load_dword v49, off, s[0:3], 0 offset:4
	buffer_load_dword v79, off, s[0:3], 0
	s_waitcnt lgkmcnt(1)
	v_mul_f32_e32 v20, v74, v63
	v_fma_f32 v20, v73, v64, -v20
	v_mul_f32_e32 v63, v73, v63
	v_fmac_f32_e32 v63, v74, v64
	v_sub_f32_e32 v1, v1, v20
	v_mul_f32_e32 v20, v72, v43
	v_mul_f32_e32 v43, v71, v43
	v_sub_f32_e32 v6, v6, v63
	v_fma_f32 v20, v71, v53, -v20
	v_fmac_f32_e32 v43, v72, v53
	v_sub_f32_e32 v1, v1, v20
	v_sub_f32_e32 v6, v6, v43
	s_waitcnt lgkmcnt(0)
	v_mul_f32_e32 v20, v78, v67
	v_mul_f32_e32 v43, v77, v67
	buffer_load_dword v53, off, s[0:3], 0 offset:12
	v_fma_f32 v20, v77, v70, -v20
	v_fmac_f32_e32 v43, v78, v70
	buffer_load_dword v82, off, s[0:3], 0 offset:8
	v_sub_f32_e32 v1, v1, v20
	v_sub_f32_e32 v6, v6, v43
	v_mul_f32_e32 v20, v76, v85
	v_mul_f32_e32 v43, v75, v85
	buffer_load_dword v84, off, s[0:3], 0 offset:20
	buffer_load_dword v85, off, s[0:3], 0 offset:16
	v_fma_f32 v20, v75, v105, -v20
	s_add_i32 s21, s15, 0xffffcd38
	v_sub_f32_e32 v20, v1, v20
	v_mov_b32_e32 v1, s21
	s_add_i32 s21, s14, 0xffffcc00
	v_fmac_f32_e32 v43, v76, v105
	s_add_i32 s23, s21, s20
	v_sub_f32_e32 v43, v6, v43
	v_mov_b32_e32 v6, s23
	ds_read2_b64 v[72:75], v1 offset1:1
	ds_read_b64 v[63:64], v6
	buffer_load_dword v86, off, s[0:3], 0 offset:28
	buffer_load_dword v211, off, s[0:3], 0 offset:196
	;; [unrolled: 1-line block ×14, first 2 shown]
	s_waitcnt vmcnt(27) lgkmcnt(1)
	v_mul_f32_e32 v67, v75, v83
	v_mul_f32_e32 v69, v74, v83
	s_waitcnt vmcnt(26)
	v_fma_f32 v67, v74, v81, -v67
	v_fmac_f32_e32 v69, v75, v81
	buffer_load_dword v81, off, s[0:3], 0 offset:36
	buffer_load_dword v83, off, s[0:3], 0 offset:32
	v_sub_f32_e32 v43, v43, v69
	v_sub_f32_e32 v20, v20, v67
	v_mul_f32_e32 v67, v73, v43
	v_mul_f32_e32 v70, v72, v43
	v_fma_f32 v69, v72, v20, -v67
	v_fmac_f32_e32 v70, v73, v20
	v_add_u32_e32 v20, s22, v58
	buffer_store_dword v69, off, s[0:3], 0 offset:200
	buffer_store_dword v70, off, s[0:3], 0 offset:204
	ds_write_b64 v20, v[69:70]
	s_add_i32 s22, s23, -16
	buffer_load_dword v165, off, s[0:3], 0 offset:208
	buffer_load_dword v167, off, s[0:3], 0 offset:212
	buffer_load_dword v108, off, s[0:3], 0 offset:40
	buffer_load_dword v109, off, s[0:3], 0 offset:44
	buffer_load_dword v110, off, s[0:3], 0 offset:48
	buffer_load_dword v116, off, s[0:3], 0 offset:52
	buffer_load_dword v117, off, s[0:3], 0 offset:56
	buffer_load_dword v118, off, s[0:3], 0 offset:60
	buffer_load_dword v213, off, s[0:3], 0
	buffer_load_dword v214, off, s[0:3], 0 offset:4
	buffer_load_dword v182, off, s[0:3], 0
	buffer_load_dword v138, off, s[0:3], 0
	buffer_load_dword v99, off, s[0:3], 0
	buffer_load_dword v20, off, s[0:3], 0
	s_waitcnt vmcnt(37) lgkmcnt(1)
	v_mul_f32_e32 v43, v64, v49
	s_waitcnt vmcnt(36)
	v_fma_f32 v170, v63, v79, -v43
	v_mul_f32_e32 v172, v63, v49
	v_mov_b32_e32 v43, s22
	s_sub_i32 s22, s23, 32
	v_fmac_f32_e32 v172, v64, v79
	v_mov_b32_e32 v49, s22
	ds_read2_b64 v[72:75], v43 offset1:1
	ds_read2_b64 v[76:79], v49 offset1:1
	buffer_load_dword v215, off, s[0:3], 0 offset:12
	buffer_load_dword v184, off, s[0:3], 0 offset:12
	;; [unrolled: 1-line block ×10, first 2 shown]
	s_sub_i32 s22, s23, 48
	s_waitcnt vmcnt(45) lgkmcnt(1)
	v_mul_f32_e32 v63, v75, v53
	v_mul_f32_e32 v179, v74, v53
	buffer_load_dword v217, off, s[0:3], 0 offset:16
	buffer_load_dword v218, off, s[0:3], 0 offset:20
	;; [unrolled: 1-line block ×6, first 2 shown]
	s_waitcnt vmcnt(50)
	v_fma_f32 v177, v74, v82, -v63
	v_fmac_f32_e32 v179, v75, v82
	s_waitcnt vmcnt(49)
	v_mul_f32_e32 v63, v73, v84
	v_mul_f32_e32 v208, v72, v84
	s_waitcnt vmcnt(48)
	v_fma_f32 v207, v72, v85, -v63
	v_fmac_f32_e32 v208, v73, v85
	buffer_load_dword v85, off, s[0:3], 0 offset:64
	buffer_load_dword v119, off, s[0:3], 0 offset:68
	;; [unrolled: 1-line block ×12, first 2 shown]
	s_waitcnt vmcnt(59) lgkmcnt(0)
	v_mul_f32_e32 v69, v79, v86
	v_mul_f32_e32 v210, v78, v86
	s_waitcnt vmcnt(52)
	v_fma_f32 v209, v78, v106, -v69
	v_fmac_f32_e32 v210, v79, v106
	buffer_load_dword v86, off, s[0:3], 0 offset:76
	buffer_load_dword v221, off, s[0:3], 0 offset:32
	;; [unrolled: 1-line block ×10, first 2 shown]
	s_waitcnt vmcnt(55)
	v_mul_f32_e32 v72, v77, v81
	s_waitcnt vmcnt(54)
	v_fma_f32 v223, v76, v83, -v72
	v_mov_b32_e32 v72, s22
	s_sub_i32 s22, s23, 64
	v_mul_f32_e32 v224, v76, v81
	v_mov_b32_e32 v73, s22
	v_fmac_f32_e32 v224, v77, v83
	ds_read2_b64 v[81:84], v72 offset1:1
	ds_read2_b64 v[111:114], v73 offset1:1
	buffer_load_dword v198, off, s[0:3], 0 offset:88
	buffer_load_dword v225, off, s[0:3], 0 offset:44
	;; [unrolled: 1-line block ×11, first 2 shown]
	s_add_i32 s22, s23, 0xffffffb0
	s_waitcnt vmcnt(59) lgkmcnt(1)
	v_mul_f32_e32 v74, v84, v109
	v_mul_f32_e32 v228, v83, v109
	s_waitcnt vmcnt(57)
	v_mul_f32_e32 v75, v82, v116
	v_mul_f32_e32 v232, v81, v116
	s_waitcnt vmcnt(55) lgkmcnt(0)
	v_mul_f32_e32 v78, v114, v118
	v_fma_f32 v227, v83, v108, -v74
	v_fmac_f32_e32 v228, v84, v108
	buffer_load_dword v229, off, s[0:3], 0 offset:48
	buffer_load_dword v230, off, s[0:3], 0 offset:52
	;; [unrolled: 1-line block ×6, first 2 shown]
	v_fma_f32 v231, v81, v110, -v75
	v_fmac_f32_e32 v232, v82, v110
	buffer_load_dword v233, off, s[0:3], 0 offset:60
	buffer_load_dword v194, off, s[0:3], 0 offset:60
	;; [unrolled: 1-line block ×10, first 2 shown]
	v_fma_f32 v235, v113, v117, -v78
	v_mul_f32_e32 v236, v113, v118
	buffer_load_dword v237, off, s[0:3], 0 offset:64
	buffer_load_dword v238, off, s[0:3], 0 offset:68
	;; [unrolled: 1-line block ×7, first 2 shown]
	v_fmac_f32_e32 v236, v114, v117
	s_waitcnt vmcnt(54)
	v_mul_f32_e32 v81, v112, v119
	v_fma_f32 v239, v111, v85, -v81
	v_mov_b32_e32 v81, s22
	s_add_i32 s22, s23, 0xffffffa0
	v_mov_b32_e32 v82, s22
	v_mul_f32_e32 v240, v111, v119
	ds_read2_b64 v[116:119], v81 offset1:1
	ds_read2_b64 v[122:125], v82 offset1:1
	buffer_load_dword v241, off, s[0:3], 0 offset:144
	buffer_load_dword v242, off, s[0:3], 0 offset:76
	;; [unrolled: 1-line block ×7, first 2 shown]
	s_add_i32 s22, s23, 0xffffff90
	v_fmac_f32_e32 v240, v112, v85
	s_waitcnt vmcnt(50) lgkmcnt(1)
	v_mul_f32_e32 v83, v119, v86
	v_mul_f32_e32 v245, v118, v86
	buffer_load_dword v243, off, s[0:3], 0 offset:72
	buffer_load_dword v200, off, s[0:3], 0 offset:72
	buffer_load_dword v158, off, s[0:3], 0 offset:72
	buffer_load_dword v85, off, s[0:3], 0 offset:68
	s_waitcnt vmcnt(47)
	v_fma_f32 v244, v118, v159, -v83
	s_waitcnt vmcnt(45)
	v_mul_f32_e32 v84, v117, v176
	v_fma_f32 v248, v116, v160, -v84
	s_waitcnt lgkmcnt(0)
	v_mul_f32_e32 v84, v125, v87
	v_mul_f32_e32 v249, v116, v176
	v_fmac_f32_e32 v245, v119, v159
	buffer_load_dword v246, off, s[0:3], 0 offset:80
	buffer_load_dword v247, off, s[0:3], 0 offset:84
	;; [unrolled: 1-line block ×6, first 2 shown]
	v_fmac_f32_e32 v249, v117, v160
	buffer_load_dword v250, off, s[0:3], 0 offset:88
	buffer_load_dword v202, off, s[0:3], 0 offset:88
	;; [unrolled: 1-line block ×4, first 2 shown]
	v_mul_f32_e32 v252, v124, v87
	v_mul_f32_e32 v254, v122, v120
	v_fmac_f32_e32 v254, v123, v127
	s_waitcnt vmcnt(54)
	v_fma_f32 v251, v124, v198, -v84
	v_mul_f32_e32 v84, v123, v120
	v_fma_f32 v253, v122, v127, -v84
	v_mov_b32_e32 v84, s22
	ds_read2_b64 v[116:119], v84 offset1:1
	s_add_i32 s22, s23, 0xffffff80
	v_mov_b32_e32 v84, s22
	v_fmac_f32_e32 v252, v125, v198
	ds_read2_b64 v[122:125], v84 offset1:1
	s_waitcnt lgkmcnt(1)
	v_mul_f32_e32 v84, v119, v132
	v_fma_f32 v255, v118, v128, -v84
	v_mul_f32_e32 v84, v117, v133
	v_sub_f32_e32 v127, v165, v170
	v_mul_f32_e32 v59, v118, v132
	v_fma_f32 v87, v116, v135, -v84
	s_waitcnt lgkmcnt(0)
	v_mul_f32_e32 v84, v125, v156
	v_sub_f32_e32 v132, v167, v172
	v_sub_f32_e32 v127, v127, v177
	v_fmac_f32_e32 v59, v119, v128
	v_mul_f32_e32 v120, v116, v133
	v_fma_f32 v128, v124, v157, -v84
	v_mul_f32_e32 v124, v124, v156
	v_mul_f32_e32 v84, v123, v162
	;; [unrolled: 1-line block ×3, first 2 shown]
	s_add_i32 s22, s23, 0xffffff70
	v_sub_f32_e32 v133, v132, v179
	v_sub_f32_e32 v127, v127, v207
	v_fmac_f32_e32 v124, v125, v157
	v_fma_f32 v125, v122, v80, -v84
	v_fmac_f32_e32 v162, v123, v80
	v_mov_b32_e32 v80, s22
	s_add_i32 s22, s23, 0xffffff60
	v_sub_f32_e32 v133, v133, v208
	v_sub_f32_e32 v127, v127, v209
	v_fmac_f32_e32 v120, v117, v135
	v_mov_b32_e32 v84, s22
	ds_read2_b64 v[116:119], v80 offset1:1
	ds_read2_b64 v[203:206], v84 offset1:1
	v_sub_f32_e32 v167, v133, v210
	v_sub_f32_e32 v170, v127, v223
	;; [unrolled: 1-line block ×8, first 2 shown]
	s_waitcnt vmcnt(21) lgkmcnt(1)
	v_mul_f32_e32 v80, v119, v113
	v_sub_f32_e32 v167, v167, v236
	v_sub_f32_e32 v207, v207, v239
	v_fma_f32 v123, v118, v163, -v80
	v_mul_f32_e32 v118, v118, v113
	v_sub_f32_e32 v167, v167, v240
	v_sub_f32_e32 v207, v207, v244
	v_fmac_f32_e32 v118, v119, v163
	v_mul_f32_e32 v119, v117, v2
	v_mul_f32_e32 v2, v116, v2
	v_sub_f32_e32 v208, v167, v245
	v_sub_f32_e32 v207, v207, v248
	buffer_load_dword v122, off, s[0:3], 0 offset:140
	buffer_load_dword v198, off, s[0:3], 0 offset:140
	;; [unrolled: 1-line block ×10, first 2 shown]
	s_waitcnt vmcnt(30)
	v_fma_f32 v119, v116, v241, -v119
	v_fmac_f32_e32 v2, v117, v241
	buffer_load_dword v116, off, s[0:3], 0 offset:216
	buffer_load_dword v117, off, s[0:3], 0 offset:220
	;; [unrolled: 1-line block ×26, first 2 shown]
	v_sub_f32_e32 v208, v208, v249
	v_sub_f32_e32 v207, v207, v251
	buffer_load_dword v248, off, s[0:3], 0 offset:204
	buffer_load_dword v249, off, s[0:3], 0 offset:84
	;; [unrolled: 1-line block ×6, first 2 shown]
	v_sub_f32_e32 v208, v208, v252
	v_sub_f32_e32 v207, v207, v253
	;; [unrolled: 1-line block ×8, first 2 shown]
	buffer_load_dword v128, off, s[0:3], 0 offset:108
	buffer_load_dword v252, off, s[0:3], 0 offset:108
	;; [unrolled: 1-line block ×4, first 2 shown]
	v_sub_f32_e32 v124, v207, v124
	v_sub_f32_e32 v124, v124, v162
	;; [unrolled: 1-line block ×5, first 2 shown]
	s_waitcnt lgkmcnt(0)
	v_mul_f32_e32 v118, v206, v22
	v_mul_f32_e32 v22, v205, v22
	v_sub_f32_e32 v123, v125, v123
	v_fmac_f32_e32 v22, v206, v41
	v_sub_f32_e32 v119, v123, v119
	v_fma_f32 v118, v205, v41, -v118
	v_sub_f32_e32 v2, v2, v22
	v_mul_f32_e32 v22, v204, v46
	v_sub_f32_e32 v41, v119, v118
	v_fma_f32 v22, v203, v61, -v22
	s_add_i32 s22, s23, 0xffffff50
	v_mul_f32_e32 v46, v203, v46
	v_sub_f32_e32 v22, v41, v22
	v_mov_b32_e32 v41, s22
	buffer_load_dword v253, off, s[0:3], 0 offset:112
	buffer_load_dword v162, off, s[0:3], 0 offset:112
	;; [unrolled: 1-line block ×3, first 2 shown]
	v_fmac_f32_e32 v46, v204, v61
	ds_read2_b64 v[203:206], v41 offset1:1
	s_add_i32 s22, s23, 0xffffff40
	v_mov_b32_e32 v41, s22
	ds_read2_b64 v[207:210], v41 offset1:1
	v_sub_f32_e32 v2, v2, v46
	s_waitcnt lgkmcnt(1)
	v_mul_f32_e32 v41, v206, v34
	v_mul_f32_e32 v34, v205, v34
	v_fma_f32 v41, v205, v37, -v41
	v_fmac_f32_e32 v34, v206, v37
	v_mul_f32_e32 v37, v203, v47
	v_sub_f32_e32 v2, v2, v34
	v_fmac_f32_e32 v37, v204, v89
	v_sub_f32_e32 v2, v2, v37
	s_waitcnt lgkmcnt(0)
	v_mul_f32_e32 v37, v209, v161
	v_mul_f32_e32 v34, v204, v47
	v_fmac_f32_e32 v37, v210, v169
	v_sub_f32_e32 v22, v22, v41
	v_fma_f32 v34, v203, v89, -v34
	v_sub_f32_e32 v2, v2, v37
	v_mul_f32_e32 v37, v207, v211
	v_sub_f32_e32 v22, v22, v34
	v_mul_f32_e32 v34, v210, v161
	v_fmac_f32_e32 v37, v208, v212
	s_add_i32 s22, s15, 0xffffcb30
	v_fma_f32 v34, v209, v169, -v34
	v_sub_f32_e32 v46, v2, v37
	v_mov_b32_e32 v2, s22
	s_add_i32 s22, s14, 0xffffca00
	v_sub_f32_e32 v22, v22, v34
	v_mul_f32_e32 v34, v208, v211
	s_add_i32 s23, s22, s20
	v_fma_f32 v34, v207, v212, -v34
	s_add_i32 s25, s23, -8
	v_sub_f32_e32 v34, v22, v34
	v_mov_b32_e32 v22, s25
	ds_read2_b64 v[203:206], v2 offset1:1
	ds_read2_b64 v[207:210], v22 offset1:1
	buffer_load_dword v118, off, s[0:3], 0 offset:204
	buffer_load_dword v119, off, s[0:3], 0 offset:204
	;; [unrolled: 1-line block ×10, first 2 shown]
	s_waitcnt vmcnt(22) lgkmcnt(1)
	v_mul_f32_e32 v125, v205, v248
	v_mul_f32_e32 v47, v206, v248
	s_waitcnt vmcnt(17)
	v_fmac_f32_e32 v125, v206, v251
	v_fma_f32 v61, v205, v251, -v47
	v_sub_f32_e32 v46, v46, v125
	v_sub_f32_e32 v34, v34, v61
	v_mul_f32_e32 v61, v204, v46
	v_mul_f32_e32 v206, v203, v46
	v_fma_f32 v205, v203, v34, -v61
	v_fmac_f32_e32 v206, v204, v34
	v_add_u32_e32 v34, s21, v58
	buffer_load_dword v169, off, s[0:3], 0 offset:116
	buffer_load_dword v47, off, s[0:3], 0 offset:116
	;; [unrolled: 1-line block ×3, first 2 shown]
	s_nop 0
	buffer_store_dword v205, off, s[0:3], 0 offset:208
	buffer_store_dword v206, off, s[0:3], 0 offset:212
	ds_write_b64 v34, v[205:206]
	s_waitcnt lgkmcnt(1)
	v_mul_f32_e32 v34, v210, v214
	v_fma_f32 v34, v209, v213, -v34
	v_sub_f32_e32 v34, v116, v34
	v_mul_f32_e32 v116, v208, v215
	v_fma_f32 v116, v207, v216, -v116
	s_sub_i32 s21, s23, 24
	v_sub_f32_e32 v34, v34, v116
	v_mov_b32_e32 v116, s21
	ds_read2_b64 v[203:206], v116 offset1:1
	v_mul_f32_e32 v61, v209, v214
	v_fmac_f32_e32 v61, v210, v213
	s_sub_i32 s21, s23, 40
	v_sub_f32_e32 v61, v117, v61
	v_mul_f32_e32 v117, v207, v215
	v_mov_b32_e32 v116, s21
	v_fmac_f32_e32 v117, v208, v216
	ds_read2_b64 v[207:210], v116 offset1:1
	s_waitcnt lgkmcnt(1)
	v_mul_f32_e32 v116, v206, v218
	v_fma_f32 v116, v205, v217, -v116
	v_sub_f32_e32 v34, v34, v116
	v_mul_f32_e32 v116, v204, v219
	v_fma_f32 v116, v203, v220, -v116
	v_sub_f32_e32 v34, v34, v116
	s_waitcnt lgkmcnt(0)
	v_mul_f32_e32 v116, v210, v222
	v_fma_f32 v116, v209, v221, -v116
	v_sub_f32_e32 v61, v61, v117
	v_mul_f32_e32 v117, v205, v218
	v_sub_f32_e32 v34, v34, v116
	v_mul_f32_e32 v116, v208, v225
	v_fmac_f32_e32 v117, v206, v217
	v_fma_f32 v116, v207, v226, -v116
	s_sub_i32 s21, s23, 56
	v_sub_f32_e32 v61, v61, v117
	v_mul_f32_e32 v117, v203, v219
	v_sub_f32_e32 v34, v34, v116
	v_mov_b32_e32 v116, s21
	v_fmac_f32_e32 v117, v204, v220
	ds_read2_b64 v[203:206], v116 offset1:1
	v_sub_f32_e32 v61, v61, v117
	v_mul_f32_e32 v117, v209, v222
	v_fmac_f32_e32 v117, v210, v221
	s_add_i32 s21, s23, 0xffffffb8
	v_sub_f32_e32 v61, v61, v117
	v_mul_f32_e32 v117, v207, v225
	v_mov_b32_e32 v116, s21
	v_fmac_f32_e32 v117, v208, v226
	ds_read2_b64 v[207:210], v116 offset1:1
	v_sub_f32_e32 v61, v61, v117
	s_waitcnt lgkmcnt(1)
	v_mul_f32_e32 v117, v205, v230
	v_mul_f32_e32 v116, v206, v230
	v_fmac_f32_e32 v117, v206, v229
	v_fma_f32 v116, v205, v229, -v116
	v_sub_f32_e32 v61, v61, v117
	v_mul_f32_e32 v117, v203, v233
	v_sub_f32_e32 v34, v34, v116
	v_mul_f32_e32 v116, v204, v233
	v_fmac_f32_e32 v117, v204, v234
	v_fma_f32 v116, v203, v234, -v116
	v_sub_f32_e32 v61, v61, v117
	s_waitcnt lgkmcnt(0)
	v_mul_f32_e32 v117, v209, v238
	v_sub_f32_e32 v34, v34, v116
	v_mul_f32_e32 v116, v210, v238
	v_fmac_f32_e32 v117, v210, v237
	v_fma_f32 v116, v209, v237, -v116
	v_sub_f32_e32 v61, v61, v117
	v_mul_f32_e32 v117, v208, v242
	v_sub_f32_e32 v34, v34, v116
	buffer_load_dword v116, off, s[0:3], 0 offset:148
	v_fma_f32 v117, v207, v243, -v117
	s_add_i32 s21, s23, 0xffffffa8
	v_sub_f32_e32 v34, v34, v117
	v_mov_b32_e32 v117, s21
	ds_read2_b64 v[203:206], v117 offset1:1
	s_add_i32 s21, s23, 0xffffff98
	v_mul_f32_e32 v125, v207, v242
	v_mov_b32_e32 v117, s21
	v_fmac_f32_e32 v125, v208, v243
	ds_read2_b64 v[207:210], v117 offset1:1
	s_waitcnt lgkmcnt(1)
	v_mul_f32_e32 v117, v206, v247
	v_fma_f32 v117, v205, v246, -v117
	v_sub_f32_e32 v34, v34, v117
	v_mul_f32_e32 v117, v204, v164
	v_fma_f32 v117, v203, v250, -v117
	v_sub_f32_e32 v34, v34, v117
	s_waitcnt lgkmcnt(0)
	v_mul_f32_e32 v117, v210, v166
	v_fma_f32 v117, v209, v168, -v117
	v_sub_f32_e32 v61, v61, v125
	v_mul_f32_e32 v125, v205, v247
	v_sub_f32_e32 v34, v34, v117
	s_waitcnt vmcnt(22)
	v_mul_f32_e32 v117, v208, v128
	v_fmac_f32_e32 v125, v206, v246
	v_fma_f32 v117, v207, v171, -v117
	s_add_i32 s21, s23, 0xffffff88
	v_sub_f32_e32 v61, v61, v125
	v_mul_f32_e32 v125, v203, v164
	v_sub_f32_e32 v34, v34, v117
	v_mov_b32_e32 v117, s21
	v_fmac_f32_e32 v125, v204, v250
	ds_read2_b64 v[203:206], v117 offset1:1
	v_sub_f32_e32 v61, v61, v125
	v_mul_f32_e32 v125, v209, v166
	v_fmac_f32_e32 v125, v210, v168
	s_add_i32 s21, s23, 0xffffff78
	v_sub_f32_e32 v61, v61, v125
	v_mul_f32_e32 v125, v207, v128
	v_mov_b32_e32 v117, s21
	v_fmac_f32_e32 v125, v208, v171
	ds_read2_b64 v[207:210], v117 offset1:1
	s_waitcnt lgkmcnt(1)
	v_mul_f32_e32 v117, v206, v173
	v_sub_f32_e32 v61, v61, v125
	v_fma_f32 v117, v205, v174, -v117
	v_mul_f32_e32 v125, v205, v173
	v_fmac_f32_e32 v125, v206, v174
	v_sub_f32_e32 v34, v34, v117
	v_mul_f32_e32 v117, v204, v175
	v_sub_f32_e32 v61, v61, v125
	v_fma_f32 v117, v203, v178, -v117
	v_mul_f32_e32 v125, v203, v175
	v_fmac_f32_e32 v125, v204, v178
	v_sub_f32_e32 v34, v34, v117
	s_waitcnt lgkmcnt(0)
	v_mul_f32_e32 v117, v210, v180
	v_sub_f32_e32 v61, v61, v125
	v_fma_f32 v117, v209, v88, -v117
	v_mul_f32_e32 v125, v209, v180
	v_fmac_f32_e32 v125, v210, v88
	v_sub_f32_e32 v34, v34, v117
	v_mul_f32_e32 v88, v208, v122
	v_mul_f32_e32 v117, v207, v122
	buffer_load_dword v122, off, s[0:3], 0 offset:212
	v_sub_f32_e32 v61, v61, v125
	buffer_load_dword v125, off, s[0:3], 0 offset:208
	v_fma_f32 v88, v207, v181, -v88
	s_add_i32 s21, s23, 0xffffff68
	v_fmac_f32_e32 v117, v208, v181
	v_sub_f32_e32 v88, v34, v88
	v_mov_b32_e32 v34, s21
	s_add_i32 s21, s23, 0xffffff58
	v_sub_f32_e32 v117, v61, v117
	v_mov_b32_e32 v61, s21
	ds_read2_b64 v[203:206], v34 offset1:1
	ds_read2_b64 v[207:210], v61 offset1:1
	s_add_i32 s21, s23, 0xffffff48
	buffer_load_dword v128, off, s[0:3], 0 offset:148
	buffer_load_dword v164, off, s[0:3], 0 offset:148
	;; [unrolled: 1-line block ×4, first 2 shown]
	s_waitcnt vmcnt(6) lgkmcnt(1)
	v_mul_f32_e32 v166, v206, v116
	v_mul_f32_e32 v116, v205, v116
	v_fmac_f32_e32 v116, v206, v163
	v_fma_f32 v166, v205, v163, -v166
	v_sub_f32_e32 v116, v117, v116
	v_mul_f32_e32 v117, v204, v27
	v_sub_f32_e32 v88, v88, v166
	v_fma_f32 v117, v203, v28, -v117
	v_mul_f32_e32 v27, v203, v27
	v_fmac_f32_e32 v27, v204, v28
	v_sub_f32_e32 v28, v88, v117
	s_waitcnt lgkmcnt(0)
	v_mul_f32_e32 v88, v210, v38
	v_mul_f32_e32 v38, v209, v38
	v_sub_f32_e32 v27, v116, v27
	v_fmac_f32_e32 v38, v210, v56
	v_sub_f32_e32 v27, v27, v38
	v_mul_f32_e32 v38, v208, v32
	v_mul_f32_e32 v32, v207, v32
	v_fma_f32 v38, v207, v35, -v38
	v_fmac_f32_e32 v32, v208, v35
	v_mov_b32_e32 v35, s21
	ds_read2_b64 v[203:206], v35 offset1:1
	s_add_i32 s21, s23, 0xffffff38
	v_sub_f32_e32 v27, v27, v32
	v_mov_b32_e32 v32, s21
	v_fma_f32 v88, v209, v56, -v88
	ds_read2_b64 v[207:210], v32 offset1:1
	v_sub_f32_e32 v28, v28, v88
	s_waitcnt lgkmcnt(1)
	v_mul_f32_e32 v32, v206, v16
	v_sub_f32_e32 v28, v28, v38
	v_fma_f32 v32, v205, v50, -v32
	v_mul_f32_e32 v16, v205, v16
	v_fmac_f32_e32 v16, v206, v50
	v_sub_f32_e32 v28, v28, v32
	v_mul_f32_e32 v32, v203, v115
	v_sub_f32_e32 v16, v27, v16
	v_fmac_f32_e32 v32, v204, v131
	v_mul_f32_e32 v27, v204, v115
	v_sub_f32_e32 v16, v16, v32
	s_waitcnt lgkmcnt(0)
	v_mul_f32_e32 v32, v209, v183
	v_fma_f32 v27, v203, v131, -v27
	v_fmac_f32_e32 v32, v210, v186
	v_sub_f32_e32 v27, v28, v27
	v_mul_f32_e32 v28, v210, v183
	v_sub_f32_e32 v16, v16, v32
	v_mul_f32_e32 v32, v207, v118
	v_fma_f32 v28, v209, v186, -v28
	v_fmac_f32_e32 v32, v208, v123
	s_add_i32 s21, s15, 0xffffc928
	v_sub_f32_e32 v27, v27, v28
	v_mul_f32_e32 v28, v208, v118
	v_sub_f32_e32 v32, v16, v32
	v_mov_b32_e32 v16, s21
	s_add_i32 s21, s14, 0xffffc800
	v_fma_f32 v28, v207, v123, -v28
	s_add_i32 s23, s21, s20
	v_sub_f32_e32 v28, v27, v28
	v_mov_b32_e32 v27, s23
	ds_read2_b64 v[203:206], v16 offset1:1
	ds_read_b64 v[173:174], v27
	buffer_load_dword v50, off, s[0:3], 0 offset:212
	buffer_load_dword v56, off, s[0:3], 0 offset:212
	;; [unrolled: 1-line block ×8, first 2 shown]
	s_waitcnt vmcnt(13) lgkmcnt(1)
	v_mul_f32_e32 v117, v205, v122
	v_mul_f32_e32 v88, v206, v122
	s_waitcnt vmcnt(12)
	v_fmac_f32_e32 v117, v206, v125
	v_fma_f32 v88, v205, v125, -v88
	v_sub_f32_e32 v32, v32, v117
	v_sub_f32_e32 v28, v28, v88
	v_mul_f32_e32 v88, v204, v32
	v_fma_f32 v180, v203, v28, -v88
	v_mul_f32_e32 v181, v203, v32
	v_fmac_f32_e32 v181, v204, v28
	buffer_store_dword v180, off, s[0:3], 0 offset:216
	buffer_store_dword v181, off, s[0:3], 0 offset:220
	buffer_load_dword v88, off, s[0:3], 0 offset:156
	buffer_load_dword v118, off, s[0:3], 0 offset:216
	;; [unrolled: 1-line block ×3, first 2 shown]
	v_add_u32_e32 v28, s22, v58
	ds_write_b64 v28, v[180:181]
	s_waitcnt lgkmcnt(1)
	v_mul_f32_e32 v28, v174, v165
	v_fma_f32 v28, v173, v182, -v28
	s_add_i32 s22, s23, -16
	v_mul_f32_e32 v32, v173, v165
	v_sub_f32_e32 v1, v1, v28
	v_mov_b32_e32 v28, s22
	v_fmac_f32_e32 v32, v174, v182
	ds_read2_b64 v[180:183], v28 offset1:1
	s_sub_i32 s22, s23, 32
	v_mov_b32_e32 v28, s22
	ds_read2_b64 v[203:206], v28 offset1:1
	v_sub_f32_e32 v3, v3, v32
	s_waitcnt lgkmcnt(1)
	v_mul_f32_e32 v28, v183, v184
	v_fma_f32 v28, v182, v185, -v28
	v_mul_f32_e32 v32, v182, v184
	v_fmac_f32_e32 v32, v183, v185
	v_sub_f32_e32 v1, v1, v28
	v_mul_f32_e32 v28, v181, v0
	v_mul_f32_e32 v0, v180, v0
	v_sub_f32_e32 v3, v3, v32
	v_fmac_f32_e32 v0, v181, v187
	v_fma_f32 v28, v180, v187, -v28
	v_sub_f32_e32 v0, v3, v0
	s_waitcnt lgkmcnt(0)
	v_mul_f32_e32 v3, v206, v188
	v_sub_f32_e32 v1, v1, v28
	v_fma_f32 v3, v205, v189, -v3
	v_sub_f32_e32 v1, v1, v3
	v_mul_f32_e32 v3, v204, v223
	v_fma_f32 v3, v203, v190, -v3
	s_sub_i32 s22, s23, 48
	v_sub_f32_e32 v1, v1, v3
	v_mov_b32_e32 v3, s22
	ds_read2_b64 v[180:183], v3 offset1:1
	s_sub_i32 s22, s23, 64
	v_mov_b32_e32 v3, s22
	ds_read2_b64 v[184:187], v3 offset1:1
	v_mul_f32_e32 v28, v205, v188
	s_waitcnt lgkmcnt(1)
	v_mul_f32_e32 v3, v183, v191
	v_fma_f32 v3, v182, v192, -v3
	v_sub_f32_e32 v1, v1, v3
	v_mul_f32_e32 v3, v181, v235
	v_fmac_f32_e32 v28, v206, v189
	v_fma_f32 v3, v180, v193, -v3
	v_sub_f32_e32 v0, v0, v28
	v_mul_f32_e32 v28, v203, v223
	v_sub_f32_e32 v1, v1, v3
	s_waitcnt lgkmcnt(0)
	v_mul_f32_e32 v3, v187, v194
	v_fmac_f32_e32 v28, v204, v190
	v_fma_f32 v3, v186, v195, -v3
	v_sub_f32_e32 v0, v0, v28
	v_mul_f32_e32 v28, v182, v191
	v_sub_f32_e32 v1, v1, v3
	v_mul_f32_e32 v3, v185, v245
	v_fmac_f32_e32 v28, v183, v192
	v_fma_f32 v3, v184, v196, -v3
	s_add_i32 s22, s23, 0xffffffb0
	v_sub_f32_e32 v0, v0, v28
	v_mul_f32_e32 v28, v180, v235
	v_sub_f32_e32 v1, v1, v3
	v_mov_b32_e32 v3, s22
	v_fmac_f32_e32 v28, v181, v193
	ds_read2_b64 v[180:183], v3 offset1:1
	v_sub_f32_e32 v0, v0, v28
	v_mul_f32_e32 v28, v186, v194
	v_fmac_f32_e32 v28, v187, v195
	s_add_i32 s22, s23, 0xffffffa0
	v_sub_f32_e32 v0, v0, v28
	v_mul_f32_e32 v28, v184, v245
	v_mov_b32_e32 v3, s22
	v_fmac_f32_e32 v28, v185, v196
	ds_read2_b64 v[184:187], v3 offset1:1
	s_waitcnt lgkmcnt(1)
	v_mul_f32_e32 v3, v183, v197
	v_fma_f32 v3, v182, v200, -v3
	v_sub_f32_e32 v1, v1, v3
	v_mul_f32_e32 v3, v181, v249
	v_fma_f32 v3, v180, v201, -v3
	v_sub_f32_e32 v1, v1, v3
	s_waitcnt lgkmcnt(0)
	v_mul_f32_e32 v3, v187, v121
	v_fma_f32 v3, v186, v202, -v3
	v_sub_f32_e32 v0, v0, v28
	v_mul_f32_e32 v28, v182, v197
	v_sub_f32_e32 v1, v1, v3
	v_mul_f32_e32 v3, v185, v126
	v_fmac_f32_e32 v28, v183, v200
	v_fma_f32 v3, v184, v129, -v3
	s_add_i32 s22, s23, 0xffffff90
	v_sub_f32_e32 v0, v0, v28
	v_mul_f32_e32 v28, v180, v249
	v_sub_f32_e32 v1, v1, v3
	v_mov_b32_e32 v3, s22
	v_fmac_f32_e32 v28, v181, v201
	ds_read2_b64 v[180:183], v3 offset1:1
	v_sub_f32_e32 v0, v0, v28
	v_mul_f32_e32 v28, v186, v121
	v_fmac_f32_e32 v28, v187, v202
	s_add_i32 s22, s23, 0xffffff80
	v_sub_f32_e32 v0, v0, v28
	v_mul_f32_e32 v28, v184, v126
	v_mov_b32_e32 v3, s22
	v_fmac_f32_e32 v28, v185, v129
	ds_read2_b64 v[184:187], v3 offset1:1
	s_waitcnt lgkmcnt(1)
	v_mul_f32_e32 v3, v183, v252
	v_fma_f32 v3, v182, v130, -v3
	v_sub_f32_e32 v1, v1, v3
	v_mul_f32_e32 v3, v181, v134
	v_fma_f32 v3, v180, v253, -v3
	v_sub_f32_e32 v1, v1, v3
	s_waitcnt lgkmcnt(0)
	v_mul_f32_e32 v3, v187, v136
	v_sub_f32_e32 v0, v0, v28
	v_mul_f32_e32 v28, v182, v252
	v_fma_f32 v3, v186, v137, -v3
	v_fmac_f32_e32 v28, v183, v130
	v_sub_f32_e32 v1, v1, v3
	v_mul_f32_e32 v3, v185, v139
	v_sub_f32_e32 v0, v0, v28
	v_mul_f32_e32 v28, v180, v134
	v_fma_f32 v3, v184, v48, -v3
	s_add_i32 s22, s23, 0xffffff70
	v_fmac_f32_e32 v28, v181, v253
	v_sub_f32_e32 v1, v1, v3
	v_mov_b32_e32 v3, s22
	v_sub_f32_e32 v0, v0, v28
	v_mul_f32_e32 v28, v186, v136
	ds_read2_b64 v[180:183], v3 offset1:1
	v_fmac_f32_e32 v28, v187, v137
	s_add_i32 s22, s23, 0xffffff60
	v_sub_f32_e32 v0, v0, v28
	v_mul_f32_e32 v28, v184, v139
	v_mov_b32_e32 v3, s22
	v_fmac_f32_e32 v28, v185, v48
	ds_read2_b64 v[184:187], v3 offset1:1
	v_sub_f32_e32 v0, v0, v28
	s_waitcnt lgkmcnt(1)
	v_mul_f32_e32 v3, v183, v198
	v_mul_f32_e32 v28, v182, v198
	v_fma_f32 v3, v182, v140, -v3
	v_fmac_f32_e32 v28, v183, v140
	v_sub_f32_e32 v1, v1, v3
	v_sub_f32_e32 v0, v0, v28
	s_waitcnt vmcnt(16)
	v_mul_f32_e32 v3, v181, v128
	v_mul_f32_e32 v28, v180, v128
	v_fma_f32 v3, v180, v199, -v3
	v_fmac_f32_e32 v28, v181, v199
	s_waitcnt vmcnt(2) lgkmcnt(0)
	v_mul_f32_e32 v122, v187, v88
	v_mul_f32_e32 v88, v186, v88
	buffer_load_dword v48, off, s[0:3], 0 offset:220
	v_sub_f32_e32 v1, v1, v3
	v_sub_f32_e32 v0, v0, v28
	buffer_load_dword v3, off, s[0:3], 0 offset:156
	buffer_load_dword v121, off, s[0:3], 0 offset:156
	;; [unrolled: 1-line block ×6, first 2 shown]
	s_waitcnt vmcnt(7)
	v_fma_f32 v122, v186, v117, -v122
	v_fmac_f32_e32 v88, v187, v117
	buffer_load_dword v117, off, s[0:3], 0 offset:256 ; 4-byte Folded Reload
	v_sub_f32_e32 v1, v1, v122
	buffer_load_dword v122, off, s[0:3], 0 offset:260 ; 4-byte Folded Reload
	v_sub_f32_e32 v0, v0, v88
	s_add_i32 s22, s23, 0xffffff50
	s_waitcnt vmcnt(1)
	v_mul_f32_e32 v88, v185, v117
	v_mul_f32_e32 v117, v184, v117
	s_waitcnt vmcnt(0)
	v_fma_f32 v88, v184, v122, -v88
	v_sub_f32_e32 v1, v1, v88
	v_mov_b32_e32 v88, s22
	s_add_i32 s22, s23, 0xffffff40
	ds_read2_b64 v[180:183], v88 offset1:1
	v_mov_b32_e32 v88, s22
	v_fmac_f32_e32 v117, v185, v122
	ds_read2_b64 v[184:187], v88 offset1:1
	buffer_load_dword v88, off, s[0:3], 0 offset:236
	v_sub_f32_e32 v0, v0, v117
	s_waitcnt lgkmcnt(1)
	v_mul_f32_e32 v117, v183, v42
	v_mul_f32_e32 v42, v182, v42
	v_fma_f32 v117, v182, v29, -v117
	v_fmac_f32_e32 v42, v183, v29
	v_mul_f32_e32 v29, v181, v13
	v_mul_f32_e32 v13, v180, v13
	v_sub_f32_e32 v0, v0, v42
	v_fmac_f32_e32 v13, v181, v18
	v_sub_f32_e32 v1, v1, v117
	v_fma_f32 v29, v180, v18, -v29
	v_sub_f32_e32 v0, v0, v13
	s_waitcnt lgkmcnt(0)
	v_mul_f32_e32 v13, v187, v90
	v_sub_f32_e32 v1, v1, v29
	v_fma_f32 v13, v186, v95, -v13
	v_sub_f32_e32 v1, v1, v13
	v_mul_f32_e32 v13, v185, v144
	v_fma_f32 v13, v184, v146, -v13
	s_add_i32 s22, s23, 0xffffff30
	v_sub_f32_e32 v1, v1, v13
	v_mov_b32_e32 v13, s22
	v_mul_f32_e32 v18, v186, v90
	ds_read2_b64 v[180:183], v13 offset1:1
	v_fmac_f32_e32 v18, v187, v95
	s_add_i32 s22, s15, 0xffffc720
	v_sub_f32_e32 v0, v0, v18
	v_mul_f32_e32 v18, v184, v144
	v_mov_b32_e32 v13, s22
	v_fmac_f32_e32 v18, v185, v146
	ds_read2_b64 v[184:187], v13 offset1:1
	v_sub_f32_e32 v0, v0, v18
	s_waitcnt lgkmcnt(1)
	v_mul_f32_e32 v18, v182, v119
	v_mul_f32_e32 v13, v183, v119
	v_fmac_f32_e32 v18, v183, v124
	v_fma_f32 v13, v182, v124, -v13
	v_sub_f32_e32 v0, v0, v18
	v_mul_f32_e32 v18, v180, v50
	v_sub_f32_e32 v1, v1, v13
	v_mul_f32_e32 v13, v181, v50
	v_fmac_f32_e32 v18, v181, v115
	s_waitcnt lgkmcnt(0)
	v_mul_f32_e32 v29, v187, v48
	v_mul_f32_e32 v48, v186, v48
	v_fma_f32 v13, v180, v115, -v13
	v_sub_f32_e32 v0, v0, v18
	v_fmac_f32_e32 v48, v187, v118
	v_sub_f32_e32 v1, v1, v13
	v_fma_f32 v29, v186, v118, -v29
	v_sub_f32_e32 v0, v0, v48
	s_add_i32 s22, s14, 0xffffc600
	v_sub_f32_e32 v1, v1, v29
	v_mul_f32_e32 v29, v185, v0
	v_mul_f32_e32 v130, v184, v0
	v_add_u32_e32 v0, s21, v58
	s_add_i32 s21, s22, s20
	v_fma_f32 v129, v184, v1, -v29
	s_add_i32 s23, s21, -8
	buffer_load_dword v42, off, s[0:3], 0 offset:220
	buffer_load_dword v50, off, s[0:3], 0 offset:220
	;; [unrolled: 1-line block ×6, first 2 shown]
	v_fmac_f32_e32 v130, v185, v1
	buffer_store_dword v129, off, s[0:3], 0 offset:224
	buffer_store_dword v130, off, s[0:3], 0 offset:228
	v_mov_b32_e32 v1, s23
	ds_read2_b64 v[180:183], v1 offset1:1
	s_sub_i32 s23, s21, 24
	ds_write_b64 v0, v[129:130]
	v_mov_b32_e32 v0, s23
	ds_read2_b64 v[184:187], v0 offset1:1
	s_waitcnt lgkmcnt(2)
	v_mul_f32_e32 v0, v183, v179
	v_fma_f32 v0, v182, v138, -v0
	v_mul_f32_e32 v29, v181, v141
	v_sub_f32_e32 v0, v176, v0
	v_fma_f32 v29, v180, v142, -v29
	v_sub_f32_e32 v0, v0, v29
	s_waitcnt lgkmcnt(0)
	v_mul_f32_e32 v29, v187, v177
	v_fma_f32 v29, v186, v143, -v29
	v_sub_f32_e32 v0, v0, v29
	v_mul_f32_e32 v29, v185, v145
	v_fma_f32 v29, v184, v148, -v29
	s_sub_i32 s23, s21, 40
	v_mul_f32_e32 v1, v182, v179
	v_sub_f32_e32 v0, v0, v29
	v_mov_b32_e32 v29, s23
	v_fmac_f32_e32 v1, v183, v138
	buffer_load_dword v48, off, s[0:3], 0 offset:240
	buffer_load_dword v118, off, s[0:3], 0 offset:244
	;; [unrolled: 1-line block ×4, first 2 shown]
	ds_read2_b64 v[136:139], v29 offset1:1
	s_waitcnt vmcnt(12)
	v_sub_f32_e32 v1, v88, v1
	v_mul_f32_e32 v88, v180, v141
	v_fmac_f32_e32 v88, v181, v142
	s_sub_i32 s23, s21, 56
	v_sub_f32_e32 v1, v1, v88
	v_mul_f32_e32 v88, v186, v177
	v_mov_b32_e32 v29, s23
	v_fmac_f32_e32 v88, v187, v143
	ds_read2_b64 v[140:143], v29 offset1:1
	s_waitcnt lgkmcnt(1)
	v_mul_f32_e32 v29, v139, v172
	v_fma_f32 v29, v138, v147, -v29
	v_sub_f32_e32 v0, v0, v29
	v_mul_f32_e32 v29, v137, v149
	v_fma_f32 v29, v136, v150, -v29
	v_sub_f32_e32 v1, v1, v88
	v_mul_f32_e32 v88, v184, v145
	v_sub_f32_e32 v0, v0, v29
	s_waitcnt lgkmcnt(0)
	v_mul_f32_e32 v29, v143, v170
	v_fmac_f32_e32 v88, v185, v148
	v_fma_f32 v29, v142, v151, -v29
	v_sub_f32_e32 v1, v1, v88
	v_mul_f32_e32 v88, v138, v172
	v_sub_f32_e32 v0, v0, v29
	v_mul_f32_e32 v29, v141, v152
	v_fmac_f32_e32 v88, v139, v147
	v_fma_f32 v29, v140, v154, -v29
	s_add_i32 s23, s21, 0xffffffb8
	v_sub_f32_e32 v1, v1, v88
	v_mul_f32_e32 v88, v136, v149
	v_sub_f32_e32 v0, v0, v29
	v_mov_b32_e32 v29, s23
	v_fmac_f32_e32 v88, v137, v150
	ds_read2_b64 v[136:139], v29 offset1:1
	v_sub_f32_e32 v1, v1, v88
	v_mul_f32_e32 v88, v142, v170
	v_fmac_f32_e32 v88, v143, v151
	s_add_i32 s23, s21, 0xffffffa8
	v_sub_f32_e32 v1, v1, v88
	v_mul_f32_e32 v88, v140, v152
	v_mov_b32_e32 v29, s23
	v_fmac_f32_e32 v88, v141, v154
	ds_read2_b64 v[140:143], v29 offset1:1
	v_sub_f32_e32 v1, v1, v88
	s_waitcnt lgkmcnt(1)
	v_mul_f32_e32 v88, v138, v167
	v_fmac_f32_e32 v88, v139, v153
	v_sub_f32_e32 v1, v1, v88
	v_mul_f32_e32 v88, v136, v155
	v_mul_f32_e32 v29, v139, v167
	v_fmac_f32_e32 v88, v137, v158
	v_fma_f32 v29, v138, v153, -v29
	v_sub_f32_e32 v1, v1, v88
	s_waitcnt lgkmcnt(0)
	v_mul_f32_e32 v88, v142, v239
	v_sub_f32_e32 v0, v0, v29
	v_mul_f32_e32 v29, v137, v155
	v_fmac_f32_e32 v88, v143, v159
	buffer_load_dword v124, off, s[0:3], 0 offset:164
	v_fma_f32 v29, v136, v158, -v29
	v_sub_f32_e32 v1, v1, v88
	buffer_load_dword v88, off, s[0:3], 0 offset:160
	v_sub_f32_e32 v0, v0, v29
	v_mul_f32_e32 v29, v143, v239
	v_fma_f32 v29, v142, v159, -v29
	v_sub_f32_e32 v0, v0, v29
	v_mul_f32_e32 v29, v141, v91
	v_fma_f32 v29, v140, v160, -v29
	s_add_i32 s23, s21, 0xffffff98
	v_sub_f32_e32 v0, v0, v29
	v_mov_b32_e32 v29, s23
	ds_read2_b64 v[136:139], v29 offset1:1
	s_add_i32 s23, s21, 0xffffff88
	v_mul_f32_e32 v90, v140, v91
	v_mov_b32_e32 v29, s23
	v_fmac_f32_e32 v90, v141, v160
	ds_read2_b64 v[140:143], v29 offset1:1
	s_waitcnt lgkmcnt(1)
	v_mul_f32_e32 v29, v139, v92
	v_fma_f32 v29, v138, v93, -v29
	v_sub_f32_e32 v0, v0, v29
	v_mul_f32_e32 v29, v137, v59
	v_fma_f32 v29, v136, v94, -v29
	v_sub_f32_e32 v0, v0, v29
	s_waitcnt lgkmcnt(0)
	v_mul_f32_e32 v29, v143, v169
	v_fma_f32 v29, v142, v162, -v29
	v_sub_f32_e32 v0, v0, v29
	v_mul_f32_e32 v29, v141, v96
	v_sub_f32_e32 v1, v1, v90
	v_mul_f32_e32 v90, v138, v92
	v_fma_f32 v29, v140, v97, -v29
	s_add_i32 s23, s21, 0xffffff78
	v_fmac_f32_e32 v90, v139, v93
	v_mul_f32_e32 v59, v136, v59
	v_sub_f32_e32 v0, v0, v29
	v_mov_b32_e32 v29, s23
	v_sub_f32_e32 v1, v1, v90
	v_fmac_f32_e32 v59, v137, v94
	ds_read2_b64 v[90:93], v29 offset1:1
	v_sub_f32_e32 v1, v1, v59
	v_mul_f32_e32 v59, v142, v169
	v_fmac_f32_e32 v59, v143, v162
	v_sub_f32_e32 v1, v1, v59
	v_mul_f32_e32 v59, v140, v96
	v_fmac_f32_e32 v59, v141, v97
	v_sub_f32_e32 v1, v1, v59
	s_waitcnt lgkmcnt(0)
	v_mul_f32_e32 v59, v92, v98
	s_add_i32 s23, s21, 0xffffff68
	v_fmac_f32_e32 v59, v93, v17
	v_mov_b32_e32 v29, s23
	v_sub_f32_e32 v1, v1, v59
	buffer_load_dword v59, off, s[0:3], 0 offset:228
	ds_read2_b64 v[94:97], v29 offset1:1
	v_mul_f32_e32 v29, v93, v98
	buffer_load_dword v98, off, s[0:3], 0 offset:224
	v_fma_f32 v29, v92, v17, -v29
	v_mul_f32_e32 v17, v91, v156
	v_sub_f32_e32 v0, v0, v29
	v_fma_f32 v17, v90, v100, -v17
	v_mul_f32_e32 v29, v90, v156
	v_fmac_f32_e32 v29, v91, v100
	v_sub_f32_e32 v0, v0, v17
	s_waitcnt lgkmcnt(0)
	v_mul_f32_e32 v17, v97, v164
	v_sub_f32_e32 v1, v1, v29
	v_fma_f32 v17, v96, v157, -v17
	v_mul_f32_e32 v29, v96, v164
	v_fmac_f32_e32 v29, v97, v157
	v_sub_f32_e32 v0, v0, v17
	v_mul_f32_e32 v17, v95, v3
	v_mul_f32_e32 v3, v94, v3
	v_sub_f32_e32 v1, v1, v29
	v_fmac_f32_e32 v3, v95, v123
	s_add_i32 s23, s21, 0xffffff58
	v_sub_f32_e32 v1, v1, v3
	v_mov_b32_e32 v3, s23
	ds_read2_b64 v[90:93], v3 offset1:1
	s_add_i32 s23, s21, 0xffffff48
	v_mov_b32_e32 v3, s23
	v_fma_f32 v17, v94, v123, -v17
	ds_read2_b64 v[94:97], v3 offset1:1
	s_waitcnt vmcnt(3) lgkmcnt(1)
	v_mul_f32_e32 v100, v93, v124
	v_sub_f32_e32 v0, v0, v17
	s_waitcnt vmcnt(2)
	v_fma_f32 v100, v92, v88, -v100
	v_mul_f32_e32 v92, v92, v124
	v_fmac_f32_e32 v92, v93, v88
	v_mul_f32_e32 v88, v91, v30
	v_mul_f32_e32 v30, v90, v30
	v_sub_f32_e32 v1, v1, v92
	v_fmac_f32_e32 v30, v91, v31
	v_sub_f32_e32 v1, v1, v30
	s_waitcnt lgkmcnt(0)
	v_mul_f32_e32 v30, v97, v10
	v_mul_f32_e32 v10, v96, v10
	v_sub_f32_e32 v0, v0, v100
	v_fma_f32 v88, v90, v31, -v88
	v_fmac_f32_e32 v10, v97, v14
	v_sub_f32_e32 v0, v0, v88
	v_fma_f32 v30, v96, v14, -v30
	v_sub_f32_e32 v1, v1, v10
	v_mul_f32_e32 v10, v95, v52
	v_sub_f32_e32 v0, v0, v30
	v_fma_f32 v10, v94, v62, -v10
	s_add_i32 s23, s21, 0xffffff38
	v_sub_f32_e32 v0, v0, v10
	v_mov_b32_e32 v10, s23
	buffer_load_dword v3, off, s[0:3], 0 offset:164
	buffer_load_dword v17, off, s[0:3], 0 offset:164
	;; [unrolled: 1-line block ×4, first 2 shown]
	ds_read2_b64 v[90:93], v10 offset1:1
	s_addk_i32 s21, 0xff28
	v_mul_f32_e32 v14, v94, v52
	v_mov_b32_e32 v10, s21
	v_fmac_f32_e32 v14, v95, v62
	ds_read2_b64 v[94:97], v10 offset1:1
	s_waitcnt lgkmcnt(1)
	v_mul_f32_e32 v10, v93, v102
	v_fma_f32 v10, v92, v105, -v10
	v_sub_f32_e32 v0, v0, v10
	v_mul_f32_e32 v10, v91, v89
	v_fma_f32 v10, v90, v161, -v10
	v_sub_f32_e32 v0, v0, v10
	s_waitcnt lgkmcnt(0)
	v_mul_f32_e32 v10, v97, v56
	v_fma_f32 v10, v96, v116, -v10
	v_sub_f32_e32 v1, v1, v14
	v_mul_f32_e32 v14, v92, v102
	v_sub_f32_e32 v0, v0, v10
	v_mul_f32_e32 v10, v95, v42
	v_fmac_f32_e32 v14, v93, v105
	v_fma_f32 v10, v94, v115, -v10
	s_add_i32 s21, s15, 0xffffc518
	v_sub_f32_e32 v1, v1, v14
	v_mul_f32_e32 v14, v90, v89
	v_sub_f32_e32 v0, v0, v10
	v_mov_b32_e32 v10, s21
	v_fmac_f32_e32 v14, v91, v161
	ds_read2_b64 v[88:91], v10 offset1:1
	v_sub_f32_e32 v1, v1, v14
	v_mul_f32_e32 v14, v96, v56
	s_add_i32 s21, s14, 0xffffc400
	v_fmac_f32_e32 v14, v97, v116
	s_add_i32 s23, s21, s20
	v_sub_f32_e32 v1, v1, v14
	v_mul_f32_e32 v14, v94, v42
	v_mov_b32_e32 v10, s23
	v_fmac_f32_e32 v14, v95, v115
	ds_read_b64 v[30:31], v10
	s_waitcnt vmcnt(5) lgkmcnt(1)
	v_mul_f32_e32 v56, v90, v59
	v_sub_f32_e32 v1, v1, v14
	v_mul_f32_e32 v52, v91, v59
	s_waitcnt vmcnt(4)
	v_fmac_f32_e32 v56, v91, v98
	v_fma_f32 v52, v90, v98, -v52
	v_sub_f32_e32 v1, v1, v56
	v_sub_f32_e32 v0, v0, v52
	v_mul_f32_e32 v52, v89, v1
	v_mul_f32_e32 v91, v88, v1
	v_fma_f32 v90, v88, v0, -v52
	v_fmac_f32_e32 v91, v89, v0
	v_add_u32_e32 v0, s22, v58
	buffer_load_dword v42, off, s[0:3], 0 offset:228
	buffer_load_dword v10, off, s[0:3], 0 offset:228
	;; [unrolled: 1-line block ×4, first 2 shown]
	s_nop 0
	buffer_store_dword v90, off, s[0:3], 0 offset:232
	buffer_store_dword v91, off, s[0:3], 0 offset:236
	ds_write_b64 v0, v[90:91]
	s_waitcnt lgkmcnt(1)
	v_mul_f32_e32 v0, v31, v135
	s_add_i32 s22, s23, -16
	v_fma_f32 v0, v30, v99, -v0
	v_mul_f32_e32 v1, v30, v135
	v_mov_b32_e32 v30, s22
	ds_read2_b64 v[88:91], v30 offset1:1
	s_sub_i32 s22, s23, 32
	v_mov_b32_e32 v30, s22
	ds_read2_b64 v[92:95], v30 offset1:1
	v_sub_f32_e32 v0, v48, v0
	s_waitcnt lgkmcnt(1)
	v_mul_f32_e32 v30, v91, v101
	v_fma_f32 v30, v90, v132, -v30
	v_sub_f32_e32 v0, v0, v30
	v_mul_f32_e32 v30, v89, v133
	v_fma_f32 v30, v88, v103, -v30
	v_sub_f32_e32 v0, v0, v30
	s_waitcnt lgkmcnt(0)
	v_mul_f32_e32 v30, v95, v104
	v_fma_f32 v30, v94, v127, -v30
	v_fmac_f32_e32 v1, v31, v99
	v_mul_f32_e32 v31, v90, v101
	v_sub_f32_e32 v0, v0, v30
	v_mul_f32_e32 v30, v93, v224
	v_sub_f32_e32 v1, v118, v1
	v_fmac_f32_e32 v31, v91, v132
	v_fma_f32 v30, v92, v106, -v30
	s_sub_i32 s22, s23, 48
	v_sub_f32_e32 v1, v1, v31
	v_mul_f32_e32 v31, v88, v133
	v_sub_f32_e32 v0, v0, v30
	v_mov_b32_e32 v30, s22
	v_fmac_f32_e32 v31, v89, v103
	ds_read2_b64 v[88:91], v30 offset1:1
	v_sub_f32_e32 v1, v1, v31
	v_mul_f32_e32 v31, v94, v104
	v_fmac_f32_e32 v31, v95, v127
	s_sub_i32 s22, s23, 64
	v_sub_f32_e32 v1, v1, v31
	v_mul_f32_e32 v31, v92, v224
	v_mov_b32_e32 v30, s22
	v_fmac_f32_e32 v31, v93, v106
	ds_read2_b64 v[92:95], v30 offset1:1
	s_waitcnt lgkmcnt(1)
	v_mul_f32_e32 v30, v91, v107
	v_fma_f32 v30, v90, v227, -v30
	v_sub_f32_e32 v0, v0, v30
	v_mul_f32_e32 v30, v89, v228
	v_fma_f32 v30, v88, v108, -v30
	v_sub_f32_e32 v0, v0, v30
	s_waitcnt lgkmcnt(0)
	v_mul_f32_e32 v30, v95, v109
	v_fma_f32 v30, v94, v231, -v30
	v_sub_f32_e32 v1, v1, v31
	v_mul_f32_e32 v31, v90, v107
	v_sub_f32_e32 v0, v0, v30
	v_mul_f32_e32 v30, v93, v232
	v_fmac_f32_e32 v31, v91, v227
	v_fma_f32 v30, v92, v110, -v30
	s_add_i32 s22, s23, 0xffffffb0
	v_sub_f32_e32 v1, v1, v31
	v_mul_f32_e32 v31, v88, v228
	v_sub_f32_e32 v0, v0, v30
	v_mov_b32_e32 v30, s22
	v_fmac_f32_e32 v31, v89, v108
	ds_read2_b64 v[88:91], v30 offset1:1
	v_sub_f32_e32 v1, v1, v31
	v_mul_f32_e32 v31, v94, v109
	v_fmac_f32_e32 v31, v95, v231
	s_add_i32 s22, s23, 0xffffffa0
	v_sub_f32_e32 v1, v1, v31
	v_mul_f32_e32 v31, v92, v232
	v_mov_b32_e32 v30, s22
	v_fmac_f32_e32 v31, v93, v110
	ds_read2_b64 v[92:95], v30 offset1:1
	s_waitcnt lgkmcnt(1)
	v_mul_f32_e32 v30, v91, v111
	v_fma_f32 v30, v90, v236, -v30
	v_sub_f32_e32 v0, v0, v30
	v_mul_f32_e32 v30, v89, v240
	v_sub_f32_e32 v1, v1, v31
	v_mul_f32_e32 v31, v90, v111
	v_fma_f32 v30, v88, v114, -v30
	v_fmac_f32_e32 v31, v91, v236
	v_sub_f32_e32 v0, v0, v30
	s_waitcnt lgkmcnt(0)
	v_mul_f32_e32 v30, v95, v51
	v_sub_f32_e32 v1, v1, v31
	v_mul_f32_e32 v31, v88, v240
	v_fma_f32 v30, v94, v244, -v30
	v_fmac_f32_e32 v31, v89, v114
	buffer_load_dword v48, off, s[0:3], 0 offset:172
	v_sub_f32_e32 v0, v0, v30
	v_mul_f32_e32 v30, v93, v54
	v_sub_f32_e32 v1, v1, v31
	v_mul_f32_e32 v31, v94, v51
	buffer_load_dword v51, off, s[0:3], 0 offset:168
	v_fma_f32 v30, v92, v55, -v30
	s_add_i32 s22, s23, 0xffffff90
	v_sub_f32_e32 v0, v0, v30
	v_mov_b32_e32 v30, s22
	ds_read2_b64 v[88:91], v30 offset1:1
	v_fmac_f32_e32 v31, v95, v244
	s_add_i32 s22, s23, 0xffffff80
	v_sub_f32_e32 v1, v1, v31
	v_mul_f32_e32 v31, v92, v54
	v_mov_b32_e32 v30, s22
	v_fmac_f32_e32 v31, v93, v55
	ds_read2_b64 v[92:95], v30 offset1:1
	v_sub_f32_e32 v1, v1, v31
	s_waitcnt lgkmcnt(1)
	v_mul_f32_e32 v30, v91, v120
	v_mul_f32_e32 v31, v90, v120
	v_fma_f32 v30, v90, v57, -v30
	v_fmac_f32_e32 v31, v91, v57
	v_sub_f32_e32 v0, v0, v30
	v_sub_f32_e32 v1, v1, v31
	v_mul_f32_e32 v30, v89, v47
	v_mul_f32_e32 v31, v88, v47
	v_fma_f32 v30, v88, v87, -v30
	v_fmac_f32_e32 v31, v89, v87
	v_sub_f32_e32 v0, v0, v30
	v_sub_f32_e32 v1, v1, v31
	s_waitcnt lgkmcnt(0)
	v_mul_f32_e32 v30, v95, v60
	v_mul_f32_e32 v31, v94, v60
	v_fma_f32 v30, v94, v46, -v30
	v_fmac_f32_e32 v31, v95, v46
	v_sub_f32_e32 v0, v0, v30
	v_sub_f32_e32 v1, v1, v31
	v_mul_f32_e32 v30, v93, v65
	v_mul_f32_e32 v31, v92, v65
	s_add_i32 s22, s23, 0xffffff70
	v_fma_f32 v30, v92, v11, -v30
	v_fmac_f32_e32 v31, v93, v11
	v_mov_b32_e32 v11, s22
	ds_read2_b64 v[54:57], v11 offset1:1
	s_add_i32 s22, s23, 0xffffff60
	v_mov_b32_e32 v11, s22
	ds_read2_b64 v[88:91], v11 offset1:1
	v_sub_f32_e32 v0, v0, v30
	s_waitcnt lgkmcnt(1)
	v_mul_f32_e32 v11, v57, v112
	v_fma_f32 v11, v56, v66, -v11
	v_mul_f32_e32 v30, v56, v112
	v_sub_f32_e32 v1, v1, v31
	v_fmac_f32_e32 v30, v57, v66
	v_sub_f32_e32 v0, v0, v11
	v_mul_f32_e32 v11, v55, v61
	v_sub_f32_e32 v1, v1, v30
	v_fma_f32 v11, v54, v113, -v11
	v_mul_f32_e32 v30, v54, v61
	v_fmac_f32_e32 v30, v55, v113
	v_sub_f32_e32 v0, v0, v11
	s_waitcnt lgkmcnt(0)
	v_mul_f32_e32 v11, v91, v121
	v_sub_f32_e32 v1, v1, v30
	v_fma_f32 v11, v90, v125, -v11
	v_mul_f32_e32 v30, v90, v121
	v_fmac_f32_e32 v30, v91, v125
	v_sub_f32_e32 v0, v0, v11
	buffer_load_dword v11, off, s[0:3], 0 offset:236
	v_sub_f32_e32 v1, v1, v30
	buffer_load_dword v30, off, s[0:3], 0 offset:232
	s_waitcnt vmcnt(13)
	v_mul_f32_e32 v31, v89, v3
	v_mul_f32_e32 v3, v88, v3
	s_waitcnt vmcnt(11)
	v_fmac_f32_e32 v3, v89, v123
	s_add_i32 s22, s23, 0xffffff50
	v_sub_f32_e32 v1, v1, v3
	v_mov_b32_e32 v3, s22
	ds_read2_b64 v[54:57], v3 offset1:1
	s_add_i32 s22, s23, 0xffffff40
	v_mov_b32_e32 v3, s22
	v_fma_f32 v31, v88, v123, -v31
	ds_read2_b64 v[88:91], v3 offset1:1
	v_sub_f32_e32 v0, v0, v31
	s_waitcnt vmcnt(3) lgkmcnt(1)
	v_mul_f32_e32 v31, v57, v48
	s_add_i32 s22, s23, 0xffffff30
	v_mul_f32_e32 v46, v56, v48
	s_addk_i32 s14, 0xc200
	s_waitcnt vmcnt(2)
	v_fma_f32 v31, v56, v51, -v31
	v_sub_f32_e32 v0, v0, v31
	v_mul_f32_e32 v31, v55, v39
	v_mul_f32_e32 v39, v54, v39
	v_fma_f32 v31, v54, v12, -v31
	v_fmac_f32_e32 v39, v55, v12
	s_waitcnt lgkmcnt(0)
	v_mul_f32_e32 v12, v91, v19
	v_sub_f32_e32 v0, v0, v31
	v_fma_f32 v12, v90, v26, -v12
	v_sub_f32_e32 v0, v0, v12
	v_mul_f32_e32 v12, v89, v68
	v_fma_f32 v12, v88, v71, -v12
	v_sub_f32_e32 v0, v0, v12
	v_mov_b32_e32 v12, s22
	v_fmac_f32_e32 v46, v57, v51
	ds_read2_b64 v[54:57], v12 offset1:1
	v_sub_f32_e32 v1, v1, v46
	v_mul_f32_e32 v19, v90, v19
	v_sub_f32_e32 v1, v1, v39
	v_fmac_f32_e32 v19, v91, v26
	s_add_i32 s22, s23, 0xffffff20
	v_sub_f32_e32 v1, v1, v19
	v_mul_f32_e32 v19, v88, v68
	v_mov_b32_e32 v12, s22
	v_fmac_f32_e32 v19, v89, v71
	ds_read2_b64 v[88:91], v12 offset1:1
	s_waitcnt lgkmcnt(1)
	v_mul_f32_e32 v12, v57, v37
	v_fma_f32 v12, v56, v41, -v12
	v_sub_f32_e32 v0, v0, v12
	v_mul_f32_e32 v12, v55, v35
	v_fma_f32 v12, v54, v38, -v12
	v_sub_f32_e32 v0, v0, v12
	s_waitcnt lgkmcnt(0)
	v_mul_f32_e32 v12, v91, v50
	v_fma_f32 v12, v90, v117, -v12
	v_sub_f32_e32 v1, v1, v19
	v_mul_f32_e32 v19, v56, v37
	v_sub_f32_e32 v0, v0, v12
	v_mul_f32_e32 v12, v89, v42
	v_fmac_f32_e32 v19, v57, v41
	v_fma_f32 v12, v88, v62, -v12
	s_add_i32 s22, s15, 0xffffc310
	v_sub_f32_e32 v1, v1, v19
	v_mul_f32_e32 v19, v54, v35
	v_sub_f32_e32 v0, v0, v12
	v_mov_b32_e32 v12, s22
	v_fmac_f32_e32 v19, v55, v38
	ds_read2_b64 v[54:57], v12 offset1:1
	v_sub_f32_e32 v1, v1, v19
	v_mul_f32_e32 v19, v90, v50
	s_add_i32 s20, s14, s20
	v_fmac_f32_e32 v19, v91, v117
	s_add_i32 s22, s20, -8
	v_sub_f32_e32 v1, v1, v19
	v_mul_f32_e32 v19, v88, v42
	v_mov_b32_e32 v12, s22
	v_fmac_f32_e32 v19, v89, v62
	ds_read2_b64 v[88:91], v12 offset1:1
	v_sub_f32_e32 v1, v1, v19
	buffer_load_dword v3, off, s[0:3], 0 offset:172
	buffer_load_dword v59, off, s[0:3], 0 offset:168
	;; [unrolled: 1-line block ×3, first 2 shown]
	s_waitcnt vmcnt(4) lgkmcnt(1)
	v_mul_f32_e32 v12, v57, v11
	v_mul_f32_e32 v11, v56, v11
	s_waitcnt vmcnt(3)
	v_fmac_f32_e32 v11, v57, v30
	v_fma_f32 v12, v56, v30, -v12
	v_sub_f32_e32 v1, v1, v11
	v_sub_f32_e32 v0, v0, v12
	v_mul_f32_e32 v11, v55, v1
	v_mul_f32_e32 v12, v54, v1
	v_fma_f32 v11, v54, v0, -v11
	v_fmac_f32_e32 v12, v55, v0
	v_add_u32_e32 v0, s21, v58
	buffer_load_dword v39, off, s[0:3], 0 offset:232
	s_nop 0
	buffer_store_dword v11, off, s[0:3], 0 offset:240
	buffer_store_dword v12, off, s[0:3], 0 offset:244
	ds_write_b64 v0, v[11:12]
	s_waitcnt lgkmcnt(1)
	v_mul_f32_e32 v0, v91, v67
	v_fma_f32 v0, v90, v20, -v0
	v_mul_f32_e32 v11, v89, v49
	v_sub_f32_e32 v0, v119, v0
	v_fma_f32 v11, v88, v43, -v11
	s_sub_i32 s21, s20, 24
	v_sub_f32_e32 v0, v0, v11
	v_mov_b32_e32 v11, s21
	v_mul_f32_e32 v12, v88, v49
	ds_read2_b64 v[46:49], v11 offset1:1
	s_sub_i32 s21, s20, 40
	v_mov_b32_e32 v11, s21
	ds_read2_b64 v[54:57], v11 offset1:1
	v_mul_f32_e32 v1, v90, v67
	s_waitcnt lgkmcnt(1)
	v_mul_f32_e32 v11, v49, v70
	v_fma_f32 v11, v48, v53, -v11
	v_sub_f32_e32 v0, v0, v11
	v_mul_f32_e32 v11, v47, v64
	v_fma_f32 v11, v46, v63, -v11
	v_fmac_f32_e32 v1, v91, v20
	v_sub_f32_e32 v0, v0, v11
	s_waitcnt lgkmcnt(0)
	v_mul_f32_e32 v11, v57, v77
	v_sub_f32_e32 v1, v122, v1
	v_fmac_f32_e32 v12, v89, v43
	v_fma_f32 v11, v56, v69, -v11
	v_sub_f32_e32 v1, v1, v12
	v_mul_f32_e32 v12, v48, v70
	v_sub_f32_e32 v0, v0, v11
	v_mul_f32_e32 v11, v55, v73
	v_fmac_f32_e32 v12, v49, v53
	v_fma_f32 v11, v54, v72, -v11
	s_sub_i32 s21, s20, 56
	v_sub_f32_e32 v1, v1, v12
	v_mul_f32_e32 v12, v46, v64
	v_sub_f32_e32 v0, v0, v11
	v_mov_b32_e32 v11, s21
	v_fmac_f32_e32 v12, v47, v63
	ds_read2_b64 v[46:49], v11 offset1:1
	s_add_i32 s21, s20, 0xffffffb8
	v_mov_b32_e32 v11, s21
	ds_read2_b64 v[50:53], v11 offset1:1
	v_sub_f32_e32 v1, v1, v12
	s_waitcnt lgkmcnt(1)
	v_mul_f32_e32 v11, v49, v79
	v_fma_f32 v11, v48, v74, -v11
	v_mul_f32_e32 v12, v56, v77
	v_sub_f32_e32 v0, v0, v11
	v_mul_f32_e32 v11, v47, v76
	v_fmac_f32_e32 v12, v57, v69
	v_fma_f32 v11, v46, v75, -v11
	v_sub_f32_e32 v1, v1, v12
	v_mul_f32_e32 v12, v54, v73
	v_sub_f32_e32 v0, v0, v11
	s_waitcnt lgkmcnt(0)
	v_mul_f32_e32 v11, v53, v85
	v_fmac_f32_e32 v12, v55, v72
	v_fma_f32 v11, v52, v78, -v11
	v_sub_f32_e32 v1, v1, v12
	v_mul_f32_e32 v12, v48, v79
	v_sub_f32_e32 v0, v0, v11
	v_mul_f32_e32 v11, v51, v82
	v_fmac_f32_e32 v12, v49, v74
	v_fma_f32 v11, v50, v81, -v11
	s_add_i32 s21, s20, 0xffffffa8
	v_sub_f32_e32 v1, v1, v12
	v_mul_f32_e32 v12, v46, v76
	v_sub_f32_e32 v0, v0, v11
	v_mov_b32_e32 v11, s21
	v_fmac_f32_e32 v12, v47, v75
	ds_read2_b64 v[46:49], v11 offset1:1
	v_sub_f32_e32 v1, v1, v12
	v_mul_f32_e32 v12, v52, v85
	v_fmac_f32_e32 v12, v53, v78
	v_sub_f32_e32 v1, v1, v12
	v_mul_f32_e32 v12, v50, v82
	s_add_i32 s21, s20, 0xffffff98
	v_fmac_f32_e32 v12, v51, v81
	v_mov_b32_e32 v11, s21
	v_sub_f32_e32 v1, v1, v12
	ds_read2_b64 v[50:53], v11 offset1:1
	s_waitcnt lgkmcnt(1)
	v_mul_f32_e32 v11, v49, v86
	v_mul_f32_e32 v12, v48, v86
	v_fma_f32 v11, v48, v83, -v11
	v_fmac_f32_e32 v12, v49, v83
	v_sub_f32_e32 v0, v0, v11
	v_sub_f32_e32 v1, v1, v12
	v_mul_f32_e32 v11, v47, v24
	v_mul_f32_e32 v12, v46, v24
	v_fma_f32 v11, v46, v8, -v11
	v_fmac_f32_e32 v12, v47, v8
	v_sub_f32_e32 v0, v0, v11
	v_sub_f32_e32 v1, v1, v12
	buffer_load_dword v11, off, s[0:3], 0 offset:180
	buffer_load_dword v12, off, s[0:3], 0 offset:176
	s_waitcnt lgkmcnt(0)
	v_mul_f32_e32 v8, v53, v5
	v_mul_f32_e32 v5, v52, v5
	v_fmac_f32_e32 v5, v53, v7
	v_fma_f32 v8, v52, v7, -v8
	v_sub_f32_e32 v1, v1, v5
	v_mul_f32_e32 v5, v51, v36
	v_sub_f32_e32 v0, v0, v8
	v_fma_f32 v5, v50, v23, -v5
	s_add_i32 s21, s20, 0xffffff88
	v_sub_f32_e32 v0, v0, v5
	v_mov_b32_e32 v5, s21
	v_mul_f32_e32 v7, v50, v36
	ds_read2_b64 v[35:38], v5 offset1:1
	s_add_i32 s21, s20, 0xffffff78
	v_mov_b32_e32 v5, s21
	ds_read2_b64 v[46:49], v5 offset1:1
	v_fmac_f32_e32 v7, v51, v23
	s_waitcnt lgkmcnt(1)
	v_mul_f32_e32 v5, v38, v40
	v_fma_f32 v5, v37, v21, -v5
	v_sub_f32_e32 v0, v0, v5
	v_mul_f32_e32 v5, v36, v241
	v_fma_f32 v5, v35, v25, -v5
	v_sub_f32_e32 v0, v0, v5
	s_waitcnt lgkmcnt(0)
	v_mul_f32_e32 v5, v49, v44
	v_fma_f32 v5, v48, v33, -v5
	v_sub_f32_e32 v1, v1, v7
	v_mul_f32_e32 v7, v37, v40
	v_sub_f32_e32 v0, v0, v5
	v_mul_f32_e32 v5, v47, v84
	v_fmac_f32_e32 v7, v38, v21
	v_fma_f32 v5, v46, v45, -v5
	s_add_i32 s21, s20, 0xffffff68
	v_sub_f32_e32 v1, v1, v7
	v_mul_f32_e32 v7, v35, v241
	v_sub_f32_e32 v0, v0, v5
	v_mov_b32_e32 v5, s21
	s_add_i32 s21, s20, 0xffffff58
	v_fmac_f32_e32 v7, v36, v25
	ds_read2_b64 v[23:26], v5 offset1:1
	v_mov_b32_e32 v5, s21
	ds_read2_b64 v[35:38], v5 offset1:1
	buffer_load_dword v20, off, s[0:3], 0 offset:244
	buffer_load_dword v21, off, s[0:3], 0 offset:240
	v_sub_f32_e32 v1, v1, v7
	s_waitcnt lgkmcnt(1)
	v_mul_f32_e32 v5, v26, v34
	v_mul_f32_e32 v7, v48, v44
	v_fma_f32 v5, v25, v80, -v5
	v_fmac_f32_e32 v7, v49, v33
	v_sub_f32_e32 v0, v0, v5
	v_mul_f32_e32 v5, v24, v32
	v_sub_f32_e32 v1, v1, v7
	v_mul_f32_e32 v7, v46, v84
	v_fma_f32 v5, v23, v28, -v5
	v_fmac_f32_e32 v7, v47, v45
	v_sub_f32_e32 v0, v0, v5
	s_waitcnt lgkmcnt(0)
	v_mul_f32_e32 v5, v38, v17
	v_sub_f32_e32 v1, v1, v7
	v_mul_f32_e32 v7, v25, v34
	v_fma_f32 v5, v37, v29, -v5
	v_fmac_f32_e32 v7, v26, v80
	v_sub_f32_e32 v0, v0, v5
	s_waitcnt vmcnt(9)
	v_mul_f32_e32 v5, v36, v3
	v_sub_f32_e32 v1, v1, v7
	v_mul_f32_e32 v7, v23, v32
	s_waitcnt vmcnt(8)
	v_fma_f32 v5, v35, v59, -v5
	s_add_i32 s21, s20, 0xffffff48
	v_fmac_f32_e32 v7, v24, v28
	v_sub_f32_e32 v0, v0, v5
	v_mov_b32_e32 v5, s21
	v_sub_f32_e32 v1, v1, v7
	v_mul_f32_e32 v7, v37, v17
	ds_read2_b64 v[23:26], v5 offset1:1
	v_fmac_f32_e32 v7, v38, v29
	v_mul_f32_e32 v3, v35, v3
	v_sub_f32_e32 v1, v1, v7
	v_fmac_f32_e32 v3, v36, v59
	s_add_i32 s21, s20, 0xffffff38
	v_sub_f32_e32 v1, v1, v3
	v_mov_b32_e32 v3, s21
	ds_read2_b64 v[28:31], v3 offset1:1
	s_waitcnt vmcnt(3) lgkmcnt(1)
	v_mul_f32_e32 v3, v26, v11
	s_waitcnt vmcnt(2)
	v_fma_f32 v3, v25, v12, -v3
	v_mul_f32_e32 v5, v25, v11
	v_fmac_f32_e32 v5, v26, v12
	v_sub_f32_e32 v0, v0, v3
	v_mul_f32_e32 v3, v24, v9
	v_sub_f32_e32 v1, v1, v5
	v_fma_f32 v3, v23, v15, -v3
	v_mul_f32_e32 v5, v23, v9
	v_fmac_f32_e32 v5, v24, v15
	v_sub_f32_e32 v0, v0, v3
	s_waitcnt lgkmcnt(0)
	v_mul_f32_e32 v3, v31, v4
	v_mul_f32_e32 v4, v30, v4
	v_sub_f32_e32 v1, v1, v5
	v_fmac_f32_e32 v4, v31, v6
	v_fma_f32 v3, v30, v6, -v3
	v_sub_f32_e32 v5, v1, v4
	v_mul_f32_e32 v1, v29, v2
	v_sub_f32_e32 v0, v0, v3
	v_fma_f32 v1, v28, v22, -v1
	s_add_i32 s21, s20, 0xffffff28
	v_sub_f32_e32 v0, v0, v1
	v_mov_b32_e32 v1, s21
	v_mul_f32_e32 v6, v28, v2
	ds_read2_b64 v[1:4], v1 offset1:1
	v_fmac_f32_e32 v6, v29, v22
	s_addk_i32 s20, 0xff18
	v_sub_f32_e32 v9, v5, v6
	v_mov_b32_e32 v5, s20
	ds_read2_b64 v[5:8], v5 offset1:1
	s_waitcnt lgkmcnt(1)
	v_mul_f32_e32 v11, v4, v16
	v_fma_f32 v11, v3, v27, -v11
	v_mul_f32_e32 v3, v3, v16
	v_fmac_f32_e32 v3, v4, v27
	v_mul_f32_e32 v4, v2, v13
	v_fma_f32 v4, v1, v18, -v4
	v_mul_f32_e32 v1, v1, v13
	v_sub_f32_e32 v3, v9, v3
	v_fmac_f32_e32 v1, v2, v18
	v_sub_f32_e32 v1, v3, v1
	s_waitcnt lgkmcnt(0)
	v_mul_f32_e32 v3, v7, v10
	v_mul_f32_e32 v2, v8, v10
	v_fmac_f32_e32 v3, v8, v14
	v_sub_f32_e32 v0, v0, v11
	v_fma_f32 v2, v7, v14, -v2
	v_sub_f32_e32 v7, v1, v3
	v_mul_f32_e32 v1, v6, v19
	s_addk_i32 s15, 0xc108
	v_sub_f32_e32 v0, v0, v4
	v_fma_f32 v8, v5, v39, -v1
	v_mov_b32_e32 v1, s15
	v_sub_f32_e32 v0, v0, v2
	ds_read2_b64 v[1:4], v1 offset1:1
	v_mul_f32_e32 v5, v5, v19
	v_fmac_f32_e32 v5, v6, v39
	v_sub_f32_e32 v5, v7, v5
	v_sub_f32_e32 v0, v0, v8
	s_waitcnt vmcnt(1) lgkmcnt(0)
	v_mul_f32_e32 v6, v4, v20
	s_waitcnt vmcnt(0)
	v_fma_f32 v6, v3, v21, -v6
	v_mul_f32_e32 v3, v3, v20
	v_fmac_f32_e32 v3, v4, v21
	v_sub_f32_e32 v4, v5, v3
	v_sub_f32_e32 v0, v0, v6
	v_mul_f32_e32 v3, v2, v4
	v_mul_f32_e32 v4, v1, v4
	v_fma_f32 v3, v1, v0, -v3
	v_fmac_f32_e32 v4, v2, v0
	v_add_u32_e32 v0, s14, v58
	s_cmp_gt_i32 s13, 62
	s_mov_b32 s14, 31
	buffer_store_dword v3, off, s[0:3], 0 offset:248
	buffer_store_dword v4, off, s[0:3], 0 offset:252
	ds_write_b64 v0, v[3:4]
	s_cbranch_scc0 .LBB175_26
.LBB175_22:                             ; =>This Loop Header: Depth=1
                                        ;     Child Loop BB175_24 Depth 2
	s_mov_b32 s13, s14
	s_lshl_b32 s14, s14, 9
	v_add_u32_e32 v60, s14, v58
	v_add_u32_e32 v3, 0xfffffe00, v60
	;; [unrolled: 1-line block ×4, first 2 shown]
	ds_read_b64 v[1:2], v60
	ds_read_b64 v[5:6], v3
	;; [unrolled: 1-line block ×4, first 2 shown]
	s_waitcnt lgkmcnt(3)
	buffer_store_dword v2, off, s[0:3], 0 offset:4
	buffer_store_dword v1, off, s[0:3], 0
	s_waitcnt lgkmcnt(2)
	buffer_store_dword v6, off, s[0:3], 0 offset:12
	buffer_store_dword v5, off, s[0:3], 0 offset:8
	s_waitcnt lgkmcnt(1)
	buffer_store_dword v4, off, s[0:3], 0 offset:20
	buffer_store_dword v3, off, s[0:3], 0 offset:16
	;; [unrolled: 3-line block ×3, first 2 shown]
	v_add_u32_e32 v6, 0xfffff800, v60
	ds_read_b64 v[8:9], v6
	v_add_u32_e32 v6, 0xfffff600, v60
	v_add_u32_e32 v10, 0xfffff400, v60
	;; [unrolled: 1-line block ×3, first 2 shown]
	ds_read_b64 v[12:13], v6
	ds_read_b64 v[14:15], v10
	;; [unrolled: 1-line block ×3, first 2 shown]
	s_waitcnt lgkmcnt(3)
	buffer_store_dword v9, off, s[0:3], 0 offset:36
	buffer_store_dword v8, off, s[0:3], 0 offset:32
	s_waitcnt lgkmcnt(2)
	buffer_store_dword v13, off, s[0:3], 0 offset:44
	buffer_store_dword v12, off, s[0:3], 0 offset:40
	;; [unrolled: 3-line block ×4, first 2 shown]
	v_add_u32_e32 v6, 0xfffff000, v60
	ds_read_b64 v[15:16], v6
	v_add_u32_e32 v6, 0xffffee00, v60
	v_add_u32_e32 v9, 0xffffec00, v60
	;; [unrolled: 1-line block ×3, first 2 shown]
	ds_read_b64 v[21:22], v6
	ds_read_b64 v[19:20], v9
	;; [unrolled: 1-line block ×3, first 2 shown]
	s_waitcnt lgkmcnt(3)
	buffer_store_dword v16, off, s[0:3], 0 offset:68
	buffer_store_dword v15, off, s[0:3], 0 offset:64
	s_waitcnt lgkmcnt(2)
	buffer_store_dword v21, off, s[0:3], 0 offset:72
	buffer_store_dword v22, off, s[0:3], 0 offset:76
	s_waitcnt lgkmcnt(1)
	buffer_store_dword v19, off, s[0:3], 0 offset:80
	buffer_store_dword v20, off, s[0:3], 0 offset:84
	s_waitcnt lgkmcnt(0)
	buffer_store_dword v17, off, s[0:3], 0 offset:88
	buffer_store_dword v18, off, s[0:3], 0 offset:92
	v_add_u32_e32 v6, 0xffffe800, v60
	ds_read_b64 v[22:23], v6
	buffer_load_dword v6, off, s[0:3], 0 offset:12
	v_add_u32_e32 v9, 0xffffe600, v60
	v_add_u32_e32 v11, 0xffffe400, v60
	v_add_u32_e32 v20, 0xffffe200, v60
	ds_read_b64 v[28:29], v9
	ds_read_b64 v[24:25], v11
	ds_read_b64 v[26:27], v20
	s_waitcnt lgkmcnt(3)
	buffer_store_dword v22, off, s[0:3], 0 offset:96
	buffer_store_dword v23, off, s[0:3], 0 offset:100
	s_waitcnt lgkmcnt(2)
	buffer_store_dword v28, off, s[0:3], 0 offset:104
	buffer_store_dword v29, off, s[0:3], 0 offset:108
	s_waitcnt lgkmcnt(1)
	buffer_store_dword v25, off, s[0:3], 0 offset:116
	buffer_store_dword v24, off, s[0:3], 0 offset:112
	s_waitcnt lgkmcnt(0)
	buffer_store_dword v26, off, s[0:3], 0 offset:120
	buffer_store_dword v27, off, s[0:3], 0 offset:124
	v_add_u32_e32 v9, 0xffffe000, v60
	ds_read_b64 v[29:30], v9
	v_add_u32_e32 v9, 0xffffde00, v60
	v_add_u32_e32 v11, 0xffffdc00, v60
	v_add_u32_e32 v20, 0xffffda00, v60
	ds_read_b64 v[33:34], v9
	ds_read_b64 v[35:36], v11
	ds_read_b64 v[31:32], v20
	s_waitcnt lgkmcnt(3)
	buffer_store_dword v29, off, s[0:3], 0 offset:128
	buffer_store_dword v30, off, s[0:3], 0 offset:132
	s_waitcnt lgkmcnt(2)
	buffer_store_dword v33, off, s[0:3], 0 offset:136
	buffer_store_dword v34, off, s[0:3], 0 offset:140
	s_waitcnt lgkmcnt(1)
	buffer_store_dword v35, off, s[0:3], 0 offset:144
	buffer_store_dword v36, off, s[0:3], 0 offset:148
	s_waitcnt lgkmcnt(0)
	buffer_store_dword v32, off, s[0:3], 0 offset:156
	buffer_store_dword v31, off, s[0:3], 0 offset:152
	v_add_u32_e32 v9, 0xffffd800, v60
	ds_read_b64 v[36:37], v9
	;; [unrolled: 20-line block ×4, first 2 shown]
	v_add_u32_e32 v9, 0xffffc600, v60
	v_add_u32_e32 v11, 0xffffc400, v60
	;; [unrolled: 1-line block ×3, first 2 shown]
	ds_read_b64 v[54:55], v9
	ds_read_b64 v[56:57], v11
	;; [unrolled: 1-line block ×3, first 2 shown]
	s_cmp_le_i32 s9, s13
	s_waitcnt lgkmcnt(3)
	buffer_store_dword v50, off, s[0:3], 0 offset:224
	buffer_store_dword v51, off, s[0:3], 0 offset:228
	s_waitcnt lgkmcnt(2)
	buffer_store_dword v54, off, s[0:3], 0 offset:232
	buffer_store_dword v55, off, s[0:3], 0 offset:236
	;; [unrolled: 3-line block ×4, first 2 shown]
	s_cbranch_scc1 .LBB175_21
; %bb.23:                               ;   in Loop: Header=BB175_22 Depth=1
	buffer_load_dword v67, off, s[0:3], 0 offset:28
	buffer_load_dword v66, off, s[0:3], 0 offset:36
	;; [unrolled: 1-line block ×20, first 2 shown]
	buffer_load_dword v68, off, s[0:3], 0 offset:264 ; 4-byte Folded Reload
	s_add_i32 s15, s12, s14
	s_mov_b32 s20, s9
.LBB175_24:                             ;   Parent Loop BB175_22 Depth=1
                                        ; =>  This Inner Loop Header: Depth=2
	v_mov_b32_e32 v129, s15
	s_waitcnt vmcnt(0)
	ds_read_b64 v[133:134], v68
	ds_read2st64_b64 v[69:72], v129 offset0:30 offset1:31
	ds_read2st64_b64 v[73:76], v129 offset0:28 offset1:29
	;; [unrolled: 1-line block ×15, first 2 shown]
	ds_read2st64_b64 v[129:132], v129 offset1:1
	s_add_i32 s20, s20, -1
	s_add_i32 s15, s15, -8
	v_add_u32_e32 v68, 0xfffffe00, v68
	s_waitcnt lgkmcnt(14)
	v_mul_f32_e32 v135, v72, v134
	v_mul_f32_e32 v72, v72, v133
	;; [unrolled: 1-line block ×8, first 2 shown]
	s_waitcnt lgkmcnt(13)
	v_mul_f32_e32 v139, v80, v134
	v_mul_f32_e32 v80, v80, v133
	v_mul_f32_e32 v140, v78, v134
	v_mul_f32_e32 v78, v78, v133
	s_waitcnt lgkmcnt(12)
	v_mul_f32_e32 v141, v84, v134
	v_mul_f32_e32 v84, v84, v133
	v_mul_f32_e32 v142, v82, v134
	v_mul_f32_e32 v82, v82, v133
	;; [unrolled: 5-line block ×14, first 2 shown]
	v_fma_f32 v135, v71, v133, -v135
	v_fmac_f32_e32 v72, v71, v134
	v_fma_f32 v71, v69, v133, -v136
	v_fmac_f32_e32 v70, v69, v134
	;; [unrolled: 2-line block ×32, first 2 shown]
	s_cmp_le_i32 s20, s13
	v_sub_f32_e32 v1, v1, v135
	v_sub_f32_e32 v2, v2, v72
	;; [unrolled: 1-line block ×64, first 2 shown]
	s_cbranch_scc0 .LBB175_24
; %bb.25:                               ;   in Loop: Header=BB175_22 Depth=1
	buffer_store_dword v1, off, s[0:3], 0
	buffer_store_dword v2, off, s[0:3], 0 offset:4
	buffer_store_dword v5, off, s[0:3], 0 offset:8
	;; [unrolled: 1-line block ×63, first 2 shown]
	s_branch .LBB175_21
.LBB175_26:
	buffer_load_dword v0, off, s[0:3], 0 offset:268 ; 4-byte Folded Reload
	s_sub_i32 s12, s13, 32
.LBB175_27:
	s_cmp_gt_i32 s12, -1
	s_cbranch_scc0 .LBB175_53
; %bb.28:
	s_cmp_lt_u32 s12, 3
	s_cbranch_scc1 .LBB175_36
; %bb.29:
	s_waitcnt vmcnt(0)
	v_lshlrev_b32_e32 v1, 3, v0
	s_lshl_b32 s13, s12, 9
	s_lshl_b32 s14, s26, 3
	v_lshl_or_b32 v1, s26, 9, v1
	s_add_i32 s13, s13, s14
	v_add_u32_e32 v9, 0x7e00, v1
	s_addk_i32 s13, 0xf9f8
.LBB175_30:                             ; =>This Loop Header: Depth=1
                                        ;     Child Loop BB175_32 Depth 2
	v_lshl_add_u32 v10, s12, 9, v58
	v_add_u32_e32 v3, 0xfffffe00, v10
	v_add_u32_e32 v4, 0xfffffc00, v10
	;; [unrolled: 1-line block ×3, first 2 shown]
	ds_read_b64 v[1:2], v10
	ds_read_b64 v[5:6], v3
	;; [unrolled: 1-line block ×4, first 2 shown]
	s_cmp_le_i32 s9, s12
	s_waitcnt lgkmcnt(3)
	buffer_store_dword v2, off, s[0:3], 0 offset:4
	buffer_store_dword v1, off, s[0:3], 0
	s_waitcnt lgkmcnt(2)
	buffer_store_dword v6, off, s[0:3], 0 offset:12
	buffer_store_dword v5, off, s[0:3], 0 offset:8
	s_waitcnt lgkmcnt(1)
	buffer_store_dword v4, off, s[0:3], 0 offset:20
	buffer_store_dword v3, off, s[0:3], 0 offset:16
	;; [unrolled: 3-line block ×3, first 2 shown]
	s_cbranch_scc1 .LBB175_34
; %bb.31:                               ;   in Loop: Header=BB175_30 Depth=1
	s_mov_b32 s14, s13
	v_mov_b32_e32 v11, v9
	s_mov_b32 s15, s9
.LBB175_32:                             ;   Parent Loop BB175_30 Depth=1
                                        ; =>  This Inner Loop Header: Depth=2
	v_mov_b32_e32 v16, s14
	ds_read_b64 v[20:21], v11
	ds_read2st64_b64 v[12:15], v16 offset0:2 offset1:3
	ds_read2st64_b64 v[16:19], v16 offset1:1
	s_add_i32 s15, s15, -1
	s_add_i32 s14, s14, -8
	v_add_u32_e32 v11, 0xfffffe00, v11
	s_waitcnt lgkmcnt(1)
	v_mul_f32_e32 v22, v15, v21
	v_mul_f32_e32 v15, v15, v20
	;; [unrolled: 1-line block ×4, first 2 shown]
	s_waitcnt lgkmcnt(0)
	v_mul_f32_e32 v24, v19, v21
	v_mul_f32_e32 v19, v19, v20
	;; [unrolled: 1-line block ×4, first 2 shown]
	v_fma_f32 v22, v14, v20, -v22
	v_fmac_f32_e32 v15, v14, v21
	v_fma_f32 v14, v12, v20, -v23
	v_fmac_f32_e32 v13, v12, v21
	;; [unrolled: 2-line block ×4, first 2 shown]
	s_cmp_gt_i32 s15, s12
	v_sub_f32_e32 v1, v1, v22
	v_sub_f32_e32 v2, v2, v15
	;; [unrolled: 1-line block ×8, first 2 shown]
	s_cbranch_scc1 .LBB175_32
; %bb.33:                               ;   in Loop: Header=BB175_30 Depth=1
	buffer_store_dword v1, off, s[0:3], 0
	buffer_store_dword v2, off, s[0:3], 0 offset:4
	buffer_store_dword v5, off, s[0:3], 0 offset:8
	;; [unrolled: 1-line block ×7, first 2 shown]
.LBB175_34:                             ;   in Loop: Header=BB175_30 Depth=1
	buffer_load_dword v31, off, s[0:3], 0 offset:24
	buffer_load_dword v32, off, s[0:3], 0 offset:28
	s_mul_i32 s14, s12, 0x208
	s_add_i32 s15, s12, -1
	s_add_i32 s20, s12, -2
	s_lshl_b32 s21, s12, 3
	v_mov_b32_e32 v7, s14
	s_lshl_b32 s14, s15, 9
	s_lshl_b32 s15, s15, 3
	s_lshl_b32 s23, s20, 9
	s_lshl_b32 s20, s20, 3
	s_add_i32 s15, s14, s15
	s_add_i32 s27, s23, s21
	;; [unrolled: 1-line block ×3, first 2 shown]
	v_mov_b32_e32 v11, s15
	v_mov_b32_e32 v15, s27
	;; [unrolled: 1-line block ×3, first 2 shown]
	ds_read_b64 v[7:8], v7
	ds_read2_b64 v[11:14], v11 offset1:1
	ds_read_b64 v[27:28], v15
	ds_read2_b64 v[15:18], v16 offset1:1
	s_add_i32 s22, s12, -3
	s_waitcnt lgkmcnt(3)
	v_mul_f32_e32 v30, v7, v2
	v_mul_f32_e32 v29, v8, v2
	v_fmac_f32_e32 v30, v8, v1
	s_lshl_b32 s25, s22, 9
	v_fma_f32 v29, v7, v1, -v29
	s_waitcnt lgkmcnt(2)
	v_mul_f32_e32 v1, v14, v30
	v_mul_f32_e32 v2, v13, v30
	s_lshl_b32 s22, s22, 3
	s_add_i32 s21, s25, s21
	v_fma_f32 v1, v13, v29, -v1
	v_fmac_f32_e32 v2, v14, v29
	s_add_i32 s22, s25, s22
	s_add_i32 s15, s21, -8
	s_waitcnt lgkmcnt(1)
	v_mul_f32_e32 v7, v28, v30
	v_sub_f32_e32 v5, v5, v1
	v_sub_f32_e32 v1, v6, v2
	v_mov_b32_e32 v23, s22
	v_mov_b32_e32 v19, s15
	v_fma_f32 v7, v27, v29, -v7
	v_mul_f32_e32 v2, v11, v1
	ds_read2_b64 v[19:22], v19 offset1:1
	ds_read2_b64 v[23:26], v23 offset1:1
	v_mul_f32_e32 v8, v27, v30
	v_sub_f32_e32 v3, v3, v7
	v_mul_f32_e32 v7, v12, v1
	v_fmac_f32_e32 v2, v12, v5
	v_fmac_f32_e32 v8, v28, v29
	v_fma_f32 v1, v11, v5, -v7
	s_waitcnt lgkmcnt(2)
	v_mul_f32_e32 v5, v18, v2
	v_mul_f32_e32 v7, v17, v2
	v_sub_f32_e32 v4, v4, v8
	v_fma_f32 v5, v17, v1, -v5
	v_fmac_f32_e32 v7, v18, v1
	v_sub_f32_e32 v5, v3, v5
	v_sub_f32_e32 v3, v4, v7
	s_waitcnt lgkmcnt(1)
	v_mul_f32_e32 v13, v22, v30
	v_mul_f32_e32 v14, v21, v30
	v_mul_f32_e32 v4, v15, v3
	v_fma_f32 v6, v21, v29, -v13
	v_fmac_f32_e32 v14, v22, v29
	v_mul_f32_e32 v8, v20, v2
	v_mul_f32_e32 v11, v19, v2
	;; [unrolled: 1-line block ×3, first 2 shown]
	v_fmac_f32_e32 v4, v16, v5
	v_fma_f32 v8, v19, v1, -v8
	v_fmac_f32_e32 v11, v20, v1
	v_fma_f32 v3, v15, v5, -v7
	s_waitcnt lgkmcnt(0)
	v_mul_f32_e32 v5, v26, v4
	v_mul_f32_e32 v7, v25, v4
	v_fma_f32 v5, v25, v3, -v5
	v_fmac_f32_e32 v7, v26, v3
	s_addk_i32 s13, 0xf800
	s_waitcnt vmcnt(1)
	v_sub_f32_e32 v6, v31, v6
	s_waitcnt vmcnt(0)
	v_sub_f32_e32 v12, v32, v14
	v_sub_f32_e32 v6, v6, v8
	;; [unrolled: 1-line block ×5, first 2 shown]
	v_mul_f32_e32 v7, v24, v6
	v_mul_f32_e32 v6, v23, v6
	v_fma_f32 v7, v23, v5, -v7
	v_fmac_f32_e32 v6, v24, v5
	buffer_store_dword v7, off, s[0:3], 0 offset:24
	buffer_store_dword v6, off, s[0:3], 0 offset:28
	buffer_load_dword v5, off, s[0:3], 0 offset:24
	s_nop 0
	buffer_load_dword v6, off, s[0:3], 0 offset:28
	v_add_u32_e32 v7, s14, v58
	buffer_store_dword v29, off, s[0:3], 0
	buffer_store_dword v30, off, s[0:3], 0 offset:4
	ds_write_b64 v10, v[29:30]
	buffer_store_dword v1, off, s[0:3], 0 offset:8
	buffer_store_dword v2, off, s[0:3], 0 offset:12
	ds_write_b64 v7, v[1:2]
	v_add_u32_e32 v1, s23, v58
	s_add_i32 s14, s12, -4
	buffer_store_dword v3, off, s[0:3], 0 offset:16
	buffer_store_dword v4, off, s[0:3], 0 offset:20
	ds_write_b64 v1, v[3:4]
	v_add_u32_e32 v1, s25, v58
	s_cmp_gt_i32 s12, 6
	s_waitcnt vmcnt(6)
	ds_write_b64 v1, v[5:6]
	s_cbranch_scc0 .LBB175_37
; %bb.35:                               ;   in Loop: Header=BB175_30 Depth=1
	s_mov_b32 s12, s14
	s_branch .LBB175_30
.LBB175_36:
	s_mov_b32 s14, s12
.LBB175_37:
	s_cmp_lt_i32 s14, 0
	s_cbranch_scc1 .LBB175_53
; %bb.38:
	s_bitcmp1_b32 s14, 0
	s_cselect_b64 s[12:13], -1, 0
	s_and_b64 vcc, exec, s[12:13]
	s_mov_b32 s12, s14
	s_cbranch_vccnz .LBB175_44
; %bb.39:
	s_lshl_b32 s12, s14, 9
	v_add_u32_e32 v3, s12, v58
	ds_read_b64 v[1:2], v3
	s_cmp_le_i32 s9, s14
	s_waitcnt lgkmcnt(0)
	buffer_store_dword v2, off, s[0:3], 0 offset:4
	buffer_store_dword v1, off, s[0:3], 0
	s_cbranch_scc1 .LBB175_43
; %bb.40:
	s_lshl_b32 s13, s26, 3
	s_waitcnt vmcnt(2)
	v_lshlrev_b32_e32 v4, 3, v0
	s_add_i32 s12, s12, s13
	v_lshl_or_b32 v4, s26, 9, v4
	s_add_i32 s12, s12, -8
	v_add_u32_e32 v4, 0x7e00, v4
	s_mov_b32 s13, s9
.LBB175_41:                             ; =>This Inner Loop Header: Depth=1
	v_mov_b32_e32 v7, s12
	ds_read_b64 v[5:6], v4
	ds_read_b64 v[7:8], v7
	s_add_i32 s13, s13, -1
	s_add_i32 s12, s12, -8
	v_add_u32_e32 v4, 0xfffffe00, v4
	s_cmp_gt_i32 s13, s14
	s_waitcnt lgkmcnt(0)
	v_mul_f32_e32 v9, v8, v6
	v_mul_f32_e32 v8, v8, v5
	v_fma_f32 v5, v7, v5, -v9
	v_fmac_f32_e32 v8, v7, v6
	v_sub_f32_e32 v1, v1, v5
	v_sub_f32_e32 v2, v2, v8
	s_cbranch_scc1 .LBB175_41
; %bb.42:
	buffer_store_dword v1, off, s[0:3], 0
	buffer_store_dword v2, off, s[0:3], 0 offset:4
.LBB175_43:
	s_mul_i32 s12, s14, 0x208
	v_mov_b32_e32 v4, s12
	ds_read_b64 v[4:5], v4
	s_add_i32 s12, s14, -1
	s_waitcnt lgkmcnt(0)
	v_mul_f32_e32 v6, v5, v2
	v_mul_f32_e32 v7, v4, v2
	v_fma_f32 v6, v4, v1, -v6
	v_fmac_f32_e32 v7, v5, v1
	buffer_store_dword v6, off, s[0:3], 0
	buffer_store_dword v7, off, s[0:3], 0 offset:4
	ds_write_b64 v3, v[6:7]
.LBB175_44:
	s_cmp_eq_u32 s14, 0
	s_cbranch_scc1 .LBB175_53
; %bb.45:
	s_lshl_b32 s13, s12, 9
	s_lshl_b32 s14, s26, 3
	s_waitcnt vmcnt(0)
	v_lshlrev_b32_e32 v1, 3, v0
	s_add_i32 s14, s13, s14
	v_lshl_or_b32 v1, s26, 9, v1
	s_add_i32 s13, s14, -8
	v_add_u32_e32 v5, 0x7e00, v1
	s_addk_i32 s14, 0xfdf8
	s_branch .LBB175_47
.LBB175_46:                             ;   in Loop: Header=BB175_47 Depth=1
	s_addk_i32 s15, 0xfdf8
	v_mov_b32_e32 v1, s15
	ds_read_b64 v[1:2], v1
	s_add_i32 s15, s12, -2
	s_addk_i32 s13, 0xfc00
	s_addk_i32 s14, 0xfc00
	s_cmp_lt_i32 s12, 2
	s_waitcnt lgkmcnt(0)
	v_mul_f32_e32 v6, v2, v4
	v_mul_f32_e32 v9, v1, v4
	v_fma_f32 v8, v1, v3, -v6
	v_fmac_f32_e32 v9, v2, v3
	s_mov_b32 s12, s15
	buffer_store_dword v8, off, s[0:3], 0
	buffer_store_dword v9, off, s[0:3], 0 offset:4
	ds_write_b64 v7, v[8:9]
	s_cbranch_scc1 .LBB175_53
.LBB175_47:                             ; =>This Loop Header: Depth=1
                                        ;     Child Loop BB175_48 Depth 2
                                        ;     Child Loop BB175_51 Depth 2
	s_lshl_b32 s20, s12, 9
	v_add_u32_e32 v6, s20, v58
	ds_read_b64 v[1:2], v6
	v_mov_b32_e32 v3, v5
	s_mov_b32 s15, s13
	s_cmp_le_i32 s9, s12
	s_mov_b32 s21, s9
	s_waitcnt lgkmcnt(0)
	buffer_store_dword v2, off, s[0:3], 0 offset:4
	buffer_store_dword v1, off, s[0:3], 0
	s_cbranch_scc1 .LBB175_50
.LBB175_48:                             ;   Parent Loop BB175_47 Depth=1
                                        ; =>  This Inner Loop Header: Depth=2
	v_mov_b32_e32 v4, s15
	ds_read_b64 v[7:8], v3
	ds_read_b64 v[9:10], v4
	s_add_i32 s21, s21, -1
	s_add_i32 s15, s15, -8
	v_add_u32_e32 v3, 0xfffffe00, v3
	s_cmp_gt_i32 s21, s12
	s_waitcnt lgkmcnt(0)
	v_mul_f32_e32 v4, v10, v8
	v_mul_f32_e32 v10, v10, v7
	v_fma_f32 v4, v9, v7, -v4
	v_fmac_f32_e32 v10, v9, v8
	v_sub_f32_e32 v1, v1, v4
	v_sub_f32_e32 v2, v2, v10
	s_cbranch_scc1 .LBB175_48
; %bb.49:                               ;   in Loop: Header=BB175_47 Depth=1
	buffer_store_dword v1, off, s[0:3], 0
	buffer_store_dword v2, off, s[0:3], 0 offset:4
.LBB175_50:                             ;   in Loop: Header=BB175_47 Depth=1
	s_mul_i32 s15, s12, 0x208
	v_mov_b32_e32 v3, s15
	ds_read_b64 v[8:9], v3
	s_addk_i32 s20, 0xfe00
	v_add_u32_e32 v7, s20, v58
	ds_read_b64 v[3:4], v7
	s_cmp_le_i32 s26, s12
	s_waitcnt lgkmcnt(1)
	v_mul_f32_e32 v10, v9, v2
	v_mul_f32_e32 v11, v8, v2
	v_fma_f32 v10, v8, v1, -v10
	v_fmac_f32_e32 v11, v9, v1
	v_mov_b32_e32 v1, v5
	s_mov_b32 s20, s14
	s_mov_b32 s21, s26
	ds_write_b64 v6, v[10:11]
	s_waitcnt lgkmcnt(1)
	buffer_store_dword v3, off, s[0:3], 0
	buffer_store_dword v4, off, s[0:3], 0 offset:4
	s_cbranch_scc1 .LBB175_46
.LBB175_51:                             ;   Parent Loop BB175_47 Depth=1
                                        ; =>  This Inner Loop Header: Depth=2
	v_mov_b32_e32 v2, s20
	ds_read_b64 v[8:9], v1
	ds_read_b64 v[10:11], v2
	s_add_i32 s21, s21, -1
	s_add_i32 s20, s20, -8
	v_add_u32_e32 v1, 0xfffffe00, v1
	s_cmp_gt_i32 s21, s12
	s_waitcnt lgkmcnt(0)
	v_mul_f32_e32 v2, v11, v9
	v_mul_f32_e32 v6, v11, v8
	v_fma_f32 v2, v10, v8, -v2
	v_fmac_f32_e32 v6, v10, v9
	v_sub_f32_e32 v3, v3, v2
	v_sub_f32_e32 v4, v4, v6
	s_cbranch_scc1 .LBB175_51
; %bb.52:                               ;   in Loop: Header=BB175_47 Depth=1
	buffer_store_dword v3, off, s[0:3], 0
	buffer_store_dword v4, off, s[0:3], 0 offset:4
	s_branch .LBB175_46
.LBB175_53:
	s_mov_b64 s[12:13], 0
.LBB175_54:
	s_and_b64 vcc, exec, s[12:13]
	s_cbranch_vccz .LBB175_75
; %bb.55:
	v_mov_b32_e32 v1, 0x8000
	s_mov_b32 s13, 0
	s_waitcnt vmcnt(0)
	v_lshl_or_b32 v3, v0, 3, v1
	s_mov_b32 s12, s13
	s_mov_b32 s9, s13
	s_branch .LBB175_57
.LBB175_56:                             ;   in Loop: Header=BB175_57 Depth=1
	s_cmp_ge_i32 s9, s26
	s_cselect_b64 s[14:15], -1, 0
	s_add_i32 s12, s12, 1
	s_cmp_eq_u32 s12, 3
	s_cselect_b64 s[20:21], -1, 0
	s_or_b64 s[14:15], s[14:15], s[20:21]
	s_and_b64 vcc, exec, s[14:15]
	s_cbranch_vccnz .LBB175_75
.LBB175_57:                             ; =>This Loop Header: Depth=1
                                        ;     Child Loop BB175_60 Depth 2
                                        ;       Child Loop BB175_61 Depth 3
                                        ;       Child Loop BB175_64 Depth 3
                                        ;         Child Loop BB175_65 Depth 4
                                        ;       Child Loop BB175_69 Depth 3
                                        ;         Child Loop BB175_71 Depth 4
	s_lshl_b64 s[14:15], s[12:13], 2
	s_getpc_b64 s[20:21]
	s_add_u32 s20, s20, __const._ZL38rocblas_trsm_small_left_device_sharedBILi64ELi32ELb1E19rocblas_complex_numIfES1_PKS1_PS1_Ev13rocblas_fill_18rocblas_operation_17rocblas_diagonal_iiT3_T4_lilT5_lili.step_sizes@rel32@lo+4
	s_addc_u32 s21, s21, __const._ZL38rocblas_trsm_small_left_device_sharedBILi64ELi32ELb1E19rocblas_complex_numIfES1_PKS1_PS1_Ev13rocblas_fill_18rocblas_operation_17rocblas_diagonal_iiT3_T4_lilT5_lili.step_sizes@rel32@hi+12
	s_add_u32 s14, s20, s14
	s_addc_u32 s15, s21, s15
	s_load_dword s20, s[14:15], 0x0
	s_waitcnt lgkmcnt(0)
	s_add_i32 s21, s20, -1
	s_add_i32 s14, s21, s9
	s_cmp_ge_i32 s14, s26
	s_cbranch_scc1 .LBB175_56
; %bb.58:                               ;   in Loop: Header=BB175_57 Depth=1
	s_max_i32 s22, s20, 1
	v_lshl_add_u32 v4, s9, 9, v3
	s_lshl_b32 s23, s20, 9
	s_lshl_b32 s25, s9, 3
	;; [unrolled: 1-line block ×3, first 2 shown]
	s_mul_i32 s28, s9, 0x208
	s_mul_i32 s29, s20, 0x208
	s_branch .LBB175_60
.LBB175_59:                             ;   in Loop: Header=BB175_60 Depth=2
	s_add_i32 s9, s9, s20
	s_add_i32 s14, s21, s9
	;; [unrolled: 1-line block ×4, first 2 shown]
	s_cmp_ge_i32 s14, s26
	v_add_u32_e32 v4, s23, v4
	s_cbranch_scc1 .LBB175_56
.LBB175_60:                             ;   Parent Loop BB175_57 Depth=1
                                        ; =>  This Loop Header: Depth=2
                                        ;       Child Loop BB175_61 Depth 3
                                        ;       Child Loop BB175_64 Depth 3
                                        ;         Child Loop BB175_65 Depth 4
                                        ;       Child Loop BB175_69 Depth 3
                                        ;         Child Loop BB175_71 Depth 4
	s_mov_b32 s14, 0
	v_mov_b32_e32 v1, v4
	s_mov_b32 s15, s22
.LBB175_61:                             ;   Parent Loop BB175_57 Depth=1
                                        ;     Parent Loop BB175_60 Depth=2
                                        ; =>    This Inner Loop Header: Depth=3
	ds_read_b64 v[5:6], v1
	v_mov_b32_e32 v2, s14
	s_add_i32 s15, s15, -1
	s_add_i32 s14, s14, 8
	v_add_u32_e32 v1, 0x200, v1
	s_cmp_eq_u32 s15, 0
	s_waitcnt lgkmcnt(0)
	buffer_store_dword v6, v2, s[0:3], 0 offen offset:4
	buffer_store_dword v5, v2, s[0:3], 0 offen
	s_cbranch_scc0 .LBB175_61
; %bb.62:                               ;   in Loop: Header=BB175_60 Depth=2
	s_cmp_lt_i32 s9, 1
	s_cbranch_scc1 .LBB175_67
; %bb.63:                               ;   in Loop: Header=BB175_60 Depth=2
	s_mov_b32 s14, 0
	s_mov_b32 s15, s25
.LBB175_64:                             ;   Parent Loop BB175_57 Depth=1
                                        ;     Parent Loop BB175_60 Depth=2
                                        ; =>    This Loop Header: Depth=3
                                        ;         Child Loop BB175_65 Depth 4
	v_lshl_add_u32 v1, s14, 9, v58
	ds_read_b64 v[1:2], v1
	s_mov_b32 s30, 0
	s_mov_b32 s31, s15
	;; [unrolled: 1-line block ×3, first 2 shown]
.LBB175_65:                             ;   Parent Loop BB175_57 Depth=1
                                        ;     Parent Loop BB175_60 Depth=2
                                        ;       Parent Loop BB175_64 Depth=3
                                        ; =>      This Inner Loop Header: Depth=4
	v_mov_b32_e32 v7, s30
	buffer_load_dword v8, v7, s[0:3], 0 offen
	buffer_load_dword v9, v7, s[0:3], 0 offen offset:4
	v_mov_b32_e32 v5, s31
	ds_read_b64 v[5:6], v5
	s_add_i32 s33, s33, -1
	s_add_i32 s31, s31, 8
	s_add_i32 s30, s30, 8
	s_cmp_eq_u32 s33, 0
	s_waitcnt lgkmcnt(0)
	v_mul_f32_e32 v10, v6, v2
	v_mul_f32_e32 v6, v6, v1
	v_fma_f32 v10, v5, v1, -v10
	v_fmac_f32_e32 v6, v5, v2
	s_waitcnt vmcnt(1)
	v_sub_f32_e32 v5, v8, v10
	s_waitcnt vmcnt(0)
	v_sub_f32_e32 v6, v9, v6
	buffer_store_dword v5, v7, s[0:3], 0 offen
	buffer_store_dword v6, v7, s[0:3], 0 offen offset:4
	s_cbranch_scc0 .LBB175_65
; %bb.66:                               ;   in Loop: Header=BB175_64 Depth=3
	s_add_i32 s14, s14, 1
	s_addk_i32 s15, 0x200
	s_cmp_eq_u32 s14, s9
	s_cbranch_scc0 .LBB175_64
.LBB175_67:                             ;   in Loop: Header=BB175_60 Depth=2
	s_mov_b32 s30, 0
	s_mov_b32 s31, s28
	s_branch .LBB175_69
.LBB175_68:                             ;   in Loop: Header=BB175_69 Depth=3
	s_add_i32 s14, s30, s9
	s_mul_i32 s15, s14, 0x208
	v_mov_b32_e32 v5, s15
	ds_read_b64 v[5:6], v5
	s_lshl_b32 s15, s30, 3
	s_add_i32 s30, s30, 1
	s_add_i32 s31, s31, 8
	v_mov_b32_e32 v9, s15
	s_waitcnt vmcnt(0) lgkmcnt(0)
	v_mul_f32_e32 v7, v6, v2
	v_mul_f32_e32 v8, v5, v2
	v_fma_f32 v7, v5, v1, -v7
	v_fmac_f32_e32 v8, v6, v1
	v_lshl_add_u32 v1, s14, 9, v58
	s_cmp_eq_u32 s30, s22
	buffer_store_dword v7, v9, s[0:3], 0 offen
	buffer_store_dword v8, v9, s[0:3], 0 offen offset:4
	ds_write_b64 v1, v[7:8]
	s_cbranch_scc1 .LBB175_59
.LBB175_69:                             ;   Parent Loop BB175_57 Depth=1
                                        ;     Parent Loop BB175_60 Depth=2
                                        ; =>    This Loop Header: Depth=3
                                        ;         Child Loop BB175_71 Depth 4
	s_cmp_lg_u32 s30, 0
	s_cbranch_scc0 .LBB175_73
; %bb.70:                               ;   in Loop: Header=BB175_69 Depth=3
	s_lshl_b32 s14, s30, 3
	v_mov_b32_e32 v5, s14
	buffer_load_dword v1, v5, s[0:3], 0 offen
	buffer_load_dword v2, v5, s[0:3], 0 offen offset:4
	s_mov_b32 s14, 0
	s_mov_b32 s15, s31
	;; [unrolled: 1-line block ×3, first 2 shown]
.LBB175_71:                             ;   Parent Loop BB175_57 Depth=1
                                        ;     Parent Loop BB175_60 Depth=2
                                        ;       Parent Loop BB175_69 Depth=3
                                        ; =>      This Inner Loop Header: Depth=4
	v_mov_b32_e32 v6, s14
	buffer_load_dword v8, v6, s[0:3], 0 offen offset:4
	buffer_load_dword v9, v6, s[0:3], 0 offen
	v_mov_b32_e32 v6, s15
	ds_read_b64 v[6:7], v6
	s_add_i32 s33, s33, -1
	s_addk_i32 s15, 0x200
	s_add_i32 s14, s14, 8
	s_cmp_eq_u32 s33, 0
	s_waitcnt vmcnt(1) lgkmcnt(0)
	v_mul_f32_e32 v10, v7, v8
	v_mul_f32_e32 v8, v6, v8
	s_waitcnt vmcnt(0)
	v_fma_f32 v6, v6, v9, -v10
	v_fmac_f32_e32 v8, v7, v9
	v_sub_f32_e32 v1, v1, v6
	v_sub_f32_e32 v2, v2, v8
	buffer_store_dword v1, v5, s[0:3], 0 offen
	buffer_store_dword v2, v5, s[0:3], 0 offen offset:4
	s_cbranch_scc0 .LBB175_71
; %bb.72:                               ;   in Loop: Header=BB175_69 Depth=3
	s_branch .LBB175_68
.LBB175_73:                             ;   in Loop: Header=BB175_69 Depth=3
                                        ; implicit-def: $vgpr1
                                        ; implicit-def: $vgpr2
	s_cbranch_execz .LBB175_68
; %bb.74:                               ;   in Loop: Header=BB175_69 Depth=3
	buffer_load_dword v1, off, s[0:3], 0
	buffer_load_dword v2, off, s[0:3], 0 offset:4
	s_branch .LBB175_68
.LBB175_75:
	s_waitcnt lgkmcnt(0)
	; wave barrier
	s_and_saveexec_b64 s[12:13], s[4:5]
	s_cbranch_execz .LBB175_79
; %bb.76:
	s_andn2_b64 vcc, exec, s[6:7]
	s_cbranch_vccnz .LBB175_79
; %bb.77:
	s_lshl_b64 s[4:5], s[18:19], 3
	s_add_u32 s6, s10, s4
	s_addc_u32 s7, s11, s5
	s_lshl_b64 s[4:5], s[16:17], 3
	s_add_u32 s9, s6, s4
	s_addc_u32 s10, s7, s5
	s_waitcnt vmcnt(0)
	v_mad_i64_i32 v[1:2], s[6:7], s24, v0, 0
	s_mul_hi_i32 s5, s24, s8
	s_mul_i32 s4, s24, s8
	s_lshl_b64 s[4:5], s[4:5], 3
	s_add_u32 s4, s9, s4
	v_lshlrev_b64 v[1:2], 3, v[1:2]
	s_addc_u32 s5, s10, s5
	v_mov_b32_e32 v3, s5
	v_add_co_u32_e32 v1, vcc, s4, v1
	v_addc_co_u32_e32 v2, vcc, v3, v2, vcc
	v_mov_b32_e32 v3, 0x8000
	v_lshl_or_b32 v0, v0, 3, v3
.LBB175_78:                             ; =>This Inner Loop Header: Depth=1
	ds_read_b64 v[3:4], v0
	s_add_i32 s26, s26, -1
	v_add_u32_e32 v0, 0x200, v0
	s_cmp_lg_u32 s26, 0
	s_waitcnt lgkmcnt(0)
	global_store_dwordx2 v[1:2], v[3:4], off
	v_add_co_u32_e32 v1, vcc, 8, v1
	v_addc_co_u32_e32 v2, vcc, 0, v2, vcc
	s_cbranch_scc1 .LBB175_78
.LBB175_79:
	s_endpgm
	.section	.rodata,"a",@progbits
	.p2align	6, 0x0
	.amdhsa_kernel _ZL38rocblas_trsm_small_left_device_sharedBILi64ELi32ELb1E19rocblas_complex_numIfES1_PKS1_PS1_Ev13rocblas_fill_18rocblas_operation_17rocblas_diagonal_iiT3_T4_lilT5_lili
		.amdhsa_group_segment_fixed_size 65536
		.amdhsa_private_segment_fixed_size 288
		.amdhsa_kernarg_size 360
		.amdhsa_user_sgpr_count 6
		.amdhsa_user_sgpr_private_segment_buffer 1
		.amdhsa_user_sgpr_dispatch_ptr 0
		.amdhsa_user_sgpr_queue_ptr 0
		.amdhsa_user_sgpr_kernarg_segment_ptr 1
		.amdhsa_user_sgpr_dispatch_id 0
		.amdhsa_user_sgpr_flat_scratch_init 0
		.amdhsa_user_sgpr_private_segment_size 0
		.amdhsa_uses_dynamic_stack 0
		.amdhsa_system_sgpr_private_segment_wavefront_offset 1
		.amdhsa_system_sgpr_workgroup_id_x 1
		.amdhsa_system_sgpr_workgroup_id_y 0
		.amdhsa_system_sgpr_workgroup_id_z 1
		.amdhsa_system_sgpr_workgroup_info 0
		.amdhsa_system_vgpr_workitem_id 0
		.amdhsa_next_free_vgpr 256
		.amdhsa_next_free_sgpr 98
		.amdhsa_reserve_vcc 1
		.amdhsa_reserve_flat_scratch 0
		.amdhsa_float_round_mode_32 0
		.amdhsa_float_round_mode_16_64 0
		.amdhsa_float_denorm_mode_32 3
		.amdhsa_float_denorm_mode_16_64 3
		.amdhsa_dx10_clamp 1
		.amdhsa_ieee_mode 1
		.amdhsa_fp16_overflow 0
		.amdhsa_exception_fp_ieee_invalid_op 0
		.amdhsa_exception_fp_denorm_src 0
		.amdhsa_exception_fp_ieee_div_zero 0
		.amdhsa_exception_fp_ieee_overflow 0
		.amdhsa_exception_fp_ieee_underflow 0
		.amdhsa_exception_fp_ieee_inexact 0
		.amdhsa_exception_int_div_zero 0
	.end_amdhsa_kernel
	.section	.text._ZL38rocblas_trsm_small_left_device_sharedBILi64ELi32ELb1E19rocblas_complex_numIfES1_PKS1_PS1_Ev13rocblas_fill_18rocblas_operation_17rocblas_diagonal_iiT3_T4_lilT5_lili,"axG",@progbits,_ZL38rocblas_trsm_small_left_device_sharedBILi64ELi32ELb1E19rocblas_complex_numIfES1_PKS1_PS1_Ev13rocblas_fill_18rocblas_operation_17rocblas_diagonal_iiT3_T4_lilT5_lili,comdat
.Lfunc_end175:
	.size	_ZL38rocblas_trsm_small_left_device_sharedBILi64ELi32ELb1E19rocblas_complex_numIfES1_PKS1_PS1_Ev13rocblas_fill_18rocblas_operation_17rocblas_diagonal_iiT3_T4_lilT5_lili, .Lfunc_end175-_ZL38rocblas_trsm_small_left_device_sharedBILi64ELi32ELb1E19rocblas_complex_numIfES1_PKS1_PS1_Ev13rocblas_fill_18rocblas_operation_17rocblas_diagonal_iiT3_T4_lilT5_lili
                                        ; -- End function
	.set _ZL38rocblas_trsm_small_left_device_sharedBILi64ELi32ELb1E19rocblas_complex_numIfES1_PKS1_PS1_Ev13rocblas_fill_18rocblas_operation_17rocblas_diagonal_iiT3_T4_lilT5_lili.num_vgpr, 256
	.set _ZL38rocblas_trsm_small_left_device_sharedBILi64ELi32ELb1E19rocblas_complex_numIfES1_PKS1_PS1_Ev13rocblas_fill_18rocblas_operation_17rocblas_diagonal_iiT3_T4_lilT5_lili.num_agpr, 0
	.set _ZL38rocblas_trsm_small_left_device_sharedBILi64ELi32ELb1E19rocblas_complex_numIfES1_PKS1_PS1_Ev13rocblas_fill_18rocblas_operation_17rocblas_diagonal_iiT3_T4_lilT5_lili.numbered_sgpr, 44
	.set _ZL38rocblas_trsm_small_left_device_sharedBILi64ELi32ELb1E19rocblas_complex_numIfES1_PKS1_PS1_Ev13rocblas_fill_18rocblas_operation_17rocblas_diagonal_iiT3_T4_lilT5_lili.num_named_barrier, 0
	.set _ZL38rocblas_trsm_small_left_device_sharedBILi64ELi32ELb1E19rocblas_complex_numIfES1_PKS1_PS1_Ev13rocblas_fill_18rocblas_operation_17rocblas_diagonal_iiT3_T4_lilT5_lili.private_seg_size, 288
	.set _ZL38rocblas_trsm_small_left_device_sharedBILi64ELi32ELb1E19rocblas_complex_numIfES1_PKS1_PS1_Ev13rocblas_fill_18rocblas_operation_17rocblas_diagonal_iiT3_T4_lilT5_lili.uses_vcc, 1
	.set _ZL38rocblas_trsm_small_left_device_sharedBILi64ELi32ELb1E19rocblas_complex_numIfES1_PKS1_PS1_Ev13rocblas_fill_18rocblas_operation_17rocblas_diagonal_iiT3_T4_lilT5_lili.uses_flat_scratch, 0
	.set _ZL38rocblas_trsm_small_left_device_sharedBILi64ELi32ELb1E19rocblas_complex_numIfES1_PKS1_PS1_Ev13rocblas_fill_18rocblas_operation_17rocblas_diagonal_iiT3_T4_lilT5_lili.has_dyn_sized_stack, 0
	.set _ZL38rocblas_trsm_small_left_device_sharedBILi64ELi32ELb1E19rocblas_complex_numIfES1_PKS1_PS1_Ev13rocblas_fill_18rocblas_operation_17rocblas_diagonal_iiT3_T4_lilT5_lili.has_recursion, 0
	.set _ZL38rocblas_trsm_small_left_device_sharedBILi64ELi32ELb1E19rocblas_complex_numIfES1_PKS1_PS1_Ev13rocblas_fill_18rocblas_operation_17rocblas_diagonal_iiT3_T4_lilT5_lili.has_indirect_call, 0
	.section	.AMDGPU.csdata,"",@progbits
; Kernel info:
; codeLenInByte = 37300
; TotalNumSgprs: 48
; NumVgprs: 256
; ScratchSize: 288
; MemoryBound: 0
; FloatMode: 240
; IeeeMode: 1
; LDSByteSize: 65536 bytes/workgroup (compile time only)
; SGPRBlocks: 12
; VGPRBlocks: 63
; NumSGPRsForWavesPerEU: 102
; NumVGPRsForWavesPerEU: 256
; Occupancy: 1
; WaveLimiterHint : 1
; COMPUTE_PGM_RSRC2:SCRATCH_EN: 1
; COMPUTE_PGM_RSRC2:USER_SGPR: 6
; COMPUTE_PGM_RSRC2:TRAP_HANDLER: 0
; COMPUTE_PGM_RSRC2:TGID_X_EN: 1
; COMPUTE_PGM_RSRC2:TGID_Y_EN: 0
; COMPUTE_PGM_RSRC2:TGID_Z_EN: 1
; COMPUTE_PGM_RSRC2:TIDIG_COMP_CNT: 0
	.section	.text._ZL30rocblas_trsm_small_left_deviceILi64ELi32ELb1E19rocblas_complex_numIfES1_PKS1_PS1_Ev13rocblas_fill_18rocblas_operation_17rocblas_diagonal_iiT3_T4_lilT5_lili,"axG",@progbits,_ZL30rocblas_trsm_small_left_deviceILi64ELi32ELb1E19rocblas_complex_numIfES1_PKS1_PS1_Ev13rocblas_fill_18rocblas_operation_17rocblas_diagonal_iiT3_T4_lilT5_lili,comdat
	.globl	_ZL30rocblas_trsm_small_left_deviceILi64ELi32ELb1E19rocblas_complex_numIfES1_PKS1_PS1_Ev13rocblas_fill_18rocblas_operation_17rocblas_diagonal_iiT3_T4_lilT5_lili ; -- Begin function _ZL30rocblas_trsm_small_left_deviceILi64ELi32ELb1E19rocblas_complex_numIfES1_PKS1_PS1_Ev13rocblas_fill_18rocblas_operation_17rocblas_diagonal_iiT3_T4_lilT5_lili
	.p2align	8
	.type	_ZL30rocblas_trsm_small_left_deviceILi64ELi32ELb1E19rocblas_complex_numIfES1_PKS1_PS1_Ev13rocblas_fill_18rocblas_operation_17rocblas_diagonal_iiT3_T4_lilT5_lili,@function
_ZL30rocblas_trsm_small_left_deviceILi64ELi32ELb1E19rocblas_complex_numIfES1_PKS1_PS1_Ev13rocblas_fill_18rocblas_operation_17rocblas_diagonal_iiT3_T4_lilT5_lili: ; @_ZL30rocblas_trsm_small_left_deviceILi64ELi32ELb1E19rocblas_complex_numIfES1_PKS1_PS1_Ev13rocblas_fill_18rocblas_operation_17rocblas_diagonal_iiT3_T4_lilT5_lili
; %bb.0:
	s_add_u32 s0, s0, s8
	s_load_dwordx4 s[12:15], s[4:5], 0x4
	s_load_dwordx2 s[16:17], s[4:5], 0x14
	s_load_dwordx4 s[8:11], s[4:5], 0x38
	s_load_dwordx2 s[18:19], s[4:5], 0x48
	s_load_dword s27, s[4:5], 0x68
	s_addc_u32 s1, s1, 0
	s_waitcnt lgkmcnt(0)
	s_min_i32 s26, s14, 64
	v_cmp_gt_i32_e32 vcc, s26, v0
	s_and_saveexec_b64 s[20:21], vcc
	s_cbranch_execz .LBB176_15
; %bb.1:
	s_load_dword s24, s[4:5], 0x30
	s_load_dwordx4 s[28:31], s[4:5], 0x20
	s_mul_i32 s9, s9, s7
	s_mul_hi_u32 s14, s8, s7
	s_mul_i32 s8, s8, s7
	s_waitcnt lgkmcnt(0)
	s_ashr_i32 s25, s24, 31
	s_cmpk_lg_i32 s12, 0x71
	s_cselect_b64 s[22:23], -1, 0
	s_add_i32 s9, s14, s9
	s_lshl_b64 s[8:9], s[8:9], 3
	s_lshl_b64 s[30:31], s[30:31], 3
	s_add_u32 s8, s8, s30
	s_addc_u32 s9, s9, s31
	s_add_u32 s8, s28, s8
	v_lshlrev_b32_e32 v5, 3, v0
	s_addc_u32 s9, s29, s9
	v_mov_b32_e32 v1, s9
	v_add_co_u32_e32 v2, vcc, s8, v5
	v_addc_co_u32_e32 v3, vcc, 0, v1, vcc
	v_add_co_u32_e32 v1, vcc, 4, v2
	s_lshl_b64 s[8:9], s[24:25], 3
	v_addc_co_u32_e32 v2, vcc, 0, v3, vcc
	v_mov_b32_e32 v6, s9
	v_mov_b32_e32 v7, v5
	s_mov_b32 s9, s26
	s_branch .LBB176_3
.LBB176_2:                              ;   in Loop: Header=BB176_3 Depth=1
	global_load_dword v3, v[1:2], off offset:-4
	s_add_i32 s9, s9, -1
	v_add_co_u32_e32 v1, vcc, s8, v1
	v_addc_co_u32_e32 v2, vcc, v2, v6, vcc
	s_cmp_eq_u32 s9, 0
	s_waitcnt vmcnt(0)
	ds_write_b64 v7, v[3:4]
	v_add_u32_e32 v7, 0x200, v7
	s_cbranch_scc1 .LBB176_7
.LBB176_3:                              ; =>This Inner Loop Header: Depth=1
	s_mov_b64 s[24:25], -1
	s_and_b64 vcc, exec, s[22:23]
                                        ; implicit-def: $vgpr4
	s_cbranch_vccz .LBB176_5
; %bb.4:                                ;   in Loop: Header=BB176_3 Depth=1
	global_load_dword v4, v[1:2], off
	s_mov_b64 s[24:25], 0
.LBB176_5:                              ;   in Loop: Header=BB176_3 Depth=1
	s_andn2_b64 vcc, exec, s[24:25]
	s_cbranch_vccnz .LBB176_2
; %bb.6:                                ;   in Loop: Header=BB176_3 Depth=1
	global_load_dword v3, v[1:2], off
	s_waitcnt vmcnt(0)
	v_xor_b32_e32 v4, 0x80000000, v3
	s_branch .LBB176_2
.LBB176_7:
	s_cmpk_lg_i32 s13, 0x84
	v_lshlrev_b32_e32 v6, 9, v0
	s_mov_b64 s[8:9], -1
	s_cbranch_scc0 .LBB176_13
; %bb.8:
	v_add_u32_e32 v7, v5, v6
	ds_read_b64 v[1:2], v7
                                        ; implicit-def: $vgpr3
	s_waitcnt lgkmcnt(0)
	v_cmp_ngt_f32_e64 s[8:9], |v1|, |v2|
	s_and_saveexec_b64 s[22:23], s[8:9]
	s_xor_b64 s[8:9], exec, s[22:23]
	s_cbranch_execz .LBB176_10
; %bb.9:
	v_div_scale_f32 v3, s[22:23], v2, v2, v1
	v_div_scale_f32 v4, vcc, v1, v2, v1
	v_rcp_f32_e32 v8, v3
	v_fma_f32 v9, -v3, v8, 1.0
	v_fmac_f32_e32 v8, v9, v8
	v_mul_f32_e32 v9, v4, v8
	v_fma_f32 v10, -v3, v9, v4
	v_fmac_f32_e32 v9, v10, v8
	v_fma_f32 v3, -v3, v9, v4
	v_div_fmas_f32 v3, v3, v8, v9
	v_div_fixup_f32 v3, v3, v2, v1
	v_fmac_f32_e32 v2, v1, v3
	v_div_scale_f32 v1, s[22:23], v2, v2, 1.0
	v_div_scale_f32 v4, vcc, 1.0, v2, 1.0
	v_rcp_f32_e32 v8, v1
	v_fma_f32 v9, -v1, v8, 1.0
	v_fmac_f32_e32 v8, v9, v8
	v_mul_f32_e32 v9, v4, v8
	v_fma_f32 v10, -v1, v9, v4
	v_fmac_f32_e32 v9, v10, v8
	v_fma_f32 v1, -v1, v9, v4
	v_div_fmas_f32 v1, v1, v8, v9
	v_add_f32_e32 v4, 0, v3
	v_fma_f32 v8, v3, 0, -1.0
	v_div_fixup_f32 v1, v1, v2, 1.0
	v_mul_f32_e32 v3, v4, v1
	v_mul_f32_e32 v4, v8, v1
                                        ; implicit-def: $vgpr1_vgpr2
.LBB176_10:
	s_andn2_saveexec_b64 s[8:9], s[8:9]
	s_cbranch_execz .LBB176_12
; %bb.11:
	v_div_scale_f32 v3, s[22:23], v1, v1, v2
	v_div_scale_f32 v4, vcc, v2, v1, v2
	v_rcp_f32_e32 v8, v3
	v_fma_f32 v9, -v3, v8, 1.0
	v_fmac_f32_e32 v8, v9, v8
	v_mul_f32_e32 v9, v4, v8
	v_fma_f32 v10, -v3, v9, v4
	v_fmac_f32_e32 v9, v10, v8
	v_fma_f32 v3, -v3, v9, v4
	v_div_fmas_f32 v3, v3, v8, v9
	v_div_fixup_f32 v4, v3, v1, v2
	v_fmac_f32_e32 v1, v2, v4
	v_div_scale_f32 v2, s[22:23], v1, v1, 1.0
	v_div_scale_f32 v3, vcc, 1.0, v1, 1.0
	v_rcp_f32_e32 v8, v2
	v_fma_f32 v9, -v2, v8, 1.0
	v_fmac_f32_e32 v8, v9, v8
	v_mul_f32_e32 v9, v3, v8
	v_fma_f32 v10, -v2, v9, v3
	v_fmac_f32_e32 v9, v10, v8
	v_fma_f32 v2, -v2, v9, v3
	v_div_fmas_f32 v2, v2, v8, v9
	v_fma_f32 v3, v4, 0, 1.0
	v_div_fixup_f32 v1, v2, v1, 1.0
	v_mul_f32_e32 v3, v3, v1
	v_mul_f32_e64 v4, -v4, v1
.LBB176_12:
	s_or_b64 exec, exec, s[8:9]
	s_mov_b64 s[8:9], 0
	ds_write_b64 v7, v[3:4]
.LBB176_13:
	s_and_b64 vcc, exec, s[8:9]
	s_cbranch_vccz .LBB176_15
; %bb.14:
	v_add_u32_e32 v3, v5, v6
	v_mov_b32_e32 v1, 1.0
	v_mov_b32_e32 v2, 0
	ds_write_b64 v3, v[1:2]
.LBB176_15:
	s_or_b64 exec, exec, s[20:21]
	s_lshl_b32 s8, s6, 6
	s_add_i32 s27, s27, -1
	s_sub_i32 s9, s15, s8
	s_cmp_ge_u32 s6, s27
	s_cselect_b32 s6, s9, 64
	v_cmp_gt_i32_e32 vcc, s6, v0
	s_waitcnt lgkmcnt(0)
	; wave barrier
	s_and_saveexec_b64 s[14:15], vcc
	s_cbranch_execz .LBB176_58
; %bb.16:
	s_load_dwordx2 s[14:15], s[4:5], 0x58
	s_load_dword s6, s[4:5], 0x50
	v_add_u32_e32 v0, s8, v0
	s_waitcnt lgkmcnt(0)
	s_mul_i32 s5, s15, s7
	s_mul_hi_u32 s8, s14, s7
	s_mul_i32 s4, s14, s7
	s_add_i32 s5, s8, s5
	v_mad_i64_i32 v[0:1], s[6:7], s6, v0, 0
	s_lshl_b64 s[4:5], s[4:5], 3
	s_add_u32 s8, s10, s4
	s_addc_u32 s9, s11, s5
	s_lshl_b64 s[6:7], s[18:19], 3
	s_add_u32 s8, s8, s6
	v_lshlrev_b64 v[0:1], 3, v[0:1]
	s_addc_u32 s9, s9, s7
	v_mov_b32_e32 v2, s9
	v_add_co_u32_e32 v4, vcc, s8, v0
	v_addc_co_u32_e32 v5, vcc, v2, v1, vcc
	s_cmpk_eq_i32 s12, 0x6f
	s_mov_b64 s[8:9], -1
	s_cbranch_scc1 .LBB176_37
; %bb.17:
	s_add_i32 s22, s26, -1
	s_add_u32 s8, s10, s6
	s_addc_u32 s9, s11, s7
	s_add_u32 s8, s8, s4
	s_addc_u32 s9, s9, s5
	v_mov_b32_e32 v2, s9
	v_add_co_u32_e32 v3, vcc, s8, v0
	v_addc_co_u32_e32 v2, vcc, v2, v1, vcc
	v_add_co_u32_e32 v6, vcc, 4, v3
	s_lshl_b32 s23, s26, 3
	s_mov_b32 s9, 0
	v_addc_co_u32_e32 v7, vcc, 0, v2, vcc
	s_add_i32 s23, s23, -8
	s_mov_b32 s8, s9
	s_mov_b32 s12, s22
	s_branch .LBB176_19
.LBB176_18:                             ;   in Loop: Header=BB176_19 Depth=1
	s_cmp_lt_i32 s12, 0
	s_cselect_b64 s[14:15], -1, 0
	s_add_i32 s8, s8, 1
	s_cmp_eq_u32 s8, 3
	s_cselect_b64 s[18:19], -1, 0
	s_or_b64 s[14:15], s[14:15], s[18:19]
	s_andn2_b64 vcc, exec, s[14:15]
	s_cbranch_vccz .LBB176_36
.LBB176_19:                             ; =>This Loop Header: Depth=1
                                        ;     Child Loop BB176_22 Depth 2
                                        ;       Child Loop BB176_23 Depth 3
                                        ;       Child Loop BB176_25 Depth 3
                                        ;         Child Loop BB176_26 Depth 4
                                        ;       Child Loop BB176_30 Depth 3
                                        ;         Child Loop BB176_32 Depth 4
	s_lshl_b64 s[14:15], s[8:9], 2
	s_getpc_b64 s[18:19]
	s_add_u32 s18, s18, __const._ZL30rocblas_trsm_small_left_deviceILi64ELi32ELb1E19rocblas_complex_numIfES1_PKS1_PS1_Ev13rocblas_fill_18rocblas_operation_17rocblas_diagonal_iiT3_T4_lilT5_lili.step_sizes@rel32@lo+4
	s_addc_u32 s19, s19, __const._ZL30rocblas_trsm_small_left_deviceILi64ELi32ELb1E19rocblas_complex_numIfES1_PKS1_PS1_Ev13rocblas_fill_18rocblas_operation_17rocblas_diagonal_iiT3_T4_lilT5_lili.step_sizes@rel32@hi+12
	s_add_u32 s14, s18, s14
	s_addc_u32 s15, s19, s15
	s_load_dword s24, s[14:15], 0x0
	s_waitcnt lgkmcnt(0)
	s_add_i32 s25, s24, -1
	s_cmp_lt_i32 s12, s25
	s_cbranch_scc1 .LBB176_18
; %bb.20:                               ;   in Loop: Header=BB176_19 Depth=1
	s_lshl_b32 s13, s12, 9
	s_add_i32 s28, s23, s13
	s_lshl_b32 s13, s24, 9
	s_max_i32 s27, s24, 1
	s_sub_i32 s29, 0, s13
	s_mul_i32 s30, s12, 0x208
	s_mul_i32 s31, s24, 0xfffffdf8
	s_branch .LBB176_22
.LBB176_21:                             ;   in Loop: Header=BB176_22 Depth=2
	s_sub_i32 s12, s12, s24
	s_add_i32 s28, s28, s29
	s_add_i32 s30, s30, s31
	s_cmp_lt_i32 s12, s25
	s_cbranch_scc1 .LBB176_18
.LBB176_22:                             ;   Parent Loop BB176_19 Depth=1
                                        ; =>  This Loop Header: Depth=2
                                        ;       Child Loop BB176_23 Depth 3
                                        ;       Child Loop BB176_25 Depth 3
                                        ;         Child Loop BB176_26 Depth 4
                                        ;       Child Loop BB176_30 Depth 3
                                        ;         Child Loop BB176_32 Depth 4
	s_ashr_i32 s13, s12, 31
	s_lshl_b64 s[14:15], s[12:13], 3
	v_mov_b32_e32 v3, s15
	v_add_co_u32_e32 v2, vcc, s14, v6
	v_addc_co_u32_e32 v3, vcc, v7, v3, vcc
	s_mov_b32 s14, 0
	s_mov_b32 s15, s27
.LBB176_23:                             ;   Parent Loop BB176_19 Depth=1
                                        ;     Parent Loop BB176_22 Depth=2
                                        ; =>    This Inner Loop Header: Depth=3
	global_load_dwordx2 v[8:9], v[2:3], off offset:-4
	v_mov_b32_e32 v10, s14
	s_add_i32 s15, s15, -1
	v_add_co_u32_e32 v2, vcc, -8, v2
	s_add_i32 s14, s14, 8
	v_addc_co_u32_e32 v3, vcc, -1, v3, vcc
	s_cmp_eq_u32 s15, 0
	s_waitcnt vmcnt(0)
	v_mul_f32_e32 v11, s17, v9
	v_mul_f32_e32 v9, s16, v9
	v_fma_f32 v11, v8, s16, -v11
	v_fmac_f32_e32 v9, s17, v8
	buffer_store_dword v11, v10, s[0:3], 0 offen
	buffer_store_dword v9, v10, s[0:3], 0 offen offset:4
	s_cbranch_scc0 .LBB176_23
; %bb.24:                               ;   in Loop: Header=BB176_22 Depth=2
	s_cmp_le_i32 s22, s12
	s_mov_b32 s18, s28
	s_mov_b32 s14, s22
	s_cbranch_scc1 .LBB176_28
.LBB176_25:                             ;   Parent Loop BB176_19 Depth=1
                                        ;     Parent Loop BB176_22 Depth=2
                                        ; =>    This Loop Header: Depth=3
                                        ;         Child Loop BB176_26 Depth 4
	s_ashr_i32 s15, s14, 31
	s_lshl_b64 s[20:21], s[14:15], 3
	v_mov_b32_e32 v3, s21
	v_add_co_u32_e32 v2, vcc, s20, v4
	v_addc_co_u32_e32 v3, vcc, v5, v3, vcc
	global_load_dwordx2 v[2:3], v[2:3], off
	s_mov_b32 s15, 0
	s_mov_b32 s19, s18
	;; [unrolled: 1-line block ×3, first 2 shown]
.LBB176_26:                             ;   Parent Loop BB176_19 Depth=1
                                        ;     Parent Loop BB176_22 Depth=2
                                        ;       Parent Loop BB176_25 Depth=3
                                        ; =>      This Inner Loop Header: Depth=4
	v_mov_b32_e32 v10, s15
	buffer_load_dword v11, v10, s[0:3], 0 offen
	buffer_load_dword v12, v10, s[0:3], 0 offen offset:4
	v_mov_b32_e32 v8, s19
	ds_read_b64 v[8:9], v8
	s_add_i32 s20, s20, -1
	s_addk_i32 s19, 0xfe00
	s_add_i32 s15, s15, 8
	s_cmp_eq_u32 s20, 0
	s_waitcnt vmcnt(2) lgkmcnt(0)
	v_mul_f32_e32 v13, v9, v3
	v_mul_f32_e32 v9, v9, v2
	v_fma_f32 v13, v8, v2, -v13
	v_fmac_f32_e32 v9, v8, v3
	s_waitcnt vmcnt(1)
	v_sub_f32_e32 v8, v11, v13
	s_waitcnt vmcnt(0)
	v_sub_f32_e32 v9, v12, v9
	buffer_store_dword v8, v10, s[0:3], 0 offen
	buffer_store_dword v9, v10, s[0:3], 0 offen offset:4
	s_cbranch_scc0 .LBB176_26
; %bb.27:                               ;   in Loop: Header=BB176_25 Depth=3
	s_add_i32 s14, s14, -1
	s_add_i32 s18, s18, -8
	s_cmp_le_i32 s14, s12
	s_cbranch_scc0 .LBB176_25
.LBB176_28:                             ;   in Loop: Header=BB176_22 Depth=2
	s_mov_b32 s33, 0
	s_mov_b32 s34, s30
	s_branch .LBB176_30
.LBB176_29:                             ;   in Loop: Header=BB176_30 Depth=3
	s_mulk_i32 s18, 0x208
	v_mov_b32_e32 v8, s18
	ds_read_b64 v[8:9], v8
	s_lshl_b64 s[14:15], s[14:15], 3
	s_lshl_b32 s18, s33, 3
	s_add_i32 s33, s33, 1
	s_addk_i32 s34, 0xfe00
	s_waitcnt vmcnt(0) lgkmcnt(0)
	v_mul_f32_e32 v10, v9, v3
	v_mul_f32_e32 v11, v8, v3
	v_fma_f32 v10, v8, v2, -v10
	v_fmac_f32_e32 v11, v9, v2
	v_mov_b32_e32 v3, s15
	v_add_co_u32_e32 v2, vcc, s14, v4
	v_mov_b32_e32 v12, s18
	v_addc_co_u32_e32 v3, vcc, v5, v3, vcc
	s_cmp_eq_u32 s33, s27
	buffer_store_dword v10, v12, s[0:3], 0 offen
	buffer_store_dword v11, v12, s[0:3], 0 offen offset:4
	global_store_dwordx2 v[2:3], v[10:11], off
	s_cbranch_scc1 .LBB176_21
.LBB176_30:                             ;   Parent Loop BB176_19 Depth=1
                                        ;     Parent Loop BB176_22 Depth=2
                                        ; =>    This Loop Header: Depth=3
                                        ;         Child Loop BB176_32 Depth 4
	s_cmp_lg_u32 s33, 0
	s_cbranch_scc0 .LBB176_34
; %bb.31:                               ;   in Loop: Header=BB176_30 Depth=3
	s_lshl_b32 s14, s33, 3
	v_mov_b32_e32 v8, s14
	buffer_load_dword v2, v8, s[0:3], 0 offen
	buffer_load_dword v3, v8, s[0:3], 0 offen offset:4
	s_mov_b32 s14, 0
	s_mov_b32 s15, s34
	s_mov_b32 s18, s33
.LBB176_32:                             ;   Parent Loop BB176_19 Depth=1
                                        ;     Parent Loop BB176_22 Depth=2
                                        ;       Parent Loop BB176_30 Depth=3
                                        ; =>      This Inner Loop Header: Depth=4
	v_mov_b32_e32 v9, s14
	buffer_load_dword v11, v9, s[0:3], 0 offen offset:4
	buffer_load_dword v12, v9, s[0:3], 0 offen
	v_mov_b32_e32 v9, s15
	ds_read_b64 v[9:10], v9
	s_add_i32 s18, s18, -1
	s_add_i32 s15, s15, -8
	s_add_i32 s14, s14, 8
	s_cmp_eq_u32 s18, 0
	s_waitcnt vmcnt(1) lgkmcnt(0)
	v_mul_f32_e32 v13, v10, v11
	v_mul_f32_e32 v11, v9, v11
	s_waitcnt vmcnt(0)
	v_fma_f32 v9, v9, v12, -v13
	v_fmac_f32_e32 v11, v10, v12
	v_sub_f32_e32 v2, v2, v9
	v_sub_f32_e32 v3, v3, v11
	buffer_store_dword v2, v8, s[0:3], 0 offen
	buffer_store_dword v3, v8, s[0:3], 0 offen offset:4
	s_cbranch_scc0 .LBB176_32
; %bb.33:                               ;   in Loop: Header=BB176_30 Depth=3
	s_sub_i32 s18, s12, s33
	s_ashr_i32 s19, s18, 31
	s_mov_b64 s[14:15], s[18:19]
	s_branch .LBB176_29
.LBB176_34:                             ;   in Loop: Header=BB176_30 Depth=3
                                        ; implicit-def: $vgpr2
                                        ; implicit-def: $vgpr3
                                        ; implicit-def: $sgpr18
                                        ; implicit-def: $sgpr14_sgpr15
	s_cbranch_execz .LBB176_29
; %bb.35:                               ;   in Loop: Header=BB176_30 Depth=3
	buffer_load_dword v2, off, s[0:3], 0
	buffer_load_dword v3, off, s[0:3], 0 offset:4
	s_mov_b64 s[14:15], s[12:13]
	s_mov_b32 s18, s12
	s_branch .LBB176_29
.LBB176_36:
	s_mov_b64 s[8:9], 0
.LBB176_37:
	s_and_b64 vcc, exec, s[8:9]
	s_cbranch_vccz .LBB176_58
; %bb.38:
	s_add_u32 s6, s10, s6
	s_addc_u32 s7, s11, s7
	s_add_u32 s4, s6, s4
	s_addc_u32 s5, s7, s5
	v_mov_b32_e32 v2, s5
	v_add_co_u32_e32 v0, vcc, s4, v0
	v_addc_co_u32_e32 v1, vcc, v2, v1, vcc
	v_add_co_u32_e32 v6, vcc, 4, v0
	s_mov_b32 s5, 0
	v_addc_co_u32_e32 v7, vcc, 0, v1, vcc
	s_mov_b32 s6, s5
	s_mov_b32 s8, s5
	s_branch .LBB176_40
.LBB176_39:                             ;   in Loop: Header=BB176_40 Depth=1
	s_cmp_ge_i32 s6, s26
	s_cselect_b64 s[10:11], -1, 0
	s_add_i32 s8, s8, 1
	s_cmp_eq_u32 s8, 3
	s_cselect_b64 s[12:13], -1, 0
	s_or_b64 s[10:11], s[10:11], s[12:13]
	s_and_b64 vcc, exec, s[10:11]
	s_cbranch_vccnz .LBB176_58
.LBB176_40:                             ; =>This Loop Header: Depth=1
                                        ;     Child Loop BB176_43 Depth 2
                                        ;       Child Loop BB176_44 Depth 3
                                        ;       Child Loop BB176_47 Depth 3
                                        ;         Child Loop BB176_48 Depth 4
                                        ;       Child Loop BB176_52 Depth 3
                                        ;         Child Loop BB176_54 Depth 4
	s_mov_b32 s9, s5
	s_lshl_b64 s[10:11], s[8:9], 2
	s_getpc_b64 s[12:13]
	s_add_u32 s12, s12, __const._ZL30rocblas_trsm_small_left_deviceILi64ELi32ELb1E19rocblas_complex_numIfES1_PKS1_PS1_Ev13rocblas_fill_18rocblas_operation_17rocblas_diagonal_iiT3_T4_lilT5_lili.step_sizes@rel32@lo+4
	s_addc_u32 s13, s13, __const._ZL30rocblas_trsm_small_left_deviceILi64ELi32ELb1E19rocblas_complex_numIfES1_PKS1_PS1_Ev13rocblas_fill_18rocblas_operation_17rocblas_diagonal_iiT3_T4_lilT5_lili.step_sizes@rel32@hi+12
	s_add_u32 s10, s12, s10
	s_addc_u32 s11, s13, s11
	s_load_dword s10, s[10:11], 0x0
	s_waitcnt lgkmcnt(0)
	s_add_i32 s9, s10, -1
	s_add_i32 s4, s9, s6
	s_cmp_ge_i32 s4, s26
	s_cbranch_scc1 .LBB176_39
; %bb.41:                               ;   in Loop: Header=BB176_40 Depth=1
	s_ashr_i32 s7, s6, 31
	s_lshl_b64 s[12:13], s[6:7], 3
	s_ashr_i32 s11, s10, 31
	v_mov_b32_e32 v1, s13
	v_add_co_u32_e32 v0, vcc, s12, v6
	s_lshl_b64 s[12:13], s[10:11], 3
	s_max_i32 s18, s10, 1
	v_addc_co_u32_e32 v1, vcc, v7, v1, vcc
	s_lshl_b32 s7, s6, 3
	s_lshl_b32 s11, s10, 3
	s_mul_i32 s19, s6, 0x208
	s_mul_i32 s20, s10, 0x208
	v_mov_b32_e32 v8, s13
	s_branch .LBB176_43
.LBB176_42:                             ;   in Loop: Header=BB176_43 Depth=2
	s_add_i32 s6, s6, s10
	s_add_i32 s4, s9, s6
	;; [unrolled: 1-line block ×4, first 2 shown]
	v_add_co_u32_e32 v0, vcc, s12, v0
	s_cmp_ge_i32 s4, s26
	v_addc_co_u32_e32 v1, vcc, v1, v8, vcc
	s_cbranch_scc1 .LBB176_39
.LBB176_43:                             ;   Parent Loop BB176_40 Depth=1
                                        ; =>  This Loop Header: Depth=2
                                        ;       Child Loop BB176_44 Depth 3
                                        ;       Child Loop BB176_47 Depth 3
                                        ;         Child Loop BB176_48 Depth 4
                                        ;       Child Loop BB176_52 Depth 3
                                        ;         Child Loop BB176_54 Depth 4
	v_mov_b32_e32 v3, v1
	s_mov_b32 s4, 0
	v_mov_b32_e32 v2, v0
	s_mov_b32 s13, s18
.LBB176_44:                             ;   Parent Loop BB176_40 Depth=1
                                        ;     Parent Loop BB176_43 Depth=2
                                        ; =>    This Inner Loop Header: Depth=3
	global_load_dwordx2 v[9:10], v[2:3], off offset:-4
	v_mov_b32_e32 v11, s4
	s_add_i32 s13, s13, -1
	v_add_co_u32_e32 v2, vcc, 8, v2
	s_add_i32 s4, s4, 8
	v_addc_co_u32_e32 v3, vcc, 0, v3, vcc
	s_cmp_eq_u32 s13, 0
	s_waitcnt vmcnt(0)
	v_mul_f32_e32 v12, s17, v10
	v_mul_f32_e32 v10, s16, v10
	v_fma_f32 v12, v9, s16, -v12
	v_fmac_f32_e32 v10, s17, v9
	buffer_store_dword v12, v11, s[0:3], 0 offen
	buffer_store_dword v10, v11, s[0:3], 0 offen offset:4
	s_cbranch_scc0 .LBB176_44
; %bb.45:                               ;   in Loop: Header=BB176_43 Depth=2
	s_cmp_lt_i32 s6, 1
	s_cbranch_scc1 .LBB176_50
; %bb.46:                               ;   in Loop: Header=BB176_43 Depth=2
	s_mov_b32 s4, 0
	s_mov_b32 s13, s7
.LBB176_47:                             ;   Parent Loop BB176_40 Depth=1
                                        ;     Parent Loop BB176_43 Depth=2
                                        ; =>    This Loop Header: Depth=3
                                        ;         Child Loop BB176_48 Depth 4
	s_lshl_b64 s[14:15], s[4:5], 3
	v_mov_b32_e32 v3, s15
	v_add_co_u32_e32 v2, vcc, s14, v4
	v_addc_co_u32_e32 v3, vcc, v5, v3, vcc
	global_load_dwordx2 v[2:3], v[2:3], off
	s_mov_b32 s14, 0
	s_mov_b32 s15, s13
	;; [unrolled: 1-line block ×3, first 2 shown]
.LBB176_48:                             ;   Parent Loop BB176_40 Depth=1
                                        ;     Parent Loop BB176_43 Depth=2
                                        ;       Parent Loop BB176_47 Depth=3
                                        ; =>      This Inner Loop Header: Depth=4
	v_mov_b32_e32 v11, s14
	buffer_load_dword v12, v11, s[0:3], 0 offen
	buffer_load_dword v13, v11, s[0:3], 0 offen offset:4
	v_mov_b32_e32 v9, s15
	ds_read_b64 v[9:10], v9
	s_add_i32 s21, s21, -1
	s_add_i32 s15, s15, 8
	s_add_i32 s14, s14, 8
	s_cmp_eq_u32 s21, 0
	s_waitcnt vmcnt(2) lgkmcnt(0)
	v_mul_f32_e32 v14, v10, v3
	v_mul_f32_e32 v10, v10, v2
	v_fma_f32 v14, v9, v2, -v14
	v_fmac_f32_e32 v10, v9, v3
	s_waitcnt vmcnt(1)
	v_sub_f32_e32 v9, v12, v14
	s_waitcnt vmcnt(0)
	v_sub_f32_e32 v10, v13, v10
	buffer_store_dword v9, v11, s[0:3], 0 offen
	buffer_store_dword v10, v11, s[0:3], 0 offen offset:4
	s_cbranch_scc0 .LBB176_48
; %bb.49:                               ;   in Loop: Header=BB176_47 Depth=3
	s_add_i32 s4, s4, 1
	s_addk_i32 s13, 0x200
	s_cmp_eq_u32 s4, s6
	s_cbranch_scc0 .LBB176_47
.LBB176_50:                             ;   in Loop: Header=BB176_43 Depth=2
	s_mov_b32 s4, 0
	s_mov_b32 s13, s19
	s_branch .LBB176_52
.LBB176_51:                             ;   in Loop: Header=BB176_52 Depth=3
	s_add_i32 s14, s4, s6
	s_mul_i32 s15, s14, 0x208
	v_mov_b32_e32 v9, s15
	ds_read_b64 v[9:10], v9
	s_lshl_b32 s15, s4, 3
	v_mov_b32_e32 v13, s15
	s_ashr_i32 s15, s14, 31
	s_lshl_b64 s[14:15], s[14:15], 3
	s_waitcnt vmcnt(0) lgkmcnt(0)
	v_mul_f32_e32 v11, v10, v3
	v_mul_f32_e32 v12, v9, v3
	v_fma_f32 v11, v9, v2, -v11
	v_fmac_f32_e32 v12, v10, v2
	v_mov_b32_e32 v3, s15
	v_add_co_u32_e32 v2, vcc, s14, v4
	s_add_i32 s4, s4, 1
	s_add_i32 s13, s13, 8
	v_addc_co_u32_e32 v3, vcc, v5, v3, vcc
	s_cmp_eq_u32 s4, s18
	buffer_store_dword v11, v13, s[0:3], 0 offen
	buffer_store_dword v12, v13, s[0:3], 0 offen offset:4
	global_store_dwordx2 v[2:3], v[11:12], off
	s_cbranch_scc1 .LBB176_42
.LBB176_52:                             ;   Parent Loop BB176_40 Depth=1
                                        ;     Parent Loop BB176_43 Depth=2
                                        ; =>    This Loop Header: Depth=3
                                        ;         Child Loop BB176_54 Depth 4
	s_cmp_lg_u32 s4, 0
	s_cbranch_scc0 .LBB176_56
; %bb.53:                               ;   in Loop: Header=BB176_52 Depth=3
	s_lshl_b32 s14, s4, 3
	v_mov_b32_e32 v9, s14
	buffer_load_dword v2, v9, s[0:3], 0 offen
	buffer_load_dword v3, v9, s[0:3], 0 offen offset:4
	s_mov_b32 s14, 0
	s_mov_b32 s15, s13
	;; [unrolled: 1-line block ×3, first 2 shown]
.LBB176_54:                             ;   Parent Loop BB176_40 Depth=1
                                        ;     Parent Loop BB176_43 Depth=2
                                        ;       Parent Loop BB176_52 Depth=3
                                        ; =>      This Inner Loop Header: Depth=4
	v_mov_b32_e32 v10, s14
	buffer_load_dword v12, v10, s[0:3], 0 offen offset:4
	buffer_load_dword v13, v10, s[0:3], 0 offen
	v_mov_b32_e32 v10, s15
	ds_read_b64 v[10:11], v10
	s_add_i32 s21, s21, -1
	s_addk_i32 s15, 0x200
	s_add_i32 s14, s14, 8
	s_cmp_eq_u32 s21, 0
	s_waitcnt vmcnt(1) lgkmcnt(0)
	v_mul_f32_e32 v14, v11, v12
	v_mul_f32_e32 v12, v10, v12
	s_waitcnt vmcnt(0)
	v_fma_f32 v10, v10, v13, -v14
	v_fmac_f32_e32 v12, v11, v13
	v_sub_f32_e32 v2, v2, v10
	v_sub_f32_e32 v3, v3, v12
	buffer_store_dword v2, v9, s[0:3], 0 offen
	buffer_store_dword v3, v9, s[0:3], 0 offen offset:4
	s_cbranch_scc0 .LBB176_54
; %bb.55:                               ;   in Loop: Header=BB176_52 Depth=3
	s_branch .LBB176_51
.LBB176_56:                             ;   in Loop: Header=BB176_52 Depth=3
                                        ; implicit-def: $vgpr2
                                        ; implicit-def: $vgpr3
	s_cbranch_execz .LBB176_51
; %bb.57:                               ;   in Loop: Header=BB176_52 Depth=3
	buffer_load_dword v2, off, s[0:3], 0
	buffer_load_dword v3, off, s[0:3], 0 offset:4
	s_branch .LBB176_51
.LBB176_58:
	s_endpgm
	.section	.rodata,"a",@progbits
	.p2align	6, 0x0
	.amdhsa_kernel _ZL30rocblas_trsm_small_left_deviceILi64ELi32ELb1E19rocblas_complex_numIfES1_PKS1_PS1_Ev13rocblas_fill_18rocblas_operation_17rocblas_diagonal_iiT3_T4_lilT5_lili
		.amdhsa_group_segment_fixed_size 32768
		.amdhsa_private_segment_fixed_size 272
		.amdhsa_kernarg_size 360
		.amdhsa_user_sgpr_count 6
		.amdhsa_user_sgpr_private_segment_buffer 1
		.amdhsa_user_sgpr_dispatch_ptr 0
		.amdhsa_user_sgpr_queue_ptr 0
		.amdhsa_user_sgpr_kernarg_segment_ptr 1
		.amdhsa_user_sgpr_dispatch_id 0
		.amdhsa_user_sgpr_flat_scratch_init 0
		.amdhsa_user_sgpr_private_segment_size 0
		.amdhsa_uses_dynamic_stack 0
		.amdhsa_system_sgpr_private_segment_wavefront_offset 1
		.amdhsa_system_sgpr_workgroup_id_x 1
		.amdhsa_system_sgpr_workgroup_id_y 0
		.amdhsa_system_sgpr_workgroup_id_z 1
		.amdhsa_system_sgpr_workgroup_info 0
		.amdhsa_system_vgpr_workitem_id 0
		.amdhsa_next_free_vgpr 129
		.amdhsa_next_free_sgpr 98
		.amdhsa_reserve_vcc 1
		.amdhsa_reserve_flat_scratch 0
		.amdhsa_float_round_mode_32 0
		.amdhsa_float_round_mode_16_64 0
		.amdhsa_float_denorm_mode_32 3
		.amdhsa_float_denorm_mode_16_64 3
		.amdhsa_dx10_clamp 1
		.amdhsa_ieee_mode 1
		.amdhsa_fp16_overflow 0
		.amdhsa_exception_fp_ieee_invalid_op 0
		.amdhsa_exception_fp_denorm_src 0
		.amdhsa_exception_fp_ieee_div_zero 0
		.amdhsa_exception_fp_ieee_overflow 0
		.amdhsa_exception_fp_ieee_underflow 0
		.amdhsa_exception_fp_ieee_inexact 0
		.amdhsa_exception_int_div_zero 0
	.end_amdhsa_kernel
	.section	.text._ZL30rocblas_trsm_small_left_deviceILi64ELi32ELb1E19rocblas_complex_numIfES1_PKS1_PS1_Ev13rocblas_fill_18rocblas_operation_17rocblas_diagonal_iiT3_T4_lilT5_lili,"axG",@progbits,_ZL30rocblas_trsm_small_left_deviceILi64ELi32ELb1E19rocblas_complex_numIfES1_PKS1_PS1_Ev13rocblas_fill_18rocblas_operation_17rocblas_diagonal_iiT3_T4_lilT5_lili,comdat
.Lfunc_end176:
	.size	_ZL30rocblas_trsm_small_left_deviceILi64ELi32ELb1E19rocblas_complex_numIfES1_PKS1_PS1_Ev13rocblas_fill_18rocblas_operation_17rocblas_diagonal_iiT3_T4_lilT5_lili, .Lfunc_end176-_ZL30rocblas_trsm_small_left_deviceILi64ELi32ELb1E19rocblas_complex_numIfES1_PKS1_PS1_Ev13rocblas_fill_18rocblas_operation_17rocblas_diagonal_iiT3_T4_lilT5_lili
                                        ; -- End function
	.set _ZL30rocblas_trsm_small_left_deviceILi64ELi32ELb1E19rocblas_complex_numIfES1_PKS1_PS1_Ev13rocblas_fill_18rocblas_operation_17rocblas_diagonal_iiT3_T4_lilT5_lili.num_vgpr, 15
	.set _ZL30rocblas_trsm_small_left_deviceILi64ELi32ELb1E19rocblas_complex_numIfES1_PKS1_PS1_Ev13rocblas_fill_18rocblas_operation_17rocblas_diagonal_iiT3_T4_lilT5_lili.num_agpr, 0
	.set _ZL30rocblas_trsm_small_left_deviceILi64ELi32ELb1E19rocblas_complex_numIfES1_PKS1_PS1_Ev13rocblas_fill_18rocblas_operation_17rocblas_diagonal_iiT3_T4_lilT5_lili.numbered_sgpr, 35
	.set _ZL30rocblas_trsm_small_left_deviceILi64ELi32ELb1E19rocblas_complex_numIfES1_PKS1_PS1_Ev13rocblas_fill_18rocblas_operation_17rocblas_diagonal_iiT3_T4_lilT5_lili.num_named_barrier, 0
	.set _ZL30rocblas_trsm_small_left_deviceILi64ELi32ELb1E19rocblas_complex_numIfES1_PKS1_PS1_Ev13rocblas_fill_18rocblas_operation_17rocblas_diagonal_iiT3_T4_lilT5_lili.private_seg_size, 272
	.set _ZL30rocblas_trsm_small_left_deviceILi64ELi32ELb1E19rocblas_complex_numIfES1_PKS1_PS1_Ev13rocblas_fill_18rocblas_operation_17rocblas_diagonal_iiT3_T4_lilT5_lili.uses_vcc, 1
	.set _ZL30rocblas_trsm_small_left_deviceILi64ELi32ELb1E19rocblas_complex_numIfES1_PKS1_PS1_Ev13rocblas_fill_18rocblas_operation_17rocblas_diagonal_iiT3_T4_lilT5_lili.uses_flat_scratch, 0
	.set _ZL30rocblas_trsm_small_left_deviceILi64ELi32ELb1E19rocblas_complex_numIfES1_PKS1_PS1_Ev13rocblas_fill_18rocblas_operation_17rocblas_diagonal_iiT3_T4_lilT5_lili.has_dyn_sized_stack, 0
	.set _ZL30rocblas_trsm_small_left_deviceILi64ELi32ELb1E19rocblas_complex_numIfES1_PKS1_PS1_Ev13rocblas_fill_18rocblas_operation_17rocblas_diagonal_iiT3_T4_lilT5_lili.has_recursion, 0
	.set _ZL30rocblas_trsm_small_left_deviceILi64ELi32ELb1E19rocblas_complex_numIfES1_PKS1_PS1_Ev13rocblas_fill_18rocblas_operation_17rocblas_diagonal_iiT3_T4_lilT5_lili.has_indirect_call, 0
	.section	.AMDGPU.csdata,"",@progbits
; Kernel info:
; codeLenInByte = 2512
; TotalNumSgprs: 39
; NumVgprs: 15
; ScratchSize: 272
; MemoryBound: 0
; FloatMode: 240
; IeeeMode: 1
; LDSByteSize: 32768 bytes/workgroup (compile time only)
; SGPRBlocks: 12
; VGPRBlocks: 32
; NumSGPRsForWavesPerEU: 102
; NumVGPRsForWavesPerEU: 129
; Occupancy: 1
; WaveLimiterHint : 0
; COMPUTE_PGM_RSRC2:SCRATCH_EN: 1
; COMPUTE_PGM_RSRC2:USER_SGPR: 6
; COMPUTE_PGM_RSRC2:TRAP_HANDLER: 0
; COMPUTE_PGM_RSRC2:TGID_X_EN: 1
; COMPUTE_PGM_RSRC2:TGID_Y_EN: 0
; COMPUTE_PGM_RSRC2:TGID_Z_EN: 1
; COMPUTE_PGM_RSRC2:TIDIG_COMP_CNT: 0
	.section	.text._ZL31rocblas_trsm_small_right_deviceI19rocblas_complex_numIfES1_PKS1_PS1_Li64EEv13rocblas_fill_18rocblas_operation_17rocblas_diagonal_iiT0_T1_lilT2_lili,"axG",@progbits,_ZL31rocblas_trsm_small_right_deviceI19rocblas_complex_numIfES1_PKS1_PS1_Li64EEv13rocblas_fill_18rocblas_operation_17rocblas_diagonal_iiT0_T1_lilT2_lili,comdat
	.globl	_ZL31rocblas_trsm_small_right_deviceI19rocblas_complex_numIfES1_PKS1_PS1_Li64EEv13rocblas_fill_18rocblas_operation_17rocblas_diagonal_iiT0_T1_lilT2_lili ; -- Begin function _ZL31rocblas_trsm_small_right_deviceI19rocblas_complex_numIfES1_PKS1_PS1_Li64EEv13rocblas_fill_18rocblas_operation_17rocblas_diagonal_iiT0_T1_lilT2_lili
	.p2align	8
	.type	_ZL31rocblas_trsm_small_right_deviceI19rocblas_complex_numIfES1_PKS1_PS1_Li64EEv13rocblas_fill_18rocblas_operation_17rocblas_diagonal_iiT0_T1_lilT2_lili,@function
_ZL31rocblas_trsm_small_right_deviceI19rocblas_complex_numIfES1_PKS1_PS1_Li64EEv13rocblas_fill_18rocblas_operation_17rocblas_diagonal_iiT0_T1_lilT2_lili: ; @_ZL31rocblas_trsm_small_right_deviceI19rocblas_complex_numIfES1_PKS1_PS1_Li64EEv13rocblas_fill_18rocblas_operation_17rocblas_diagonal_iiT0_T1_lilT2_lili
; %bb.0:
	s_load_dwordx8 s[8:15], s[4:5], 0x0
	s_load_dwordx4 s[0:3], s[4:5], 0x38
	s_load_dwordx2 s[16:17], s[4:5], 0x48
	s_waitcnt lgkmcnt(0)
	s_min_i32 s24, s12, 64
	v_cmp_gt_i32_e32 vcc, s24, v0
	s_and_saveexec_b64 s[18:19], vcc
	s_cbranch_execz .LBB177_9
; %bb.1:
	s_load_dword s22, s[4:5], 0x30
	s_load_dwordx4 s[28:31], s[4:5], 0x20
	s_mul_i32 s1, s1, s7
	s_mul_hi_u32 s15, s0, s7
	s_mul_i32 s0, s0, s7
	s_waitcnt lgkmcnt(0)
	s_ashr_i32 s23, s22, 31
	s_cmpk_lg_i32 s9, 0x71
	s_cselect_b64 s[20:21], -1, 0
	s_add_i32 s1, s15, s1
	s_lshl_b64 s[0:1], s[0:1], 3
	s_lshl_b64 s[26:27], s[30:31], 3
	s_add_u32 s0, s0, s26
	s_addc_u32 s1, s1, s27
	s_add_u32 s0, s28, s0
	v_lshlrev_b32_e32 v5, 3, v0
	s_addc_u32 s1, s29, s1
	v_mov_b32_e32 v1, s1
	v_add_co_u32_e32 v2, vcc, s0, v5
	v_addc_co_u32_e32 v3, vcc, 0, v1, vcc
	v_add_co_u32_e32 v1, vcc, 4, v2
	s_lshl_b64 s[0:1], s[22:23], 3
	v_addc_co_u32_e32 v2, vcc, 0, v3, vcc
	v_mov_b32_e32 v6, s1
	v_mov_b32_e32 v7, v5
	s_mov_b32 s1, s24
	s_branch .LBB177_3
.LBB177_2:                              ;   in Loop: Header=BB177_3 Depth=1
	global_load_dword v3, v[1:2], off offset:-4
	s_add_i32 s1, s1, -1
	v_add_co_u32_e32 v1, vcc, s0, v1
	v_addc_co_u32_e32 v2, vcc, v2, v6, vcc
	s_cmp_eq_u32 s1, 0
	s_waitcnt vmcnt(0)
	ds_write_b64 v7, v[3:4]
	v_add_u32_e32 v7, 0x200, v7
	s_cbranch_scc1 .LBB177_7
.LBB177_3:                              ; =>This Inner Loop Header: Depth=1
	s_mov_b64 s[22:23], -1
	s_and_b64 vcc, exec, s[20:21]
                                        ; implicit-def: $vgpr4
	s_cbranch_vccz .LBB177_5
; %bb.4:                                ;   in Loop: Header=BB177_3 Depth=1
	global_load_dword v4, v[1:2], off
	s_mov_b64 s[22:23], 0
.LBB177_5:                              ;   in Loop: Header=BB177_3 Depth=1
	s_andn2_b64 vcc, exec, s[22:23]
	s_cbranch_vccnz .LBB177_2
; %bb.6:                                ;   in Loop: Header=BB177_3 Depth=1
	global_load_dword v3, v[1:2], off
	s_waitcnt vmcnt(0)
	v_xor_b32_e32 v4, 0x80000000, v3
	s_branch .LBB177_2
.LBB177_7:
	s_cmpk_eq_i32 s10, 0x84
	s_cbranch_scc0 .LBB177_9
; %bb.8:
	v_lshl_or_b32 v3, v0, 9, v5
	v_mov_b32_e32 v1, 1.0
	v_mov_b32_e32 v2, 0
	ds_write_b64 v3, v[1:2]
.LBB177_9:
	s_or_b64 exec, exec, s[18:19]
	s_load_dword s0, s[4:5], 0x68
	s_load_dwordx2 s[18:19], s[4:5], 0x58
	s_load_dword s10, s[4:5], 0x50
	s_waitcnt lgkmcnt(0)
	s_add_i32 s0, s0, -1
	s_mul_i32 s1, s19, s7
	s_mul_hi_u32 s5, s18, s7
	s_add_i32 s5, s5, s1
	s_lshl_b32 s1, s6, 6
	s_sub_i32 s1, s11, s1
	s_cmp_ge_u32 s6, s0
	s_mul_i32 s4, s18, s7
	s_cselect_b32 s0, s1, 64
	s_ashr_i32 s7, s6, 31
	s_lshl_b64 s[6:7], s[6:7], 9
	v_cmp_gt_i32_e64 s[0:1], s0, v0
	s_and_saveexec_b64 s[18:19], s[0:1]
	s_cbranch_execz .LBB177_13
; %bb.10:
	s_cmp_lt_i32 s12, 1
	s_cbranch_scc1 .LBB177_13
; %bb.11:
	s_ashr_i32 s11, s10, 31
	s_lshl_b64 s[20:21], s[4:5], 3
	s_add_u32 s15, s20, s6
	s_addc_u32 s22, s21, s7
	s_lshl_b64 s[20:21], s[16:17], 3
	s_add_u32 s15, s15, s20
	s_addc_u32 s20, s22, s21
	s_add_u32 s15, s2, s15
	v_lshlrev_b32_e32 v3, 3, v0
	s_addc_u32 s20, s3, s20
	v_mov_b32_e32 v1, s20
	v_add_co_u32_e32 v2, vcc, s15, v3
	v_addc_co_u32_e32 v4, vcc, 0, v1, vcc
	v_add_co_u32_e32 v1, vcc, 4, v2
	s_lshl_b64 s[20:21], s[10:11], 3
	v_addc_co_u32_e32 v2, vcc, 0, v4, vcc
	v_or_b32_e32 v3, 0x8000, v3
	v_mov_b32_e32 v4, s21
	s_mov_b32 s11, s12
.LBB177_12:                             ; =>This Inner Loop Header: Depth=1
	global_load_dwordx2 v[5:6], v[1:2], off offset:-4
	s_add_i32 s11, s11, -1
	v_add_co_u32_e32 v1, vcc, s20, v1
	v_addc_co_u32_e32 v2, vcc, v2, v4, vcc
	s_cmp_lg_u32 s11, 0
	s_waitcnt vmcnt(0)
	v_mul_f32_e32 v8, s14, v6
	v_mul_f32_e32 v7, s13, v6
	v_fma_f32 v6, s13, v5, -v8
	v_fmac_f32_e32 v7, s14, v5
	ds_write_b64 v3, v[6:7]
	v_add_u32_e32 v3, 0x200, v3
	s_cbranch_scc1 .LBB177_12
.LBB177_13:
	s_or_b64 exec, exec, s[18:19]
	s_cmpk_eq_i32 s9, 0x6f
	s_cselect_b64 s[18:19], -1, 0
	s_cmpk_lg_i32 s8, 0x79
	s_cselect_b64 s[14:15], -1, 0
	s_cmpk_eq_i32 s8, 0x79
	s_cselect_b64 s[20:21], -1, 0
	s_and_b64 s[20:21], s[20:21], s[18:19]
	s_andn2_b64 vcc, exec, s[20:21]
	s_mov_b64 s[20:21], -1
	s_waitcnt lgkmcnt(0)
	; wave barrier
	s_cbranch_vccz .LBB177_114
; %bb.14:
	s_cmpk_lg_i32 s8, 0x7a
	s_cselect_b64 s[8:9], -1, 0
	s_xor_b64 s[18:19], s[18:19], -1
	s_add_i32 s11, s24, -1
	s_or_b64 s[18:19], s[8:9], s[18:19]
	v_mov_b32_e32 v1, 0x8000
	s_cmp_gt_i32 s12, 3
	v_lshl_or_b32 v13, v0, 3, v1
	s_cselect_b64 s[8:9], -1, 0
	s_and_b64 vcc, exec, s[18:19]
	s_cbranch_vccz .LBB177_81
; %bb.15:
	s_andn2_b64 vcc, exec, s[14:15]
	s_mov_b64 s[14:15], -1
	s_cbranch_vccnz .LBB177_48
; %bb.16:
	s_andn2_b64 vcc, exec, s[8:9]
	s_mov_b32 s19, 0
	s_cbranch_vccnz .LBB177_38
; %bb.17:
	v_mov_b32_e32 v1, 0x8000
	v_lshl_or_b32 v14, v0, 3, v1
	s_mov_b32 s13, 0
	s_mov_b32 s18, 0
.LBB177_18:                             ; =>This Loop Header: Depth=1
                                        ;     Child Loop BB177_19 Depth 2
	s_lshl_b32 s14, s18, 9
	v_add_u32_e32 v18, s14, v13
	s_or_b32 s21, s18, 1
	s_or_b32 s19, s18, 2
	;; [unrolled: 1-line block ×3, first 2 shown]
	v_lshl_add_u32 v17, s21, 9, v13
	v_lshl_add_u32 v16, s19, 9, v13
	v_add_u32_e32 v15, s15, v13
	ds_read_b64 v[1:2], v18
	ds_read_b64 v[11:12], v17
	;; [unrolled: 1-line block ×4, first 2 shown]
	s_cmp_eq_u32 s18, 0
	v_mov_b32_e32 v3, v14
	s_mov_b32 s15, s13
	s_mov_b32 s20, s18
	s_cbranch_scc1 .LBB177_20
.LBB177_19:                             ;   Parent Loop BB177_18 Depth=1
                                        ; =>  This Inner Loop Header: Depth=2
	v_mov_b32_e32 v4, s15
	ds_read_b64 v[9:10], v3
	ds_read_b128 v[19:22], v4
	ds_read_b128 v[23:26], v4 offset:16
	s_add_i32 s20, s20, -1
	s_addk_i32 s15, 0x200
	v_add_u32_e32 v3, 0x200, v3
	s_waitcnt lgkmcnt(1)
	v_mul_f32_e32 v4, v20, v10
	v_mul_f32_e32 v27, v19, v10
	v_mul_f32_e32 v28, v22, v10
	v_mul_f32_e32 v22, v22, v9
	s_waitcnt lgkmcnt(0)
	v_mul_f32_e32 v29, v24, v10
	v_mul_f32_e32 v24, v24, v9
	;; [unrolled: 1-line block ×4, first 2 shown]
	v_fma_f32 v4, v19, v9, -v4
	v_fmac_f32_e32 v27, v20, v9
	v_fma_f32 v19, v21, v9, -v28
	v_fmac_f32_e32 v22, v21, v10
	;; [unrolled: 2-line block ×4, first 2 shown]
	s_cmp_eq_u32 s20, 0
	v_sub_f32_e32 v1, v1, v4
	v_sub_f32_e32 v2, v2, v27
	;; [unrolled: 1-line block ×8, first 2 shown]
	s_cbranch_scc0 .LBB177_19
.LBB177_20:                             ;   in Loop: Header=BB177_18 Depth=1
	s_lshl_b32 s20, s18, 3
	s_add_i32 s22, s20, s14
	v_mov_b32_e32 v3, s22
	ds_read_b64 v[3:4], v3
	s_mov_b64 s[14:15], -1
                                        ; implicit-def: $vgpr10
	s_waitcnt lgkmcnt(0)
	v_cmp_ngt_f32_e64 s[26:27], |v3|, |v4|
	s_and_b64 vcc, exec, s[26:27]
	s_cbranch_vccz .LBB177_22
; %bb.21:                               ;   in Loop: Header=BB177_18 Depth=1
	v_div_scale_f32 v9, s[14:15], v4, v4, v3
	v_div_scale_f32 v10, vcc, v3, v4, v3
	v_rcp_f32_e32 v19, v9
	v_fma_f32 v20, -v9, v19, 1.0
	v_fmac_f32_e32 v19, v20, v19
	v_mul_f32_e32 v20, v10, v19
	v_fma_f32 v21, -v9, v20, v10
	v_fmac_f32_e32 v20, v21, v19
	v_fma_f32 v9, -v9, v20, v10
	v_div_fmas_f32 v9, v9, v19, v20
	v_div_fixup_f32 v9, v9, v4, v3
	v_fma_f32 v10, v3, v9, v4
	v_div_scale_f32 v19, s[14:15], v10, v10, 1.0
	v_div_scale_f32 v20, vcc, 1.0, v10, 1.0
	s_mov_b64 s[14:15], 0
	v_rcp_f32_e32 v21, v19
	v_fma_f32 v22, -v19, v21, 1.0
	v_fmac_f32_e32 v21, v22, v21
	v_mul_f32_e32 v22, v20, v21
	v_fma_f32 v23, -v19, v22, v20
	v_fmac_f32_e32 v22, v23, v21
	v_fma_f32 v19, -v19, v22, v20
	v_div_fmas_f32 v19, v19, v21, v22
	v_fma_f32 v20, v1, v9, v2
	v_fma_f32 v21, v2, v9, -v1
	v_div_fixup_f32 v10, v19, v10, 1.0
	v_mul_f32_e32 v9, v20, v10
	v_mul_f32_e32 v10, v21, v10
.LBB177_22:                             ;   in Loop: Header=BB177_18 Depth=1
	s_andn2_b64 vcc, exec, s[14:15]
	s_cbranch_vccnz .LBB177_24
; %bb.23:                               ;   in Loop: Header=BB177_18 Depth=1
	v_div_scale_f32 v9, s[14:15], v3, v3, v4
	v_div_scale_f32 v10, vcc, v4, v3, v4
	v_rcp_f32_e32 v19, v9
	v_fma_f32 v20, -v9, v19, 1.0
	v_fmac_f32_e32 v19, v20, v19
	v_mul_f32_e32 v20, v10, v19
	v_fma_f32 v21, -v9, v20, v10
	v_fmac_f32_e32 v20, v21, v19
	v_fma_f32 v9, -v9, v20, v10
	v_div_fmas_f32 v9, v9, v19, v20
	v_div_fixup_f32 v9, v9, v3, v4
	v_fmac_f32_e32 v3, v4, v9
	v_div_scale_f32 v4, s[14:15], v3, v3, 1.0
	v_div_scale_f32 v10, vcc, 1.0, v3, 1.0
	v_rcp_f32_e32 v19, v4
	v_fma_f32 v20, -v4, v19, 1.0
	v_fmac_f32_e32 v19, v20, v19
	v_mul_f32_e32 v20, v10, v19
	v_fma_f32 v21, -v4, v20, v10
	v_fmac_f32_e32 v20, v21, v19
	v_fma_f32 v4, -v4, v20, v10
	v_div_fmas_f32 v4, v4, v19, v20
	v_fma_f32 v10, v2, v9, v1
	v_fma_f32 v1, -v1, v9, v2
	v_div_fixup_f32 v2, v4, v3, 1.0
	v_mul_f32_e32 v9, v10, v2
	v_mul_f32_e32 v10, v1, v2
.LBB177_24:                             ;   in Loop: Header=BB177_18 Depth=1
	v_mov_b32_e32 v1, s22
	ds_read2_b64 v[1:4], v1 offset0:1 offset1:65
	ds_write_b64 v18, v[9:10]
	s_mov_b64 s[14:15], -1
	s_waitcnt lgkmcnt(1)
	v_mul_f32_e32 v18, v10, v2
	v_mul_f32_e32 v2, v9, v2
	v_fma_f32 v18, v9, v1, -v18
	v_fmac_f32_e32 v2, v10, v1
	v_cmp_ngt_f32_e64 s[26:27], |v3|, |v4|
	v_sub_f32_e32 v1, v11, v18
	v_sub_f32_e32 v2, v12, v2
	s_and_b64 vcc, exec, s[26:27]
                                        ; implicit-def: $vgpr12
	s_cbranch_vccz .LBB177_26
; %bb.25:                               ;   in Loop: Header=BB177_18 Depth=1
	v_div_scale_f32 v11, s[14:15], v4, v4, v3
	v_div_scale_f32 v12, vcc, v3, v4, v3
	v_rcp_f32_e32 v18, v11
	v_fma_f32 v19, -v11, v18, 1.0
	v_fmac_f32_e32 v18, v19, v18
	v_mul_f32_e32 v19, v12, v18
	v_fma_f32 v20, -v11, v19, v12
	v_fmac_f32_e32 v19, v20, v18
	v_fma_f32 v11, -v11, v19, v12
	v_div_fmas_f32 v11, v11, v18, v19
	v_div_fixup_f32 v11, v11, v4, v3
	v_fma_f32 v12, v3, v11, v4
	v_div_scale_f32 v18, s[14:15], v12, v12, 1.0
	v_div_scale_f32 v19, vcc, 1.0, v12, 1.0
	s_mov_b64 s[14:15], 0
	v_rcp_f32_e32 v20, v18
	v_fma_f32 v21, -v18, v20, 1.0
	v_fmac_f32_e32 v20, v21, v20
	v_mul_f32_e32 v21, v19, v20
	v_fma_f32 v22, -v18, v21, v19
	v_fmac_f32_e32 v21, v22, v20
	v_fma_f32 v18, -v18, v21, v19
	v_div_fmas_f32 v18, v18, v20, v21
	v_fma_f32 v19, v11, v1, v2
	v_fma_f32 v20, v11, v2, -v1
	v_div_fixup_f32 v12, v18, v12, 1.0
	v_mul_f32_e32 v11, v19, v12
	v_mul_f32_e32 v12, v20, v12
.LBB177_26:                             ;   in Loop: Header=BB177_18 Depth=1
	s_andn2_b64 vcc, exec, s[14:15]
	s_cbranch_vccnz .LBB177_28
; %bb.27:                               ;   in Loop: Header=BB177_18 Depth=1
	v_div_scale_f32 v11, s[14:15], v3, v3, v4
	v_div_scale_f32 v12, vcc, v4, v3, v4
	v_rcp_f32_e32 v18, v11
	v_fma_f32 v19, -v11, v18, 1.0
	v_fmac_f32_e32 v18, v19, v18
	v_mul_f32_e32 v19, v12, v18
	v_fma_f32 v20, -v11, v19, v12
	v_fmac_f32_e32 v19, v20, v18
	v_fma_f32 v11, -v11, v19, v12
	v_div_fmas_f32 v11, v11, v18, v19
	v_div_fixup_f32 v11, v11, v3, v4
	v_fmac_f32_e32 v3, v4, v11
	v_div_scale_f32 v4, s[14:15], v3, v3, 1.0
	v_div_scale_f32 v12, vcc, 1.0, v3, 1.0
	v_rcp_f32_e32 v18, v4
	v_fma_f32 v19, -v4, v18, 1.0
	v_fmac_f32_e32 v18, v19, v18
	v_mul_f32_e32 v19, v12, v18
	v_fma_f32 v20, -v4, v19, v12
	v_fmac_f32_e32 v19, v20, v18
	v_fma_f32 v4, -v4, v19, v12
	v_div_fmas_f32 v4, v4, v18, v19
	v_fma_f32 v12, v11, v2, v1
	v_fma_f32 v1, -v11, v1, v2
	v_div_fixup_f32 v2, v4, v3, 1.0
	v_mul_f32_e32 v11, v12, v2
	v_mul_f32_e32 v12, v1, v2
.LBB177_28:                             ;   in Loop: Header=BB177_18 Depth=1
	v_mov_b32_e32 v1, s22
	ds_read2_b64 v[1:4], v1 offset0:2 offset1:130
	s_add_i32 s23, s22, 0x208
	s_lshl_b32 s14, s21, 3
	s_sub_i32 s21, s23, s14
	ds_write_b64 v17, v[11:12]
	s_waitcnt lgkmcnt(1)
	v_mul_f32_e32 v17, v10, v2
	s_add_i32 s21, s21, s20
	v_fma_f32 v19, v9, v1, -v17
	v_mov_b32_e32 v17, s21
	ds_read_b64 v[17:18], v17 offset:16
	v_mul_f32_e32 v2, v9, v2
	v_fmac_f32_e32 v2, v10, v1
	v_sub_f32_e32 v1, v7, v19
	v_sub_f32_e32 v2, v8, v2
	s_waitcnt lgkmcnt(0)
	v_mul_f32_e32 v7, v12, v18
	v_mul_f32_e32 v8, v11, v18
	v_fma_f32 v7, v11, v17, -v7
	v_fmac_f32_e32 v8, v12, v17
	v_cmp_ngt_f32_e64 s[26:27], |v3|, |v4|
	v_sub_f32_e32 v1, v1, v7
	v_sub_f32_e32 v2, v2, v8
	s_mov_b64 s[14:15], -1
	s_and_b64 vcc, exec, s[26:27]
                                        ; implicit-def: $vgpr8
	s_cbranch_vccz .LBB177_30
; %bb.29:                               ;   in Loop: Header=BB177_18 Depth=1
	v_div_scale_f32 v7, s[14:15], v4, v4, v3
	v_div_scale_f32 v8, vcc, v3, v4, v3
	v_rcp_f32_e32 v17, v7
	v_fma_f32 v18, -v7, v17, 1.0
	v_fmac_f32_e32 v17, v18, v17
	v_mul_f32_e32 v18, v8, v17
	v_fma_f32 v19, -v7, v18, v8
	v_fmac_f32_e32 v18, v19, v17
	v_fma_f32 v7, -v7, v18, v8
	v_div_fmas_f32 v7, v7, v17, v18
	v_div_fixup_f32 v7, v7, v4, v3
	v_fma_f32 v8, v3, v7, v4
	v_div_scale_f32 v17, s[14:15], v8, v8, 1.0
	v_div_scale_f32 v18, vcc, 1.0, v8, 1.0
	s_mov_b64 s[14:15], 0
	v_rcp_f32_e32 v19, v17
	v_fma_f32 v20, -v17, v19, 1.0
	v_fmac_f32_e32 v19, v20, v19
	v_mul_f32_e32 v20, v18, v19
	v_fma_f32 v21, -v17, v20, v18
	v_fmac_f32_e32 v20, v21, v19
	v_fma_f32 v17, -v17, v20, v18
	v_div_fmas_f32 v17, v17, v19, v20
	v_fma_f32 v18, v7, v1, v2
	v_fma_f32 v19, v7, v2, -v1
	v_div_fixup_f32 v8, v17, v8, 1.0
	v_mul_f32_e32 v7, v18, v8
	v_mul_f32_e32 v8, v19, v8
.LBB177_30:                             ;   in Loop: Header=BB177_18 Depth=1
	s_andn2_b64 vcc, exec, s[14:15]
	s_cbranch_vccnz .LBB177_32
; %bb.31:                               ;   in Loop: Header=BB177_18 Depth=1
	v_div_scale_f32 v7, s[14:15], v3, v3, v4
	v_div_scale_f32 v8, vcc, v4, v3, v4
	v_rcp_f32_e32 v17, v7
	v_fma_f32 v18, -v7, v17, 1.0
	v_fmac_f32_e32 v17, v18, v17
	v_mul_f32_e32 v18, v8, v17
	v_fma_f32 v19, -v7, v18, v8
	v_fmac_f32_e32 v18, v19, v17
	v_fma_f32 v7, -v7, v18, v8
	v_div_fmas_f32 v7, v7, v17, v18
	v_div_fixup_f32 v7, v7, v3, v4
	v_fmac_f32_e32 v3, v4, v7
	v_div_scale_f32 v4, s[14:15], v3, v3, 1.0
	v_div_scale_f32 v8, vcc, 1.0, v3, 1.0
	v_rcp_f32_e32 v17, v4
	v_fma_f32 v18, -v4, v17, 1.0
	v_fmac_f32_e32 v17, v18, v17
	v_mul_f32_e32 v18, v8, v17
	v_fma_f32 v19, -v4, v18, v8
	v_fmac_f32_e32 v18, v19, v17
	v_fma_f32 v4, -v4, v18, v8
	v_div_fmas_f32 v4, v4, v17, v18
	v_fma_f32 v8, v7, v2, v1
	v_fma_f32 v1, -v7, v1, v2
	v_div_fixup_f32 v2, v4, v3, 1.0
	v_mul_f32_e32 v7, v8, v2
	v_mul_f32_e32 v8, v1, v2
.LBB177_32:                             ;   in Loop: Header=BB177_18 Depth=1
	v_mov_b32_e32 v1, s22
	ds_read2_b64 v[1:4], v1 offset0:3 offset1:195
	s_lshl_b32 s14, s19, 3
	ds_write_b64 v16, v[7:8]
	s_sub_i32 s14, s23, s14
	s_add_i32 s14, s14, s20
	s_waitcnt lgkmcnt(1)
	v_mul_f32_e32 v16, v10, v2
	v_mul_f32_e32 v17, v9, v2
	v_fma_f32 v2, v9, v1, -v16
	v_fmac_f32_e32 v17, v10, v1
	v_mov_b32_e32 v1, s21
	v_sub_f32_e32 v9, v5, v2
	ds_read_b64 v[1:2], v1 offset:24
	v_mov_b32_e32 v5, s14
	v_sub_f32_e32 v10, v6, v17
	ds_read_b64 v[5:6], v5 offset:544
	v_cmp_ngt_f32_e64 s[20:21], |v3|, |v4|
	s_waitcnt lgkmcnt(1)
	v_mul_f32_e32 v16, v12, v2
	v_fma_f32 v16, v11, v1, -v16
	v_mul_f32_e32 v2, v11, v2
	v_fmac_f32_e32 v2, v12, v1
	v_sub_f32_e32 v1, v9, v16
	s_waitcnt lgkmcnt(0)
	v_mul_f32_e32 v9, v8, v6
	v_mul_f32_e32 v6, v7, v6
	v_sub_f32_e32 v2, v10, v2
	v_fma_f32 v9, v7, v5, -v9
	v_fmac_f32_e32 v6, v8, v5
	v_sub_f32_e32 v5, v1, v9
	v_sub_f32_e32 v6, v2, v6
	s_mov_b64 s[14:15], -1
	s_and_b64 vcc, exec, s[20:21]
                                        ; implicit-def: $vgpr2
	s_cbranch_vccz .LBB177_34
; %bb.33:                               ;   in Loop: Header=BB177_18 Depth=1
	v_div_scale_f32 v1, s[14:15], v4, v4, v3
	v_div_scale_f32 v2, vcc, v3, v4, v3
	v_rcp_f32_e32 v7, v1
	v_fma_f32 v8, -v1, v7, 1.0
	v_fmac_f32_e32 v7, v8, v7
	v_mul_f32_e32 v8, v2, v7
	v_fma_f32 v9, -v1, v8, v2
	v_fmac_f32_e32 v8, v9, v7
	v_fma_f32 v1, -v1, v8, v2
	v_div_fmas_f32 v1, v1, v7, v8
	v_div_fixup_f32 v1, v1, v4, v3
	v_fma_f32 v2, v3, v1, v4
	v_div_scale_f32 v7, s[14:15], v2, v2, 1.0
	v_div_scale_f32 v8, vcc, 1.0, v2, 1.0
	s_mov_b64 s[14:15], 0
	v_rcp_f32_e32 v9, v7
	v_fma_f32 v10, -v7, v9, 1.0
	v_fmac_f32_e32 v9, v10, v9
	v_mul_f32_e32 v10, v8, v9
	v_fma_f32 v11, -v7, v10, v8
	v_fmac_f32_e32 v10, v11, v9
	v_fma_f32 v7, -v7, v10, v8
	v_div_fmas_f32 v7, v7, v9, v10
	v_fma_f32 v8, v1, v5, v6
	v_fma_f32 v9, v1, v6, -v5
	v_div_fixup_f32 v2, v7, v2, 1.0
	v_mul_f32_e32 v1, v8, v2
	v_mul_f32_e32 v2, v9, v2
.LBB177_34:                             ;   in Loop: Header=BB177_18 Depth=1
	s_andn2_b64 vcc, exec, s[14:15]
	s_cbranch_vccnz .LBB177_36
; %bb.35:                               ;   in Loop: Header=BB177_18 Depth=1
	v_div_scale_f32 v1, s[14:15], v3, v3, v4
	v_div_scale_f32 v2, vcc, v4, v3, v4
	v_rcp_f32_e32 v7, v1
	v_fma_f32 v8, -v1, v7, 1.0
	v_fmac_f32_e32 v7, v8, v7
	v_mul_f32_e32 v8, v2, v7
	v_fma_f32 v9, -v1, v8, v2
	v_fmac_f32_e32 v8, v9, v7
	v_fma_f32 v1, -v1, v8, v2
	v_div_fmas_f32 v1, v1, v7, v8
	v_div_fixup_f32 v1, v1, v3, v4
	v_fmac_f32_e32 v3, v4, v1
	v_div_scale_f32 v2, s[14:15], v3, v3, 1.0
	v_div_scale_f32 v4, vcc, 1.0, v3, 1.0
	v_rcp_f32_e32 v7, v2
	v_fma_f32 v8, -v2, v7, 1.0
	v_fmac_f32_e32 v7, v8, v7
	v_mul_f32_e32 v8, v4, v7
	v_fma_f32 v9, -v2, v8, v4
	v_fmac_f32_e32 v8, v9, v7
	v_fma_f32 v2, -v2, v8, v4
	v_div_fmas_f32 v2, v2, v7, v8
	v_fma_f32 v4, v1, v6, v5
	v_fma_f32 v5, -v1, v5, v6
	v_div_fixup_f32 v2, v2, v3, 1.0
	v_mul_f32_e32 v1, v4, v2
	v_mul_f32_e32 v2, v5, v2
.LBB177_36:                             ;   in Loop: Header=BB177_18 Depth=1
	s_add_i32 s19, s18, 4
	s_add_i32 s14, s18, 7
	s_add_i32 s13, s13, 32
	s_cmp_ge_i32 s14, s24
	ds_write_b64 v15, v[1:2]
	s_cbranch_scc1 .LBB177_38
; %bb.37:                               ;   in Loop: Header=BB177_18 Depth=1
	s_mov_b32 s18, s19
	s_branch .LBB177_18
.LBB177_38:
	s_cmp_ge_i32 s19, s24
	s_cbranch_scc1 .LBB177_47
; %bb.39:
	v_mov_b32_e32 v1, 0x8000
	s_lshl_b32 s13, s19, 3
	v_lshl_or_b32 v7, v0, 3, v1
	s_branch .LBB177_41
.LBB177_40:                             ;   in Loop: Header=BB177_41 Depth=1
	s_add_i32 s19, s19, 1
	s_add_i32 s13, s13, 8
	s_cmp_ge_i32 s19, s24
	ds_write_b64 v8, v[5:6]
	s_cbranch_scc1 .LBB177_47
.LBB177_41:                             ; =>This Loop Header: Depth=1
                                        ;     Child Loop BB177_42 Depth 2
	s_lshl_b32 s14, s19, 9
	v_add_u32_e32 v8, s14, v13
	ds_read_b64 v[1:2], v8
	s_cmp_eq_u32 s19, 0
	v_mov_b32_e32 v3, v7
	s_mov_b32 s15, s13
	s_mov_b32 s18, s19
	s_cbranch_scc1 .LBB177_43
.LBB177_42:                             ;   Parent Loop BB177_41 Depth=1
                                        ; =>  This Inner Loop Header: Depth=2
	v_mov_b32_e32 v6, s15
	ds_read_b64 v[4:5], v3
	ds_read_b64 v[9:10], v6
	s_add_i32 s18, s18, -1
	s_addk_i32 s15, 0x200
	v_add_u32_e32 v3, 0x200, v3
	s_cmp_eq_u32 s18, 0
	s_waitcnt lgkmcnt(0)
	v_mul_f32_e32 v6, v10, v5
	v_mul_f32_e32 v5, v9, v5
	v_fma_f32 v6, v9, v4, -v6
	v_fmac_f32_e32 v5, v10, v4
	v_sub_f32_e32 v1, v1, v6
	v_sub_f32_e32 v2, v2, v5
	s_cbranch_scc0 .LBB177_42
.LBB177_43:                             ;   in Loop: Header=BB177_41 Depth=1
	s_lshl_b32 s15, s19, 3
	s_add_i32 s14, s15, s14
	v_mov_b32_e32 v3, s14
	ds_read_b64 v[3:4], v3
	s_mov_b64 s[14:15], -1
                                        ; implicit-def: $vgpr5
	s_waitcnt lgkmcnt(0)
	v_cmp_ngt_f32_e64 s[20:21], |v3|, |v4|
	s_and_b64 vcc, exec, s[20:21]
	s_cbranch_vccz .LBB177_45
; %bb.44:                               ;   in Loop: Header=BB177_41 Depth=1
	v_div_scale_f32 v5, s[14:15], v4, v4, v3
	v_div_scale_f32 v6, vcc, v3, v4, v3
	v_rcp_f32_e32 v9, v5
	v_fma_f32 v10, -v5, v9, 1.0
	v_fmac_f32_e32 v9, v10, v9
	v_mul_f32_e32 v10, v6, v9
	v_fma_f32 v11, -v5, v10, v6
	v_fmac_f32_e32 v10, v11, v9
	v_fma_f32 v5, -v5, v10, v6
	v_div_fmas_f32 v5, v5, v9, v10
	v_div_fixup_f32 v5, v5, v4, v3
	v_fma_f32 v6, v3, v5, v4
	v_div_scale_f32 v9, s[14:15], v6, v6, 1.0
	v_div_scale_f32 v10, vcc, 1.0, v6, 1.0
	s_mov_b64 s[14:15], 0
	v_rcp_f32_e32 v11, v9
	v_fma_f32 v12, -v9, v11, 1.0
	v_fmac_f32_e32 v11, v12, v11
	v_mul_f32_e32 v12, v10, v11
	v_fma_f32 v14, -v9, v12, v10
	v_fmac_f32_e32 v12, v14, v11
	v_fma_f32 v9, -v9, v12, v10
	v_div_fmas_f32 v9, v9, v11, v12
	v_fma_f32 v10, v1, v5, v2
	v_fma_f32 v11, v2, v5, -v1
	v_div_fixup_f32 v6, v9, v6, 1.0
	v_mul_f32_e32 v5, v10, v6
	v_mul_f32_e32 v6, v11, v6
.LBB177_45:                             ;   in Loop: Header=BB177_41 Depth=1
	s_andn2_b64 vcc, exec, s[14:15]
	s_cbranch_vccnz .LBB177_40
; %bb.46:                               ;   in Loop: Header=BB177_41 Depth=1
	v_div_scale_f32 v5, s[14:15], v3, v3, v4
	v_div_scale_f32 v6, vcc, v4, v3, v4
	v_rcp_f32_e32 v9, v5
	v_fma_f32 v10, -v5, v9, 1.0
	v_fmac_f32_e32 v9, v10, v9
	v_mul_f32_e32 v10, v6, v9
	v_fma_f32 v11, -v5, v10, v6
	v_fmac_f32_e32 v10, v11, v9
	v_fma_f32 v5, -v5, v10, v6
	v_div_fmas_f32 v5, v5, v9, v10
	v_div_fixup_f32 v5, v5, v3, v4
	v_fmac_f32_e32 v3, v4, v5
	v_div_scale_f32 v4, s[14:15], v3, v3, 1.0
	v_div_scale_f32 v6, vcc, 1.0, v3, 1.0
	v_rcp_f32_e32 v9, v4
	v_fma_f32 v10, -v4, v9, 1.0
	v_fmac_f32_e32 v9, v10, v9
	v_mul_f32_e32 v10, v6, v9
	v_fma_f32 v11, -v4, v10, v6
	v_fmac_f32_e32 v10, v11, v9
	v_fma_f32 v4, -v4, v10, v6
	v_div_fmas_f32 v4, v4, v9, v10
	v_fma_f32 v6, v2, v5, v1
	v_fma_f32 v1, -v1, v5, v2
	v_div_fixup_f32 v2, v4, v3, 1.0
	v_mul_f32_e32 v5, v6, v2
	v_mul_f32_e32 v6, v1, v2
	s_branch .LBB177_40
.LBB177_47:
	s_mov_b64 s[14:15], 0
.LBB177_48:
	s_and_b64 vcc, exec, s[14:15]
	s_cbranch_vccz .LBB177_80
; %bb.49:
	s_andn2_b64 vcc, exec, s[8:9]
	s_mov_b32 s19, s11
	s_cbranch_vccnz .LBB177_71
; %bb.50:
	v_lshlrev_b32_e32 v1, 3, v0
	s_mul_i32 s13, s24, 0x208
	v_lshl_or_b32 v1, s24, 9, v1
	s_addk_i32 s13, 0xfde0
	v_add_u32_e32 v14, 0x7e00, v1
	s_mov_b32 s18, s11
.LBB177_51:                             ; =>This Loop Header: Depth=1
                                        ;     Child Loop BB177_52 Depth 2
	s_add_i32 s19, s18, -3
	v_lshl_add_u32 v18, s18, 9, v13
	s_add_i32 s20, s18, -1
	s_add_i32 s22, s18, -2
	s_lshl_b32 s14, s19, 9
	v_lshl_add_u32 v17, s20, 9, v13
	v_lshl_add_u32 v16, s22, 9, v13
	v_add_u32_e32 v15, s14, v13
	ds_read_b64 v[9:10], v18
	ds_read_b64 v[7:8], v17
	;; [unrolled: 1-line block ×4, first 2 shown]
	s_cmp_le_i32 s11, s18
	v_mov_b32_e32 v5, v14
	s_mov_b32 s14, s13
	s_mov_b32 s15, s11
	s_cbranch_scc1 .LBB177_53
.LBB177_52:                             ;   Parent Loop BB177_51 Depth=1
                                        ; =>  This Inner Loop Header: Depth=2
	v_mov_b32_e32 v6, s14
	ds_read_b64 v[11:12], v5
	ds_read2_b64 v[19:22], v6 offset0:2 offset1:3
	ds_read2_b64 v[23:26], v6 offset1:1
	s_add_i32 s15, s15, -1
	s_addk_i32 s14, 0xfe00
	v_add_u32_e32 v5, 0xfffffe00, v5
	s_waitcnt lgkmcnt(1)
	v_mul_f32_e32 v6, v22, v12
	v_mul_f32_e32 v27, v21, v12
	;; [unrolled: 1-line block ×4, first 2 shown]
	s_waitcnt lgkmcnt(0)
	v_mul_f32_e32 v29, v26, v12
	v_mul_f32_e32 v26, v26, v11
	;; [unrolled: 1-line block ×4, first 2 shown]
	v_fma_f32 v6, v21, v11, -v6
	v_fmac_f32_e32 v27, v22, v11
	v_fma_f32 v21, v19, v11, -v28
	v_fmac_f32_e32 v20, v19, v12
	;; [unrolled: 2-line block ×4, first 2 shown]
	s_cmp_le_i32 s15, s18
	v_sub_f32_e32 v9, v9, v6
	v_sub_f32_e32 v10, v10, v27
	v_sub_f32_e32 v7, v7, v21
	v_sub_f32_e32 v8, v8, v20
	v_sub_f32_e32 v3, v3, v19
	v_sub_f32_e32 v4, v4, v26
	v_sub_f32_e32 v1, v1, v11
	v_sub_f32_e32 v2, v2, v24
	s_cbranch_scc0 .LBB177_52
.LBB177_53:                             ;   in Loop: Header=BB177_51 Depth=1
	s_lshl_b32 s23, s18, 3
	s_lshl_b32 s14, s18, 9
	s_add_i32 s21, s23, s14
	v_mov_b32_e32 v5, s21
	ds_read_b64 v[11:12], v5
	s_mov_b64 s[14:15], -1
                                        ; implicit-def: $vgpr6
	s_waitcnt lgkmcnt(0)
	v_cmp_ngt_f32_e64 s[26:27], |v11|, |v12|
	s_and_b64 vcc, exec, s[26:27]
	s_cbranch_vccz .LBB177_55
; %bb.54:                               ;   in Loop: Header=BB177_51 Depth=1
	v_div_scale_f32 v5, s[14:15], v12, v12, v11
	v_div_scale_f32 v6, vcc, v11, v12, v11
	v_rcp_f32_e32 v19, v5
	v_fma_f32 v20, -v5, v19, 1.0
	v_fmac_f32_e32 v19, v20, v19
	v_mul_f32_e32 v20, v6, v19
	v_fma_f32 v21, -v5, v20, v6
	v_fmac_f32_e32 v20, v21, v19
	v_fma_f32 v5, -v5, v20, v6
	v_div_fmas_f32 v5, v5, v19, v20
	v_div_fixup_f32 v5, v5, v12, v11
	v_fma_f32 v6, v11, v5, v12
	v_div_scale_f32 v19, s[14:15], v6, v6, 1.0
	v_div_scale_f32 v20, vcc, 1.0, v6, 1.0
	s_mov_b64 s[14:15], 0
	v_rcp_f32_e32 v21, v19
	v_fma_f32 v22, -v19, v21, 1.0
	v_fmac_f32_e32 v21, v22, v21
	v_mul_f32_e32 v22, v20, v21
	v_fma_f32 v23, -v19, v22, v20
	v_fmac_f32_e32 v22, v23, v21
	v_fma_f32 v19, -v19, v22, v20
	v_div_fmas_f32 v19, v19, v21, v22
	v_fma_f32 v20, v9, v5, v10
	v_fma_f32 v21, v10, v5, -v9
	v_div_fixup_f32 v6, v19, v6, 1.0
	v_mul_f32_e32 v5, v20, v6
	v_mul_f32_e32 v6, v21, v6
.LBB177_55:                             ;   in Loop: Header=BB177_51 Depth=1
	s_andn2_b64 vcc, exec, s[14:15]
	s_cbranch_vccnz .LBB177_57
; %bb.56:                               ;   in Loop: Header=BB177_51 Depth=1
	v_div_scale_f32 v5, s[14:15], v11, v11, v12
	v_div_scale_f32 v6, vcc, v12, v11, v12
	v_rcp_f32_e32 v19, v5
	v_fma_f32 v20, -v5, v19, 1.0
	v_fmac_f32_e32 v19, v20, v19
	v_mul_f32_e32 v20, v6, v19
	v_fma_f32 v21, -v5, v20, v6
	v_fmac_f32_e32 v20, v21, v19
	v_fma_f32 v5, -v5, v20, v6
	v_div_fmas_f32 v5, v5, v19, v20
	v_div_fixup_f32 v5, v5, v11, v12
	v_fmac_f32_e32 v11, v12, v5
	v_div_scale_f32 v6, s[14:15], v11, v11, 1.0
	v_div_scale_f32 v12, vcc, 1.0, v11, 1.0
	v_rcp_f32_e32 v19, v6
	v_fma_f32 v20, -v6, v19, 1.0
	v_fmac_f32_e32 v19, v20, v19
	v_mul_f32_e32 v20, v12, v19
	v_fma_f32 v21, -v6, v20, v12
	v_fmac_f32_e32 v20, v21, v19
	v_fma_f32 v6, -v6, v20, v12
	v_div_fmas_f32 v6, v6, v19, v20
	v_fma_f32 v12, v10, v5, v9
	v_fma_f32 v9, -v9, v5, v10
	v_div_fixup_f32 v6, v6, v11, 1.0
	v_mul_f32_e32 v5, v12, v6
	v_mul_f32_e32 v6, v9, v6
.LBB177_57:                             ;   in Loop: Header=BB177_51 Depth=1
	s_lshl_b32 s14, s20, 9
	s_add_i32 s25, s23, s14
	s_add_i32 s14, s21, -8
	v_mov_b32_e32 v9, s14
	s_add_i32 s25, s25, -8
	ds_read_b64 v[11:12], v9
	v_mov_b32_e32 v9, s25
	ds_read_b64 v[9:10], v9
	ds_write_b64 v18, v[5:6]
	s_mov_b64 s[14:15], -1
	s_waitcnt lgkmcnt(2)
	v_mul_f32_e32 v18, v6, v12
	v_mul_f32_e32 v12, v5, v12
	v_fma_f32 v18, v5, v11, -v18
	v_fmac_f32_e32 v12, v6, v11
	s_waitcnt lgkmcnt(1)
	v_cmp_ngt_f32_e64 s[26:27], |v9|, |v10|
	v_sub_f32_e32 v11, v7, v18
	v_sub_f32_e32 v12, v8, v12
	s_and_b64 vcc, exec, s[26:27]
                                        ; implicit-def: $vgpr8
	s_cbranch_vccz .LBB177_59
; %bb.58:                               ;   in Loop: Header=BB177_51 Depth=1
	v_div_scale_f32 v7, s[14:15], v10, v10, v9
	v_div_scale_f32 v8, vcc, v9, v10, v9
	v_rcp_f32_e32 v18, v7
	v_fma_f32 v19, -v7, v18, 1.0
	v_fmac_f32_e32 v18, v19, v18
	v_mul_f32_e32 v19, v8, v18
	v_fma_f32 v20, -v7, v19, v8
	v_fmac_f32_e32 v19, v20, v18
	v_fma_f32 v7, -v7, v19, v8
	v_div_fmas_f32 v7, v7, v18, v19
	v_div_fixup_f32 v7, v7, v10, v9
	v_fma_f32 v8, v9, v7, v10
	v_div_scale_f32 v18, s[14:15], v8, v8, 1.0
	v_div_scale_f32 v19, vcc, 1.0, v8, 1.0
	s_mov_b64 s[14:15], 0
	v_rcp_f32_e32 v20, v18
	v_fma_f32 v21, -v18, v20, 1.0
	v_fmac_f32_e32 v20, v21, v20
	v_mul_f32_e32 v21, v19, v20
	v_fma_f32 v22, -v18, v21, v19
	v_fmac_f32_e32 v21, v22, v20
	v_fma_f32 v18, -v18, v21, v19
	v_div_fmas_f32 v18, v18, v20, v21
	v_fma_f32 v19, v7, v11, v12
	v_fma_f32 v20, v7, v12, -v11
	v_div_fixup_f32 v8, v18, v8, 1.0
	v_mul_f32_e32 v7, v19, v8
	v_mul_f32_e32 v8, v20, v8
.LBB177_59:                             ;   in Loop: Header=BB177_51 Depth=1
	s_andn2_b64 vcc, exec, s[14:15]
	s_cbranch_vccnz .LBB177_61
; %bb.60:                               ;   in Loop: Header=BB177_51 Depth=1
	v_div_scale_f32 v7, s[14:15], v9, v9, v10
	v_div_scale_f32 v8, vcc, v10, v9, v10
	v_rcp_f32_e32 v18, v7
	v_fma_f32 v19, -v7, v18, 1.0
	v_fmac_f32_e32 v18, v19, v18
	v_mul_f32_e32 v19, v8, v18
	v_fma_f32 v20, -v7, v19, v8
	v_fmac_f32_e32 v19, v20, v18
	v_fma_f32 v7, -v7, v19, v8
	v_div_fmas_f32 v7, v7, v18, v19
	v_div_fixup_f32 v7, v7, v9, v10
	v_fmac_f32_e32 v9, v10, v7
	v_div_scale_f32 v8, s[14:15], v9, v9, 1.0
	v_div_scale_f32 v10, vcc, 1.0, v9, 1.0
	v_rcp_f32_e32 v18, v8
	v_fma_f32 v19, -v8, v18, 1.0
	v_fmac_f32_e32 v18, v19, v18
	v_mul_f32_e32 v19, v10, v18
	v_fma_f32 v20, -v8, v19, v10
	v_fmac_f32_e32 v19, v20, v18
	v_fma_f32 v8, -v8, v19, v10
	v_div_fmas_f32 v8, v8, v18, v19
	v_fma_f32 v10, v7, v12, v11
	v_fma_f32 v11, -v7, v11, v12
	v_div_fixup_f32 v8, v8, v9, 1.0
	v_mul_f32_e32 v7, v10, v8
	v_mul_f32_e32 v8, v11, v8
.LBB177_61:                             ;   in Loop: Header=BB177_51 Depth=1
	s_add_i32 s15, s21, -16
	s_lshl_b32 s14, s22, 9
	v_mov_b32_e32 v9, s15
	s_lshl_b32 s15, s20, 3
	s_add_i32 s14, s23, s14
	ds_read_b64 v[11:12], v9
	s_sub_i32 s23, s25, s15
	s_lshl_b32 s22, s22, 3
	s_add_i32 s15, s23, s22
	s_add_i32 s20, s14, -16
	ds_write_b64 v17, v[7:8]
	v_mov_b32_e32 v9, s15
	v_mov_b32_e32 v10, s20
	ds_read_b64 v[17:18], v9
	ds_read_b64 v[9:10], v10
	s_waitcnt lgkmcnt(3)
	v_mul_f32_e32 v19, v6, v12
	v_mul_f32_e32 v12, v5, v12
	v_fmac_f32_e32 v12, v6, v11
	v_fma_f32 v19, v5, v11, -v19
	v_sub_f32_e32 v4, v4, v12
	s_waitcnt lgkmcnt(1)
	v_mul_f32_e32 v11, v8, v18
	v_mul_f32_e32 v12, v7, v18
	v_sub_f32_e32 v3, v3, v19
	v_fma_f32 v11, v7, v17, -v11
	v_fmac_f32_e32 v12, v8, v17
	s_waitcnt lgkmcnt(0)
	v_cmp_ngt_f32_e64 s[26:27], |v9|, |v10|
	v_sub_f32_e32 v3, v3, v11
	v_sub_f32_e32 v4, v4, v12
	s_mov_b64 s[14:15], -1
	s_and_b64 vcc, exec, s[26:27]
                                        ; implicit-def: $vgpr12
	s_cbranch_vccz .LBB177_63
; %bb.62:                               ;   in Loop: Header=BB177_51 Depth=1
	v_div_scale_f32 v11, s[14:15], v10, v10, v9
	v_div_scale_f32 v12, vcc, v9, v10, v9
	v_rcp_f32_e32 v17, v11
	v_fma_f32 v18, -v11, v17, 1.0
	v_fmac_f32_e32 v17, v18, v17
	v_mul_f32_e32 v18, v12, v17
	v_fma_f32 v19, -v11, v18, v12
	v_fmac_f32_e32 v18, v19, v17
	v_fma_f32 v11, -v11, v18, v12
	v_div_fmas_f32 v11, v11, v17, v18
	v_div_fixup_f32 v11, v11, v10, v9
	v_fma_f32 v12, v9, v11, v10
	v_div_scale_f32 v17, s[14:15], v12, v12, 1.0
	v_div_scale_f32 v18, vcc, 1.0, v12, 1.0
	s_mov_b64 s[14:15], 0
	v_rcp_f32_e32 v19, v17
	v_fma_f32 v20, -v17, v19, 1.0
	v_fmac_f32_e32 v19, v20, v19
	v_mul_f32_e32 v20, v18, v19
	v_fma_f32 v21, -v17, v20, v18
	v_fmac_f32_e32 v20, v21, v19
	v_fma_f32 v17, -v17, v20, v18
	v_div_fmas_f32 v17, v17, v19, v20
	v_fma_f32 v18, v11, v3, v4
	v_fma_f32 v19, v11, v4, -v3
	v_div_fixup_f32 v12, v17, v12, 1.0
	v_mul_f32_e32 v11, v18, v12
	v_mul_f32_e32 v12, v19, v12
.LBB177_63:                             ;   in Loop: Header=BB177_51 Depth=1
	s_andn2_b64 vcc, exec, s[14:15]
	s_cbranch_vccnz .LBB177_65
; %bb.64:                               ;   in Loop: Header=BB177_51 Depth=1
	v_div_scale_f32 v11, s[14:15], v9, v9, v10
	v_div_scale_f32 v12, vcc, v10, v9, v10
	v_rcp_f32_e32 v17, v11
	v_fma_f32 v18, -v11, v17, 1.0
	v_fmac_f32_e32 v17, v18, v17
	v_mul_f32_e32 v18, v12, v17
	v_fma_f32 v19, -v11, v18, v12
	v_fmac_f32_e32 v18, v19, v17
	v_fma_f32 v11, -v11, v18, v12
	v_div_fmas_f32 v11, v11, v17, v18
	v_div_fixup_f32 v11, v11, v9, v10
	v_fmac_f32_e32 v9, v10, v11
	v_div_scale_f32 v10, s[14:15], v9, v9, 1.0
	v_div_scale_f32 v12, vcc, 1.0, v9, 1.0
	v_rcp_f32_e32 v17, v10
	v_fma_f32 v18, -v10, v17, 1.0
	v_fmac_f32_e32 v17, v18, v17
	v_mul_f32_e32 v18, v12, v17
	v_fma_f32 v19, -v10, v18, v12
	v_fmac_f32_e32 v18, v19, v17
	v_fma_f32 v10, -v10, v18, v12
	v_div_fmas_f32 v10, v10, v17, v18
	v_fma_f32 v12, v11, v4, v3
	v_fma_f32 v3, -v11, v3, v4
	v_div_fixup_f32 v4, v10, v9, 1.0
	v_mul_f32_e32 v11, v12, v4
	v_mul_f32_e32 v12, v3, v4
.LBB177_65:                             ;   in Loop: Header=BB177_51 Depth=1
	s_sub_i32 s14, s21, 24
	v_mov_b32_e32 v3, s14
	s_lshl_b32 s14, s19, 3
	ds_read_b64 v[9:10], v3
	s_add_i32 s15, s23, s14
	v_mov_b32_e32 v3, s15
	s_sub_i32 s15, s20, s22
	s_add_i32 s14, s15, s14
	v_mov_b32_e32 v4, s14
	s_add_i32 s14, s20, 0xfffffdf8
	ds_write_b64 v16, v[11:12]
	v_mov_b32_e32 v20, s14
	ds_read_b64 v[16:17], v3
	ds_read_b64 v[18:19], v4
	ds_read_b64 v[3:4], v20
	s_waitcnt lgkmcnt(4)
	v_mul_f32_e32 v20, v6, v10
	v_fma_f32 v20, v5, v9, -v20
	v_mul_f32_e32 v5, v5, v10
	v_fmac_f32_e32 v5, v6, v9
	v_sub_f32_e32 v2, v2, v5
	s_waitcnt lgkmcnt(2)
	v_mul_f32_e32 v5, v8, v17
	v_mul_f32_e32 v6, v7, v17
	v_sub_f32_e32 v1, v1, v20
	v_fma_f32 v5, v7, v16, -v5
	v_fmac_f32_e32 v6, v8, v16
	v_sub_f32_e32 v1, v1, v5
	v_sub_f32_e32 v2, v2, v6
	s_waitcnt lgkmcnt(1)
	v_mul_f32_e32 v5, v12, v19
	v_mul_f32_e32 v6, v11, v19
	v_fma_f32 v5, v11, v18, -v5
	v_fmac_f32_e32 v6, v12, v18
	s_waitcnt lgkmcnt(0)
	v_cmp_ngt_f32_e64 s[20:21], |v3|, |v4|
	v_sub_f32_e32 v5, v1, v5
	v_sub_f32_e32 v6, v2, v6
	s_mov_b64 s[14:15], -1
	s_and_b64 vcc, exec, s[20:21]
                                        ; implicit-def: $vgpr2
	s_cbranch_vccz .LBB177_67
; %bb.66:                               ;   in Loop: Header=BB177_51 Depth=1
	v_div_scale_f32 v1, s[14:15], v4, v4, v3
	v_div_scale_f32 v2, vcc, v3, v4, v3
	v_rcp_f32_e32 v7, v1
	v_fma_f32 v8, -v1, v7, 1.0
	v_fmac_f32_e32 v7, v8, v7
	v_mul_f32_e32 v8, v2, v7
	v_fma_f32 v9, -v1, v8, v2
	v_fmac_f32_e32 v8, v9, v7
	v_fma_f32 v1, -v1, v8, v2
	v_div_fmas_f32 v1, v1, v7, v8
	v_div_fixup_f32 v1, v1, v4, v3
	v_fma_f32 v2, v3, v1, v4
	v_div_scale_f32 v7, s[14:15], v2, v2, 1.0
	v_div_scale_f32 v8, vcc, 1.0, v2, 1.0
	s_mov_b64 s[14:15], 0
	v_rcp_f32_e32 v9, v7
	v_fma_f32 v10, -v7, v9, 1.0
	v_fmac_f32_e32 v9, v10, v9
	v_mul_f32_e32 v10, v8, v9
	v_fma_f32 v11, -v7, v10, v8
	v_fmac_f32_e32 v10, v11, v9
	v_fma_f32 v7, -v7, v10, v8
	v_div_fmas_f32 v7, v7, v9, v10
	v_fma_f32 v8, v1, v5, v6
	v_fma_f32 v9, v1, v6, -v5
	v_div_fixup_f32 v2, v7, v2, 1.0
	v_mul_f32_e32 v1, v8, v2
	v_mul_f32_e32 v2, v9, v2
.LBB177_67:                             ;   in Loop: Header=BB177_51 Depth=1
	s_andn2_b64 vcc, exec, s[14:15]
	s_cbranch_vccnz .LBB177_69
; %bb.68:                               ;   in Loop: Header=BB177_51 Depth=1
	v_div_scale_f32 v1, s[14:15], v3, v3, v4
	v_div_scale_f32 v2, vcc, v4, v3, v4
	v_rcp_f32_e32 v7, v1
	v_fma_f32 v8, -v1, v7, 1.0
	v_fmac_f32_e32 v7, v8, v7
	v_mul_f32_e32 v8, v2, v7
	v_fma_f32 v9, -v1, v8, v2
	v_fmac_f32_e32 v8, v9, v7
	v_fma_f32 v1, -v1, v8, v2
	v_div_fmas_f32 v1, v1, v7, v8
	v_div_fixup_f32 v1, v1, v3, v4
	v_fmac_f32_e32 v3, v4, v1
	v_div_scale_f32 v2, s[14:15], v3, v3, 1.0
	v_div_scale_f32 v4, vcc, 1.0, v3, 1.0
	v_rcp_f32_e32 v7, v2
	v_fma_f32 v8, -v2, v7, 1.0
	v_fmac_f32_e32 v7, v8, v7
	v_mul_f32_e32 v8, v4, v7
	v_fma_f32 v9, -v2, v8, v4
	v_fmac_f32_e32 v8, v9, v7
	v_fma_f32 v2, -v2, v8, v4
	v_div_fmas_f32 v2, v2, v7, v8
	v_fma_f32 v4, v1, v6, v5
	v_fma_f32 v5, -v1, v5, v6
	v_div_fixup_f32 v2, v2, v3, 1.0
	v_mul_f32_e32 v1, v4, v2
	v_mul_f32_e32 v2, v5, v2
.LBB177_69:                             ;   in Loop: Header=BB177_51 Depth=1
	s_add_i32 s19, s18, -4
	s_sub_i32 s13, s13, 32
	s_cmp_lt_i32 s18, 7
	ds_write_b64 v15, v[1:2]
	s_cbranch_scc1 .LBB177_71
; %bb.70:                               ;   in Loop: Header=BB177_51 Depth=1
	s_mov_b32 s18, s19
	s_branch .LBB177_51
.LBB177_71:
	s_cmp_lt_i32 s19, 0
	s_cbranch_scc1 .LBB177_80
; %bb.72:
	s_lshl_b32 s14, s24, 9
	s_lshl_b32 s13, s19, 3
	s_add_i32 s13, s14, s13
	v_lshl_or_b32 v1, v0, 3, s14
	s_addk_i32 s13, 0xfe00
	v_add_u32_e32 v7, 0x7e00, v1
	s_branch .LBB177_74
.LBB177_73:                             ;   in Loop: Header=BB177_74 Depth=1
	v_sub_co_u32_e64 v1, s[14:15], s19, 1
	v_readfirstlane_b32 s19, v1
	s_add_i32 s13, s13, -8
	s_and_b64 vcc, exec, s[14:15]
	ds_write_b64 v8, v[5:6]
	s_cbranch_vccnz .LBB177_80
.LBB177_74:                             ; =>This Loop Header: Depth=1
                                        ;     Child Loop BB177_75 Depth 2
	s_lshl_b32 s14, s19, 9
	v_add_u32_e32 v8, s14, v13
	ds_read_b64 v[1:2], v8
	s_cmp_le_i32 s11, s19
	v_mov_b32_e32 v3, v7
	s_mov_b32 s15, s13
	s_mov_b32 s18, s11
	s_cbranch_scc1 .LBB177_76
.LBB177_75:                             ;   Parent Loop BB177_74 Depth=1
                                        ; =>  This Inner Loop Header: Depth=2
	v_mov_b32_e32 v6, s15
	ds_read_b64 v[4:5], v3
	ds_read_b64 v[9:10], v6
	s_add_i32 s18, s18, -1
	s_addk_i32 s15, 0xfe00
	v_add_u32_e32 v3, 0xfffffe00, v3
	s_cmp_le_u32 s18, s19
	s_waitcnt lgkmcnt(0)
	v_mul_f32_e32 v6, v10, v5
	v_mul_f32_e32 v5, v9, v5
	v_fma_f32 v6, v9, v4, -v6
	v_fmac_f32_e32 v5, v10, v4
	v_sub_f32_e32 v1, v1, v6
	v_sub_f32_e32 v2, v2, v5
	s_cbranch_scc0 .LBB177_75
.LBB177_76:                             ;   in Loop: Header=BB177_74 Depth=1
	s_lshl_b32 s15, s19, 3
	s_add_i32 s14, s15, s14
	v_mov_b32_e32 v3, s14
	ds_read_b64 v[3:4], v3
	s_mov_b64 s[14:15], -1
                                        ; implicit-def: $vgpr5
	s_waitcnt lgkmcnt(0)
	v_cmp_ngt_f32_e64 s[20:21], |v3|, |v4|
	s_and_b64 vcc, exec, s[20:21]
	s_cbranch_vccz .LBB177_78
; %bb.77:                               ;   in Loop: Header=BB177_74 Depth=1
	v_div_scale_f32 v5, s[14:15], v4, v4, v3
	v_div_scale_f32 v6, vcc, v3, v4, v3
	v_rcp_f32_e32 v9, v5
	v_fma_f32 v10, -v5, v9, 1.0
	v_fmac_f32_e32 v9, v10, v9
	v_mul_f32_e32 v10, v6, v9
	v_fma_f32 v11, -v5, v10, v6
	v_fmac_f32_e32 v10, v11, v9
	v_fma_f32 v5, -v5, v10, v6
	v_div_fmas_f32 v5, v5, v9, v10
	v_div_fixup_f32 v5, v5, v4, v3
	v_fma_f32 v6, v3, v5, v4
	v_div_scale_f32 v9, s[14:15], v6, v6, 1.0
	v_div_scale_f32 v10, vcc, 1.0, v6, 1.0
	s_mov_b64 s[14:15], 0
	v_rcp_f32_e32 v11, v9
	v_fma_f32 v12, -v9, v11, 1.0
	v_fmac_f32_e32 v11, v12, v11
	v_mul_f32_e32 v12, v10, v11
	v_fma_f32 v14, -v9, v12, v10
	v_fmac_f32_e32 v12, v14, v11
	v_fma_f32 v9, -v9, v12, v10
	v_div_fmas_f32 v9, v9, v11, v12
	v_fma_f32 v10, v1, v5, v2
	v_fma_f32 v11, v2, v5, -v1
	v_div_fixup_f32 v6, v9, v6, 1.0
	v_mul_f32_e32 v5, v10, v6
	v_mul_f32_e32 v6, v11, v6
.LBB177_78:                             ;   in Loop: Header=BB177_74 Depth=1
	s_andn2_b64 vcc, exec, s[14:15]
	s_cbranch_vccnz .LBB177_73
; %bb.79:                               ;   in Loop: Header=BB177_74 Depth=1
	v_div_scale_f32 v5, s[14:15], v3, v3, v4
	v_div_scale_f32 v6, vcc, v4, v3, v4
	v_rcp_f32_e32 v9, v5
	v_fma_f32 v10, -v5, v9, 1.0
	v_fmac_f32_e32 v9, v10, v9
	v_mul_f32_e32 v10, v6, v9
	v_fma_f32 v11, -v5, v10, v6
	v_fmac_f32_e32 v10, v11, v9
	v_fma_f32 v5, -v5, v10, v6
	v_div_fmas_f32 v5, v5, v9, v10
	v_div_fixup_f32 v5, v5, v3, v4
	v_fmac_f32_e32 v3, v4, v5
	v_div_scale_f32 v4, s[14:15], v3, v3, 1.0
	v_div_scale_f32 v6, vcc, 1.0, v3, 1.0
	v_rcp_f32_e32 v9, v4
	v_fma_f32 v10, -v4, v9, 1.0
	v_fmac_f32_e32 v9, v10, v9
	v_mul_f32_e32 v10, v6, v9
	v_fma_f32 v11, -v4, v10, v6
	v_fmac_f32_e32 v10, v11, v9
	v_fma_f32 v4, -v4, v10, v6
	v_div_fmas_f32 v4, v4, v9, v10
	v_fma_f32 v6, v2, v5, v1
	v_fma_f32 v1, -v1, v5, v2
	v_div_fixup_f32 v2, v4, v3, 1.0
	v_mul_f32_e32 v5, v6, v2
	v_mul_f32_e32 v6, v1, v2
	s_branch .LBB177_73
.LBB177_80:
	s_mov_b64 s[20:21], 0
.LBB177_81:
	s_andn2_b64 vcc, exec, s[20:21]
	s_cbranch_vccnz .LBB177_113
; %bb.82:
	s_andn2_b64 vcc, exec, s[8:9]
	s_mov_b32 s15, s11
	s_cbranch_vccnz .LBB177_104
; %bb.83:
	v_lshlrev_b32_e32 v1, 3, v0
	v_lshl_or_b32 v1, s24, 9, v1
	s_mul_i32 s8, s24, 0x208
	v_add_u32_e32 v14, 0x7e00, v1
	s_add_i32 s13, s8, 0xfffff7f8
	s_mov_b32 s14, s11
.LBB177_84:                             ; =>This Loop Header: Depth=1
                                        ;     Child Loop BB177_85 Depth 2
	v_lshl_add_u32 v18, s14, 9, v13
	s_add_i32 s20, s14, -1
	s_add_i32 s18, s14, -2
	;; [unrolled: 1-line block ×3, first 2 shown]
	v_lshl_add_u32 v17, s20, 9, v13
	v_lshl_add_u32 v16, s18, 9, v13
	;; [unrolled: 1-line block ×3, first 2 shown]
	ds_read_b64 v[1:2], v18
	ds_read_b64 v[11:12], v17
	;; [unrolled: 1-line block ×4, first 2 shown]
	s_cmp_le_i32 s11, s14
	s_mov_b32 s8, s13
	v_mov_b32_e32 v3, v14
	s_mov_b32 s9, s11
	s_cbranch_scc1 .LBB177_86
.LBB177_85:                             ;   Parent Loop BB177_84 Depth=1
                                        ; =>  This Inner Loop Header: Depth=2
	v_mov_b32_e32 v4, s8
	ds_read_b64 v[9:10], v3
	ds_read2st64_b64 v[19:22], v4 offset0:2 offset1:3
	ds_read2st64_b64 v[23:26], v4 offset1:1
	s_add_i32 s9, s9, -1
	s_add_i32 s8, s8, -8
	v_add_u32_e32 v3, 0xfffffe00, v3
	s_waitcnt lgkmcnt(1)
	v_mul_f32_e32 v4, v22, v10
	v_mul_f32_e32 v27, v21, v10
	;; [unrolled: 1-line block ×4, first 2 shown]
	s_waitcnt lgkmcnt(0)
	v_mul_f32_e32 v29, v26, v10
	v_mul_f32_e32 v26, v26, v9
	;; [unrolled: 1-line block ×4, first 2 shown]
	v_fma_f32 v4, v21, v9, -v4
	v_fmac_f32_e32 v27, v22, v9
	v_fma_f32 v21, v19, v9, -v28
	v_fmac_f32_e32 v20, v19, v10
	;; [unrolled: 2-line block ×4, first 2 shown]
	s_cmp_le_i32 s9, s14
	v_sub_f32_e32 v1, v1, v4
	v_sub_f32_e32 v2, v2, v27
	;; [unrolled: 1-line block ×8, first 2 shown]
	s_cbranch_scc0 .LBB177_85
.LBB177_86:                             ;   in Loop: Header=BB177_84 Depth=1
	s_mul_i32 s8, s14, 0x208
	v_mov_b32_e32 v3, s8
	ds_read_b64 v[3:4], v3
	s_lshl_b32 s22, s20, 6
	s_lshl_b32 s21, s18, 6
	;; [unrolled: 1-line block ×3, first 2 shown]
	s_mov_b64 s[8:9], -1
	s_waitcnt lgkmcnt(0)
	v_cmp_ngt_f32_e64 s[26:27], |v3|, |v4|
	s_and_b64 vcc, exec, s[26:27]
                                        ; implicit-def: $vgpr10
	s_cbranch_vccz .LBB177_88
; %bb.87:                               ;   in Loop: Header=BB177_84 Depth=1
	v_div_scale_f32 v9, s[8:9], v4, v4, v3
	v_div_scale_f32 v10, vcc, v3, v4, v3
	v_rcp_f32_e32 v19, v9
	v_fma_f32 v20, -v9, v19, 1.0
	v_fmac_f32_e32 v19, v20, v19
	v_mul_f32_e32 v20, v10, v19
	v_fma_f32 v21, -v9, v20, v10
	v_fmac_f32_e32 v20, v21, v19
	v_fma_f32 v9, -v9, v20, v10
	v_div_fmas_f32 v9, v9, v19, v20
	v_div_fixup_f32 v9, v9, v4, v3
	v_fma_f32 v10, v3, v9, v4
	v_div_scale_f32 v19, s[8:9], v10, v10, 1.0
	v_div_scale_f32 v20, vcc, 1.0, v10, 1.0
	s_mov_b64 s[8:9], 0
	v_rcp_f32_e32 v21, v19
	v_fma_f32 v22, -v19, v21, 1.0
	v_fmac_f32_e32 v21, v22, v21
	v_mul_f32_e32 v22, v20, v21
	v_fma_f32 v23, -v19, v22, v20
	v_fmac_f32_e32 v22, v23, v21
	v_fma_f32 v19, -v19, v22, v20
	v_div_fmas_f32 v19, v19, v21, v22
	v_fma_f32 v20, v1, v9, v2
	v_fma_f32 v21, v2, v9, -v1
	v_div_fixup_f32 v10, v19, v10, 1.0
	v_mul_f32_e32 v9, v20, v10
	v_mul_f32_e32 v10, v21, v10
.LBB177_88:                             ;   in Loop: Header=BB177_84 Depth=1
	s_andn2_b64 vcc, exec, s[8:9]
	s_cbranch_vccnz .LBB177_90
; %bb.89:                               ;   in Loop: Header=BB177_84 Depth=1
	v_div_scale_f32 v9, s[8:9], v3, v3, v4
	v_div_scale_f32 v10, vcc, v4, v3, v4
	v_rcp_f32_e32 v19, v9
	v_fma_f32 v20, -v9, v19, 1.0
	v_fmac_f32_e32 v19, v20, v19
	v_mul_f32_e32 v20, v10, v19
	v_fma_f32 v21, -v9, v20, v10
	v_fmac_f32_e32 v20, v21, v19
	v_fma_f32 v9, -v9, v20, v10
	v_div_fmas_f32 v9, v9, v19, v20
	v_div_fixup_f32 v9, v9, v3, v4
	v_fmac_f32_e32 v3, v4, v9
	v_div_scale_f32 v4, s[8:9], v3, v3, 1.0
	v_div_scale_f32 v10, vcc, 1.0, v3, 1.0
	v_rcp_f32_e32 v19, v4
	v_fma_f32 v20, -v4, v19, 1.0
	v_fmac_f32_e32 v19, v20, v19
	v_mul_f32_e32 v20, v10, v19
	v_fma_f32 v21, -v4, v20, v10
	v_fmac_f32_e32 v20, v21, v19
	v_fma_f32 v4, -v4, v20, v10
	v_div_fmas_f32 v4, v4, v19, v20
	v_fma_f32 v10, v2, v9, v1
	v_fma_f32 v1, -v1, v9, v2
	v_div_fixup_f32 v2, v4, v3, 1.0
	v_mul_f32_e32 v9, v10, v2
	v_mul_f32_e32 v10, v1, v2
.LBB177_90:                             ;   in Loop: Header=BB177_84 Depth=1
	s_lshl_b32 s8, s22, 3
	s_lshl_b32 s9, s20, 3
	s_add_i32 s8, s8, s9
	v_mov_b32_e32 v1, s8
	ds_read2_b64 v[1:4], v1 offset1:1
	ds_write_b64 v18, v[9:10]
	s_mov_b64 s[8:9], -1
	s_waitcnt lgkmcnt(1)
	v_mul_f32_e32 v18, v10, v4
	v_mul_f32_e32 v4, v9, v4
	v_fma_f32 v18, v9, v3, -v18
	v_fmac_f32_e32 v4, v10, v3
	v_cmp_ngt_f32_e64 s[22:23], |v1|, |v2|
	v_sub_f32_e32 v3, v11, v18
	v_sub_f32_e32 v4, v12, v4
	s_and_b64 vcc, exec, s[22:23]
                                        ; implicit-def: $vgpr12
	s_cbranch_vccz .LBB177_92
; %bb.91:                               ;   in Loop: Header=BB177_84 Depth=1
	v_div_scale_f32 v11, s[8:9], v2, v2, v1
	v_div_scale_f32 v12, vcc, v1, v2, v1
	v_rcp_f32_e32 v18, v11
	v_fma_f32 v19, -v11, v18, 1.0
	v_fmac_f32_e32 v18, v19, v18
	v_mul_f32_e32 v19, v12, v18
	v_fma_f32 v20, -v11, v19, v12
	v_fmac_f32_e32 v19, v20, v18
	v_fma_f32 v11, -v11, v19, v12
	v_div_fmas_f32 v11, v11, v18, v19
	v_div_fixup_f32 v11, v11, v2, v1
	v_fma_f32 v12, v1, v11, v2
	v_div_scale_f32 v18, s[8:9], v12, v12, 1.0
	v_div_scale_f32 v19, vcc, 1.0, v12, 1.0
	s_mov_b64 s[8:9], 0
	v_rcp_f32_e32 v20, v18
	v_fma_f32 v21, -v18, v20, 1.0
	v_fmac_f32_e32 v20, v21, v20
	v_mul_f32_e32 v21, v19, v20
	v_fma_f32 v22, -v18, v21, v19
	v_fmac_f32_e32 v21, v22, v20
	v_fma_f32 v18, -v18, v21, v19
	v_div_fmas_f32 v18, v18, v20, v21
	v_fma_f32 v19, v11, v3, v4
	v_fma_f32 v20, v11, v4, -v3
	v_div_fixup_f32 v12, v18, v12, 1.0
	v_mul_f32_e32 v11, v19, v12
	v_mul_f32_e32 v12, v20, v12
.LBB177_92:                             ;   in Loop: Header=BB177_84 Depth=1
	s_andn2_b64 vcc, exec, s[8:9]
	s_cbranch_vccnz .LBB177_94
; %bb.93:                               ;   in Loop: Header=BB177_84 Depth=1
	v_div_scale_f32 v11, s[8:9], v1, v1, v2
	v_div_scale_f32 v12, vcc, v2, v1, v2
	v_rcp_f32_e32 v18, v11
	v_fma_f32 v19, -v11, v18, 1.0
	v_fmac_f32_e32 v18, v19, v18
	v_mul_f32_e32 v19, v12, v18
	v_fma_f32 v20, -v11, v19, v12
	v_fmac_f32_e32 v19, v20, v18
	v_fma_f32 v11, -v11, v19, v12
	v_div_fmas_f32 v11, v11, v18, v19
	v_div_fixup_f32 v11, v11, v1, v2
	v_fmac_f32_e32 v1, v2, v11
	v_div_scale_f32 v2, s[8:9], v1, v1, 1.0
	v_div_scale_f32 v12, vcc, 1.0, v1, 1.0
	v_rcp_f32_e32 v18, v2
	v_fma_f32 v19, -v2, v18, 1.0
	v_fmac_f32_e32 v18, v19, v18
	v_mul_f32_e32 v19, v12, v18
	v_fma_f32 v20, -v2, v19, v12
	v_fmac_f32_e32 v19, v20, v18
	v_fma_f32 v2, -v2, v19, v12
	v_div_fmas_f32 v2, v2, v18, v19
	v_fma_f32 v12, v11, v4, v3
	v_fma_f32 v3, -v11, v3, v4
	v_div_fixup_f32 v1, v2, v1, 1.0
	v_mul_f32_e32 v11, v12, v1
	v_mul_f32_e32 v12, v3, v1
.LBB177_94:                             ;   in Loop: Header=BB177_84 Depth=1
	s_lshl_b32 s8, s21, 3
	s_lshl_b32 s20, s14, 3
	s_add_i32 s9, s8, s20
	v_mov_b32_e32 v1, s9
	s_lshl_b32 s9, s18, 3
	s_add_i32 s8, s8, s9
	ds_write_b64 v17, v[11:12]
	ds_read_b64 v[17:18], v1
	v_mov_b32_e32 v1, s8
	ds_read2_b64 v[1:4], v1 offset1:1
	s_mov_b64 s[8:9], -1
	s_waitcnt lgkmcnt(1)
	v_mul_f32_e32 v19, v10, v18
	v_mul_f32_e32 v18, v9, v18
	v_fma_f32 v19, v9, v17, -v19
	v_fmac_f32_e32 v18, v10, v17
	s_waitcnt lgkmcnt(0)
	v_mul_f32_e32 v17, v12, v4
	v_mul_f32_e32 v4, v11, v4
	v_sub_f32_e32 v7, v7, v19
	v_sub_f32_e32 v8, v8, v18
	v_fma_f32 v17, v11, v3, -v17
	v_fmac_f32_e32 v4, v12, v3
	v_cmp_ngt_f32_e64 s[22:23], |v1|, |v2|
	v_sub_f32_e32 v3, v7, v17
	v_sub_f32_e32 v4, v8, v4
	s_and_b64 vcc, exec, s[22:23]
                                        ; implicit-def: $vgpr8
	s_cbranch_vccz .LBB177_96
; %bb.95:                               ;   in Loop: Header=BB177_84 Depth=1
	v_div_scale_f32 v7, s[8:9], v2, v2, v1
	v_div_scale_f32 v8, vcc, v1, v2, v1
	v_rcp_f32_e32 v17, v7
	v_fma_f32 v18, -v7, v17, 1.0
	v_fmac_f32_e32 v17, v18, v17
	v_mul_f32_e32 v18, v8, v17
	v_fma_f32 v19, -v7, v18, v8
	v_fmac_f32_e32 v18, v19, v17
	v_fma_f32 v7, -v7, v18, v8
	v_div_fmas_f32 v7, v7, v17, v18
	v_div_fixup_f32 v7, v7, v2, v1
	v_fma_f32 v8, v1, v7, v2
	v_div_scale_f32 v17, s[8:9], v8, v8, 1.0
	v_div_scale_f32 v18, vcc, 1.0, v8, 1.0
	s_mov_b64 s[8:9], 0
	v_rcp_f32_e32 v19, v17
	v_fma_f32 v20, -v17, v19, 1.0
	v_fmac_f32_e32 v19, v20, v19
	v_mul_f32_e32 v20, v18, v19
	v_fma_f32 v21, -v17, v20, v18
	v_fmac_f32_e32 v20, v21, v19
	v_fma_f32 v17, -v17, v20, v18
	v_div_fmas_f32 v17, v17, v19, v20
	v_fma_f32 v18, v7, v3, v4
	v_fma_f32 v19, v7, v4, -v3
	v_div_fixup_f32 v8, v17, v8, 1.0
	v_mul_f32_e32 v7, v18, v8
	v_mul_f32_e32 v8, v19, v8
.LBB177_96:                             ;   in Loop: Header=BB177_84 Depth=1
	s_andn2_b64 vcc, exec, s[8:9]
	s_cbranch_vccnz .LBB177_98
; %bb.97:                               ;   in Loop: Header=BB177_84 Depth=1
	v_div_scale_f32 v7, s[8:9], v1, v1, v2
	v_div_scale_f32 v8, vcc, v2, v1, v2
	v_rcp_f32_e32 v17, v7
	v_fma_f32 v18, -v7, v17, 1.0
	v_fmac_f32_e32 v17, v18, v17
	v_mul_f32_e32 v18, v8, v17
	v_fma_f32 v19, -v7, v18, v8
	v_fmac_f32_e32 v18, v19, v17
	v_fma_f32 v7, -v7, v18, v8
	v_div_fmas_f32 v7, v7, v17, v18
	v_div_fixup_f32 v7, v7, v1, v2
	v_fmac_f32_e32 v1, v2, v7
	v_div_scale_f32 v2, s[8:9], v1, v1, 1.0
	v_div_scale_f32 v8, vcc, 1.0, v1, 1.0
	v_rcp_f32_e32 v17, v2
	v_fma_f32 v18, -v2, v17, 1.0
	v_fmac_f32_e32 v17, v18, v17
	v_mul_f32_e32 v18, v8, v17
	v_fma_f32 v19, -v2, v18, v8
	v_fmac_f32_e32 v18, v19, v17
	v_fma_f32 v2, -v2, v18, v8
	v_div_fmas_f32 v2, v2, v17, v18
	v_fma_f32 v8, v7, v4, v3
	v_fma_f32 v3, -v7, v3, v4
	v_div_fixup_f32 v1, v2, v1, 1.0
	v_mul_f32_e32 v7, v8, v1
	v_mul_f32_e32 v8, v3, v1
.LBB177_98:                             ;   in Loop: Header=BB177_84 Depth=1
	s_lshl_b32 s8, s19, 3
	s_add_i32 s9, s8, s20
	s_add_i32 s9, s9, -8
	v_mov_b32_e32 v1, s9
	ds_write_b64 v16, v[7:8]
	ds_read2_b64 v[16:19], v1 offset1:1
	s_lshl_b32 s9, s15, 3
	s_add_i32 s8, s8, s9
	v_mov_b32_e32 v1, s8
	ds_read2_b64 v[1:4], v1 offset1:1
	s_waitcnt lgkmcnt(1)
	v_mul_f32_e32 v20, v10, v19
	v_fma_f32 v20, v9, v18, -v20
	v_mul_f32_e32 v9, v9, v19
	v_fmac_f32_e32 v9, v10, v18
	v_sub_f32_e32 v6, v6, v9
	v_mul_f32_e32 v9, v12, v17
	v_sub_f32_e32 v5, v5, v20
	v_fma_f32 v9, v11, v16, -v9
	v_mul_f32_e32 v10, v11, v17
	v_fmac_f32_e32 v10, v12, v16
	v_sub_f32_e32 v5, v5, v9
	s_waitcnt lgkmcnt(0)
	v_mul_f32_e32 v9, v8, v4
	v_mul_f32_e32 v4, v7, v4
	v_sub_f32_e32 v6, v6, v10
	v_fma_f32 v9, v7, v3, -v9
	v_fmac_f32_e32 v4, v8, v3
	v_cmp_ngt_f32_e64 s[18:19], |v1|, |v2|
	v_sub_f32_e32 v5, v5, v9
	v_sub_f32_e32 v6, v6, v4
	s_mov_b64 s[8:9], -1
	s_and_b64 vcc, exec, s[18:19]
                                        ; implicit-def: $vgpr4
	s_cbranch_vccz .LBB177_100
; %bb.99:                               ;   in Loop: Header=BB177_84 Depth=1
	v_div_scale_f32 v3, s[8:9], v2, v2, v1
	v_div_scale_f32 v4, vcc, v1, v2, v1
	v_rcp_f32_e32 v7, v3
	v_fma_f32 v8, -v3, v7, 1.0
	v_fmac_f32_e32 v7, v8, v7
	v_mul_f32_e32 v8, v4, v7
	v_fma_f32 v9, -v3, v8, v4
	v_fmac_f32_e32 v8, v9, v7
	v_fma_f32 v3, -v3, v8, v4
	v_div_fmas_f32 v3, v3, v7, v8
	v_div_fixup_f32 v3, v3, v2, v1
	v_fma_f32 v4, v1, v3, v2
	v_div_scale_f32 v7, s[8:9], v4, v4, 1.0
	v_div_scale_f32 v8, vcc, 1.0, v4, 1.0
	s_mov_b64 s[8:9], 0
	v_rcp_f32_e32 v9, v7
	v_fma_f32 v10, -v7, v9, 1.0
	v_fmac_f32_e32 v9, v10, v9
	v_mul_f32_e32 v10, v8, v9
	v_fma_f32 v11, -v7, v10, v8
	v_fmac_f32_e32 v10, v11, v9
	v_fma_f32 v7, -v7, v10, v8
	v_div_fmas_f32 v7, v7, v9, v10
	v_fma_f32 v8, v3, v5, v6
	v_fma_f32 v9, v3, v6, -v5
	v_div_fixup_f32 v4, v7, v4, 1.0
	v_mul_f32_e32 v3, v8, v4
	v_mul_f32_e32 v4, v9, v4
.LBB177_100:                            ;   in Loop: Header=BB177_84 Depth=1
	s_andn2_b64 vcc, exec, s[8:9]
	s_cbranch_vccnz .LBB177_102
; %bb.101:                              ;   in Loop: Header=BB177_84 Depth=1
	v_div_scale_f32 v3, s[8:9], v1, v1, v2
	v_div_scale_f32 v4, vcc, v2, v1, v2
	v_rcp_f32_e32 v7, v3
	v_fma_f32 v8, -v3, v7, 1.0
	v_fmac_f32_e32 v7, v8, v7
	v_mul_f32_e32 v8, v4, v7
	v_fma_f32 v9, -v3, v8, v4
	v_fmac_f32_e32 v8, v9, v7
	v_fma_f32 v3, -v3, v8, v4
	v_div_fmas_f32 v3, v3, v7, v8
	v_div_fixup_f32 v3, v3, v1, v2
	v_fmac_f32_e32 v1, v2, v3
	v_div_scale_f32 v2, s[8:9], v1, v1, 1.0
	v_div_scale_f32 v4, vcc, 1.0, v1, 1.0
	v_rcp_f32_e32 v7, v2
	v_fma_f32 v8, -v2, v7, 1.0
	v_fmac_f32_e32 v7, v8, v7
	v_mul_f32_e32 v8, v4, v7
	v_fma_f32 v9, -v2, v8, v4
	v_fmac_f32_e32 v8, v9, v7
	v_fma_f32 v2, -v2, v8, v4
	v_div_fmas_f32 v2, v2, v7, v8
	v_fma_f32 v4, v3, v6, v5
	v_fma_f32 v5, -v3, v5, v6
	v_div_fixup_f32 v1, v2, v1, 1.0
	v_mul_f32_e32 v3, v4, v1
	v_mul_f32_e32 v4, v5, v1
.LBB177_102:                            ;   in Loop: Header=BB177_84 Depth=1
	s_add_i32 s15, s14, -4
	s_addk_i32 s13, 0xf800
	s_cmp_lt_i32 s14, 7
	ds_write_b64 v15, v[3:4]
	s_cbranch_scc1 .LBB177_104
; %bb.103:                              ;   in Loop: Header=BB177_84 Depth=1
	s_mov_b32 s14, s15
	s_branch .LBB177_84
.LBB177_104:
	s_cmp_lt_i32 s15, 0
	s_cbranch_scc1 .LBB177_113
; %bb.105:
	v_lshlrev_b32_e32 v1, 3, v0
	s_lshl_b32 s8, s15, 9
	s_lshl_b32 s9, s24, 3
	v_lshl_or_b32 v1, s24, 9, v1
	s_add_i32 s8, s8, s9
	v_add_u32_e32 v7, 0x7e00, v1
	s_add_i32 s13, s8, -8
	s_branch .LBB177_107
.LBB177_106:                            ;   in Loop: Header=BB177_107 Depth=1
	v_sub_co_u32_e64 v1, s[8:9], s15, 1
	v_readfirstlane_b32 s15, v1
	s_addk_i32 s13, 0xfe00
	s_and_b64 vcc, exec, s[8:9]
	ds_write_b64 v8, v[5:6]
	s_cbranch_vccnz .LBB177_113
.LBB177_107:                            ; =>This Loop Header: Depth=1
                                        ;     Child Loop BB177_108 Depth 2
	v_lshl_add_u32 v8, s15, 9, v13
	ds_read_b64 v[1:2], v8
	s_cmp_le_i32 s11, s15
	s_mov_b32 s8, s13
	v_mov_b32_e32 v3, v7
	s_mov_b32 s9, s11
	s_cbranch_scc1 .LBB177_109
.LBB177_108:                            ;   Parent Loop BB177_107 Depth=1
                                        ; =>  This Inner Loop Header: Depth=2
	v_mov_b32_e32 v6, s8
	ds_read_b64 v[4:5], v3
	ds_read_b64 v[9:10], v6
	s_add_i32 s9, s9, -1
	s_add_i32 s8, s8, -8
	v_add_u32_e32 v3, 0xfffffe00, v3
	s_cmp_le_u32 s9, s15
	s_waitcnt lgkmcnt(0)
	v_mul_f32_e32 v6, v10, v5
	v_mul_f32_e32 v5, v9, v5
	v_fma_f32 v6, v9, v4, -v6
	v_fmac_f32_e32 v5, v10, v4
	v_sub_f32_e32 v1, v1, v6
	v_sub_f32_e32 v2, v2, v5
	s_cbranch_scc0 .LBB177_108
.LBB177_109:                            ;   in Loop: Header=BB177_107 Depth=1
	s_mul_i32 s8, s15, 0x208
	v_mov_b32_e32 v3, s8
	ds_read_b64 v[3:4], v3
	s_mov_b64 s[8:9], -1
                                        ; implicit-def: $vgpr5
	s_waitcnt lgkmcnt(0)
	v_cmp_ngt_f32_e64 s[18:19], |v3|, |v4|
	s_and_b64 vcc, exec, s[18:19]
	s_cbranch_vccz .LBB177_111
; %bb.110:                              ;   in Loop: Header=BB177_107 Depth=1
	v_div_scale_f32 v5, s[8:9], v4, v4, v3
	v_div_scale_f32 v6, vcc, v3, v4, v3
	v_rcp_f32_e32 v9, v5
	v_fma_f32 v10, -v5, v9, 1.0
	v_fmac_f32_e32 v9, v10, v9
	v_mul_f32_e32 v10, v6, v9
	v_fma_f32 v11, -v5, v10, v6
	v_fmac_f32_e32 v10, v11, v9
	v_fma_f32 v5, -v5, v10, v6
	v_div_fmas_f32 v5, v5, v9, v10
	v_div_fixup_f32 v5, v5, v4, v3
	v_fma_f32 v6, v3, v5, v4
	v_div_scale_f32 v9, s[8:9], v6, v6, 1.0
	v_div_scale_f32 v10, vcc, 1.0, v6, 1.0
	s_mov_b64 s[8:9], 0
	v_rcp_f32_e32 v11, v9
	v_fma_f32 v12, -v9, v11, 1.0
	v_fmac_f32_e32 v11, v12, v11
	v_mul_f32_e32 v12, v10, v11
	v_fma_f32 v14, -v9, v12, v10
	v_fmac_f32_e32 v12, v14, v11
	v_fma_f32 v9, -v9, v12, v10
	v_div_fmas_f32 v9, v9, v11, v12
	v_fma_f32 v10, v1, v5, v2
	v_fma_f32 v11, v2, v5, -v1
	v_div_fixup_f32 v6, v9, v6, 1.0
	v_mul_f32_e32 v5, v10, v6
	v_mul_f32_e32 v6, v11, v6
.LBB177_111:                            ;   in Loop: Header=BB177_107 Depth=1
	s_andn2_b64 vcc, exec, s[8:9]
	s_cbranch_vccnz .LBB177_106
; %bb.112:                              ;   in Loop: Header=BB177_107 Depth=1
	v_div_scale_f32 v5, s[8:9], v3, v3, v4
	v_div_scale_f32 v6, vcc, v4, v3, v4
	v_rcp_f32_e32 v9, v5
	v_fma_f32 v10, -v5, v9, 1.0
	v_fmac_f32_e32 v9, v10, v9
	v_mul_f32_e32 v10, v6, v9
	v_fma_f32 v11, -v5, v10, v6
	v_fmac_f32_e32 v10, v11, v9
	v_fma_f32 v5, -v5, v10, v6
	v_div_fmas_f32 v5, v5, v9, v10
	v_div_fixup_f32 v5, v5, v3, v4
	v_fmac_f32_e32 v3, v4, v5
	v_div_scale_f32 v4, s[8:9], v3, v3, 1.0
	v_div_scale_f32 v6, vcc, 1.0, v3, 1.0
	v_rcp_f32_e32 v9, v4
	v_fma_f32 v10, -v4, v9, 1.0
	v_fmac_f32_e32 v9, v10, v9
	v_mul_f32_e32 v10, v6, v9
	v_fma_f32 v11, -v4, v10, v6
	v_fmac_f32_e32 v10, v11, v9
	v_fma_f32 v4, -v4, v10, v6
	v_div_fmas_f32 v4, v4, v9, v10
	v_fma_f32 v6, v2, v5, v1
	v_fma_f32 v1, -v1, v5, v2
	v_div_fixup_f32 v2, v4, v3, 1.0
	v_mul_f32_e32 v5, v6, v2
	v_mul_f32_e32 v6, v1, v2
	s_branch .LBB177_106
.LBB177_113:
	s_mov_b64 s[20:21], 0
.LBB177_114:
	s_andn2_b64 vcc, exec, s[20:21]
	s_cbranch_vccnz .LBB177_146
; %bb.115:
	v_mov_b32_e32 v1, 0x8000
	v_lshl_or_b32 v13, v0, 3, v1
	s_cmp_lt_i32 s12, 4
	s_mov_b32 s14, 0
	s_cbranch_scc1 .LBB177_137
; %bb.116:
	s_mov_b32 s11, 0
	s_mov_b32 s13, 0
.LBB177_117:                            ; =>This Loop Header: Depth=1
                                        ;     Child Loop BB177_118 Depth 2
	s_or_b32 s8, s13, 3
	v_lshl_add_u32 v17, s13, 9, v13
	s_or_b32 s9, s13, 1
	s_or_b32 s14, s13, 2
	v_lshl_add_u32 v16, s9, 9, v13
	v_lshl_add_u32 v15, s14, 9, v13
	;; [unrolled: 1-line block ×3, first 2 shown]
	ds_read_b64 v[1:2], v17
	ds_read_b64 v[11:12], v16
	;; [unrolled: 1-line block ×4, first 2 shown]
	s_cmp_eq_u32 s13, 0
	s_mov_b32 s15, s11
	v_mov_b32_e32 v3, v13
	s_mov_b32 s18, s13
	s_cbranch_scc1 .LBB177_119
.LBB177_118:                            ;   Parent Loop BB177_117 Depth=1
                                        ; =>  This Inner Loop Header: Depth=2
	v_mov_b32_e32 v4, s15
	ds_read_b64 v[9:10], v3
	ds_read2st64_b64 v[18:21], v4 offset1:1
	ds_read2st64_b64 v[22:25], v4 offset0:2 offset1:3
	s_add_i32 s18, s18, -1
	s_add_i32 s15, s15, 8
	v_add_u32_e32 v3, 0x200, v3
	s_waitcnt lgkmcnt(1)
	v_mul_f32_e32 v4, v19, v10
	v_mul_f32_e32 v26, v18, v10
	;; [unrolled: 1-line block ×4, first 2 shown]
	s_waitcnt lgkmcnt(0)
	v_mul_f32_e32 v28, v23, v10
	v_mul_f32_e32 v23, v23, v9
	;; [unrolled: 1-line block ×4, first 2 shown]
	v_fma_f32 v4, v18, v9, -v4
	v_fmac_f32_e32 v26, v19, v9
	v_fma_f32 v18, v20, v9, -v27
	v_fmac_f32_e32 v21, v20, v10
	;; [unrolled: 2-line block ×4, first 2 shown]
	s_cmp_eq_u32 s18, 0
	v_sub_f32_e32 v1, v1, v4
	v_sub_f32_e32 v2, v2, v26
	;; [unrolled: 1-line block ×8, first 2 shown]
	s_cbranch_scc0 .LBB177_118
.LBB177_119:                            ;   in Loop: Header=BB177_117 Depth=1
	s_lshl_b32 s15, s8, 6
	s_mul_i32 s8, s13, 0x208
	v_mov_b32_e32 v3, s8
	ds_read_b64 v[3:4], v3
	s_lshl_b32 s18, s9, 6
	s_lshl_b32 s19, s14, 6
	s_mov_b64 s[8:9], -1
                                        ; implicit-def: $vgpr10
	s_waitcnt lgkmcnt(0)
	v_cmp_ngt_f32_e64 s[20:21], |v3|, |v4|
	s_and_b64 vcc, exec, s[20:21]
	s_cbranch_vccz .LBB177_121
; %bb.120:                              ;   in Loop: Header=BB177_117 Depth=1
	v_div_scale_f32 v9, s[8:9], v4, v4, v3
	v_div_scale_f32 v10, vcc, v3, v4, v3
	v_rcp_f32_e32 v18, v9
	v_fma_f32 v19, -v9, v18, 1.0
	v_fmac_f32_e32 v18, v19, v18
	v_mul_f32_e32 v19, v10, v18
	v_fma_f32 v20, -v9, v19, v10
	v_fmac_f32_e32 v19, v20, v18
	v_fma_f32 v9, -v9, v19, v10
	v_div_fmas_f32 v9, v9, v18, v19
	v_div_fixup_f32 v9, v9, v4, v3
	v_fma_f32 v10, v3, v9, v4
	v_div_scale_f32 v18, s[8:9], v10, v10, 1.0
	v_div_scale_f32 v19, vcc, 1.0, v10, 1.0
	s_mov_b64 s[8:9], 0
	v_rcp_f32_e32 v20, v18
	v_fma_f32 v21, -v18, v20, 1.0
	v_fmac_f32_e32 v20, v21, v20
	v_mul_f32_e32 v21, v19, v20
	v_fma_f32 v22, -v18, v21, v19
	v_fmac_f32_e32 v21, v22, v20
	v_fma_f32 v18, -v18, v21, v19
	v_div_fmas_f32 v18, v18, v20, v21
	v_fma_f32 v19, v1, v9, v2
	v_fma_f32 v20, v2, v9, -v1
	v_div_fixup_f32 v10, v18, v10, 1.0
	v_mul_f32_e32 v9, v19, v10
	v_mul_f32_e32 v10, v20, v10
.LBB177_121:                            ;   in Loop: Header=BB177_117 Depth=1
	s_andn2_b64 vcc, exec, s[8:9]
	s_cbranch_vccnz .LBB177_123
; %bb.122:                              ;   in Loop: Header=BB177_117 Depth=1
	v_div_scale_f32 v9, s[8:9], v3, v3, v4
	v_div_scale_f32 v10, vcc, v4, v3, v4
	v_rcp_f32_e32 v18, v9
	v_fma_f32 v19, -v9, v18, 1.0
	v_fmac_f32_e32 v18, v19, v18
	v_mul_f32_e32 v19, v10, v18
	v_fma_f32 v20, -v9, v19, v10
	v_fmac_f32_e32 v19, v20, v18
	v_fma_f32 v9, -v9, v19, v10
	v_div_fmas_f32 v9, v9, v18, v19
	v_div_fixup_f32 v9, v9, v3, v4
	v_fmac_f32_e32 v3, v4, v9
	v_div_scale_f32 v4, s[8:9], v3, v3, 1.0
	v_div_scale_f32 v10, vcc, 1.0, v3, 1.0
	v_rcp_f32_e32 v18, v4
	v_fma_f32 v19, -v4, v18, 1.0
	v_fmac_f32_e32 v18, v19, v18
	v_mul_f32_e32 v19, v10, v18
	v_fma_f32 v20, -v4, v19, v10
	v_fmac_f32_e32 v19, v20, v18
	v_fma_f32 v4, -v4, v19, v10
	v_div_fmas_f32 v4, v4, v18, v19
	v_fma_f32 v10, v2, v9, v1
	v_fma_f32 v1, -v1, v9, v2
	v_div_fixup_f32 v2, v4, v3, 1.0
	v_mul_f32_e32 v9, v10, v2
	v_mul_f32_e32 v10, v1, v2
.LBB177_123:                            ;   in Loop: Header=BB177_117 Depth=1
	s_lshl_b32 s8, s18, 3
	s_lshl_b32 s18, s13, 3
	s_add_i32 s8, s8, s18
	v_mov_b32_e32 v1, s8
	ds_read_b128 v[1:4], v1
	ds_write_b64 v17, v[9:10]
	s_mov_b64 s[8:9], -1
	s_waitcnt lgkmcnt(1)
	v_mul_f32_e32 v17, v10, v2
	v_mul_f32_e32 v2, v9, v2
	v_fma_f32 v17, v9, v1, -v17
	v_fmac_f32_e32 v2, v10, v1
	v_cmp_ngt_f32_e64 s[20:21], |v3|, |v4|
	v_sub_f32_e32 v1, v11, v17
	v_sub_f32_e32 v2, v12, v2
	s_and_b64 vcc, exec, s[20:21]
                                        ; implicit-def: $vgpr12
	s_cbranch_vccz .LBB177_125
; %bb.124:                              ;   in Loop: Header=BB177_117 Depth=1
	v_div_scale_f32 v11, s[8:9], v4, v4, v3
	v_div_scale_f32 v12, vcc, v3, v4, v3
	v_rcp_f32_e32 v17, v11
	v_fma_f32 v18, -v11, v17, 1.0
	v_fmac_f32_e32 v17, v18, v17
	v_mul_f32_e32 v18, v12, v17
	v_fma_f32 v19, -v11, v18, v12
	v_fmac_f32_e32 v18, v19, v17
	v_fma_f32 v11, -v11, v18, v12
	v_div_fmas_f32 v11, v11, v17, v18
	v_div_fixup_f32 v11, v11, v4, v3
	v_fma_f32 v12, v3, v11, v4
	v_div_scale_f32 v17, s[8:9], v12, v12, 1.0
	v_div_scale_f32 v18, vcc, 1.0, v12, 1.0
	s_mov_b64 s[8:9], 0
	v_rcp_f32_e32 v19, v17
	v_fma_f32 v20, -v17, v19, 1.0
	v_fmac_f32_e32 v19, v20, v19
	v_mul_f32_e32 v20, v18, v19
	v_fma_f32 v21, -v17, v20, v18
	v_fmac_f32_e32 v20, v21, v19
	v_fma_f32 v17, -v17, v20, v18
	v_div_fmas_f32 v17, v17, v19, v20
	v_fma_f32 v18, v11, v1, v2
	v_fma_f32 v19, v11, v2, -v1
	v_div_fixup_f32 v12, v17, v12, 1.0
	v_mul_f32_e32 v11, v18, v12
	v_mul_f32_e32 v12, v19, v12
.LBB177_125:                            ;   in Loop: Header=BB177_117 Depth=1
	s_andn2_b64 vcc, exec, s[8:9]
	s_cbranch_vccnz .LBB177_127
; %bb.126:                              ;   in Loop: Header=BB177_117 Depth=1
	v_div_scale_f32 v11, s[8:9], v3, v3, v4
	v_div_scale_f32 v12, vcc, v4, v3, v4
	v_rcp_f32_e32 v17, v11
	v_fma_f32 v18, -v11, v17, 1.0
	v_fmac_f32_e32 v17, v18, v17
	v_mul_f32_e32 v18, v12, v17
	v_fma_f32 v19, -v11, v18, v12
	v_fmac_f32_e32 v18, v19, v17
	v_fma_f32 v11, -v11, v18, v12
	v_div_fmas_f32 v11, v11, v17, v18
	v_div_fixup_f32 v11, v11, v3, v4
	v_fmac_f32_e32 v3, v4, v11
	v_div_scale_f32 v4, s[8:9], v3, v3, 1.0
	v_div_scale_f32 v12, vcc, 1.0, v3, 1.0
	v_rcp_f32_e32 v17, v4
	v_fma_f32 v18, -v4, v17, 1.0
	v_fmac_f32_e32 v17, v18, v17
	v_mul_f32_e32 v18, v12, v17
	v_fma_f32 v19, -v4, v18, v12
	v_fmac_f32_e32 v18, v19, v17
	v_fma_f32 v4, -v4, v18, v12
	v_div_fmas_f32 v4, v4, v17, v18
	v_fma_f32 v12, v11, v2, v1
	v_fma_f32 v1, -v11, v1, v2
	v_div_fixup_f32 v2, v4, v3, 1.0
	v_mul_f32_e32 v11, v12, v2
	v_mul_f32_e32 v12, v1, v2
.LBB177_127:                            ;   in Loop: Header=BB177_117 Depth=1
	s_lshl_b32 s8, s19, 3
	s_add_i32 s9, s8, s18
	v_mov_b32_e32 v1, s9
	ds_write_b64 v16, v[11:12]
	ds_read_b128 v[16:19], v1
	s_lshl_b32 s9, s14, 3
	s_add_i32 s8, s8, s9
	v_mov_b32_e32 v1, s8
	ds_read_b64 v[1:2], v1
	s_waitcnt lgkmcnt(1)
	v_mul_f32_e32 v3, v10, v17
	v_mul_f32_e32 v4, v9, v17
	v_fma_f32 v3, v9, v16, -v3
	v_fmac_f32_e32 v4, v10, v16
	v_sub_f32_e32 v3, v7, v3
	v_sub_f32_e32 v4, v8, v4
	v_mul_f32_e32 v7, v12, v19
	v_mul_f32_e32 v8, v11, v19
	v_fma_f32 v7, v11, v18, -v7
	v_fmac_f32_e32 v8, v12, v18
	s_waitcnt lgkmcnt(0)
	v_cmp_ngt_f32_e64 s[20:21], |v1|, |v2|
	v_sub_f32_e32 v3, v3, v7
	v_sub_f32_e32 v4, v4, v8
	s_mov_b64 s[8:9], -1
	s_and_b64 vcc, exec, s[20:21]
                                        ; implicit-def: $vgpr8
	s_cbranch_vccz .LBB177_129
; %bb.128:                              ;   in Loop: Header=BB177_117 Depth=1
	v_div_scale_f32 v7, s[8:9], v2, v2, v1
	v_div_scale_f32 v8, vcc, v1, v2, v1
	v_rcp_f32_e32 v16, v7
	v_fma_f32 v17, -v7, v16, 1.0
	v_fmac_f32_e32 v16, v17, v16
	v_mul_f32_e32 v17, v8, v16
	v_fma_f32 v18, -v7, v17, v8
	v_fmac_f32_e32 v17, v18, v16
	v_fma_f32 v7, -v7, v17, v8
	v_div_fmas_f32 v7, v7, v16, v17
	v_div_fixup_f32 v7, v7, v2, v1
	v_fma_f32 v8, v1, v7, v2
	v_div_scale_f32 v16, s[8:9], v8, v8, 1.0
	v_div_scale_f32 v17, vcc, 1.0, v8, 1.0
	s_mov_b64 s[8:9], 0
	v_rcp_f32_e32 v18, v16
	v_fma_f32 v19, -v16, v18, 1.0
	v_fmac_f32_e32 v18, v19, v18
	v_mul_f32_e32 v19, v17, v18
	v_fma_f32 v20, -v16, v19, v17
	v_fmac_f32_e32 v19, v20, v18
	v_fma_f32 v16, -v16, v19, v17
	v_div_fmas_f32 v16, v16, v18, v19
	v_fma_f32 v17, v7, v3, v4
	v_fma_f32 v18, v7, v4, -v3
	v_div_fixup_f32 v8, v16, v8, 1.0
	v_mul_f32_e32 v7, v17, v8
	v_mul_f32_e32 v8, v18, v8
.LBB177_129:                            ;   in Loop: Header=BB177_117 Depth=1
	s_andn2_b64 vcc, exec, s[8:9]
	s_cbranch_vccnz .LBB177_131
; %bb.130:                              ;   in Loop: Header=BB177_117 Depth=1
	v_div_scale_f32 v7, s[8:9], v1, v1, v2
	v_div_scale_f32 v8, vcc, v2, v1, v2
	v_rcp_f32_e32 v16, v7
	v_fma_f32 v17, -v7, v16, 1.0
	v_fmac_f32_e32 v16, v17, v16
	v_mul_f32_e32 v17, v8, v16
	v_fma_f32 v18, -v7, v17, v8
	v_fmac_f32_e32 v17, v18, v16
	v_fma_f32 v7, -v7, v17, v8
	v_div_fmas_f32 v7, v7, v16, v17
	v_div_fixup_f32 v7, v7, v1, v2
	v_fmac_f32_e32 v1, v2, v7
	v_div_scale_f32 v2, s[8:9], v1, v1, 1.0
	v_div_scale_f32 v8, vcc, 1.0, v1, 1.0
	v_rcp_f32_e32 v16, v2
	v_fma_f32 v17, -v2, v16, 1.0
	v_fmac_f32_e32 v16, v17, v16
	v_mul_f32_e32 v17, v8, v16
	v_fma_f32 v18, -v2, v17, v8
	v_fmac_f32_e32 v17, v18, v16
	v_fma_f32 v2, -v2, v17, v8
	v_div_fmas_f32 v2, v2, v16, v17
	v_fma_f32 v8, v7, v4, v3
	v_fma_f32 v3, -v7, v3, v4
	v_div_fixup_f32 v1, v2, v1, 1.0
	v_mul_f32_e32 v7, v8, v1
	v_mul_f32_e32 v8, v3, v1
.LBB177_131:                            ;   in Loop: Header=BB177_117 Depth=1
	s_lshl_b32 s8, s15, 3
	s_add_i32 s8, s8, s18
	v_mov_b32_e32 v1, s8
	ds_read_b128 v[16:19], v1
	ds_read_b128 v[1:4], v1 offset:16
	ds_write_b64 v15, v[7:8]
	s_mov_b64 s[8:9], -1
	s_waitcnt lgkmcnt(2)
	v_mul_f32_e32 v15, v10, v17
	v_mul_f32_e32 v17, v9, v17
	v_fma_f32 v9, v9, v16, -v15
	v_sub_f32_e32 v5, v5, v9
	v_mul_f32_e32 v9, v12, v19
	v_fmac_f32_e32 v17, v10, v16
	v_fma_f32 v9, v11, v18, -v9
	v_mul_f32_e32 v10, v11, v19
	v_sub_f32_e32 v6, v6, v17
	v_fmac_f32_e32 v10, v12, v18
	v_sub_f32_e32 v5, v5, v9
	s_waitcnt lgkmcnt(1)
	v_mul_f32_e32 v9, v8, v2
	v_mul_f32_e32 v2, v7, v2
	v_sub_f32_e32 v6, v6, v10
	v_fma_f32 v9, v7, v1, -v9
	v_fmac_f32_e32 v2, v8, v1
	v_cmp_ngt_f32_e64 s[14:15], |v3|, |v4|
	v_sub_f32_e32 v5, v5, v9
	v_sub_f32_e32 v6, v6, v2
	s_and_b64 vcc, exec, s[14:15]
                                        ; implicit-def: $vgpr2
	s_cbranch_vccz .LBB177_133
; %bb.132:                              ;   in Loop: Header=BB177_117 Depth=1
	v_div_scale_f32 v1, s[8:9], v4, v4, v3
	v_div_scale_f32 v2, vcc, v3, v4, v3
	v_rcp_f32_e32 v7, v1
	v_fma_f32 v8, -v1, v7, 1.0
	v_fmac_f32_e32 v7, v8, v7
	v_mul_f32_e32 v8, v2, v7
	v_fma_f32 v9, -v1, v8, v2
	v_fmac_f32_e32 v8, v9, v7
	v_fma_f32 v1, -v1, v8, v2
	v_div_fmas_f32 v1, v1, v7, v8
	v_div_fixup_f32 v1, v1, v4, v3
	v_fma_f32 v2, v3, v1, v4
	v_div_scale_f32 v7, s[8:9], v2, v2, 1.0
	v_div_scale_f32 v8, vcc, 1.0, v2, 1.0
	s_mov_b64 s[8:9], 0
	v_rcp_f32_e32 v9, v7
	v_fma_f32 v10, -v7, v9, 1.0
	v_fmac_f32_e32 v9, v10, v9
	v_mul_f32_e32 v10, v8, v9
	v_fma_f32 v11, -v7, v10, v8
	v_fmac_f32_e32 v10, v11, v9
	v_fma_f32 v7, -v7, v10, v8
	v_div_fmas_f32 v7, v7, v9, v10
	v_fma_f32 v8, v1, v5, v6
	v_fma_f32 v9, v1, v6, -v5
	v_div_fixup_f32 v2, v7, v2, 1.0
	v_mul_f32_e32 v1, v8, v2
	v_mul_f32_e32 v2, v9, v2
.LBB177_133:                            ;   in Loop: Header=BB177_117 Depth=1
	s_andn2_b64 vcc, exec, s[8:9]
	s_cbranch_vccnz .LBB177_135
; %bb.134:                              ;   in Loop: Header=BB177_117 Depth=1
	v_div_scale_f32 v1, s[8:9], v3, v3, v4
	v_div_scale_f32 v2, vcc, v4, v3, v4
	v_rcp_f32_e32 v7, v1
	v_fma_f32 v8, -v1, v7, 1.0
	v_fmac_f32_e32 v7, v8, v7
	v_mul_f32_e32 v8, v2, v7
	v_fma_f32 v9, -v1, v8, v2
	v_fmac_f32_e32 v8, v9, v7
	v_fma_f32 v1, -v1, v8, v2
	v_div_fmas_f32 v1, v1, v7, v8
	v_div_fixup_f32 v1, v1, v3, v4
	v_fmac_f32_e32 v3, v4, v1
	v_div_scale_f32 v2, s[8:9], v3, v3, 1.0
	v_div_scale_f32 v4, vcc, 1.0, v3, 1.0
	v_rcp_f32_e32 v7, v2
	v_fma_f32 v8, -v2, v7, 1.0
	v_fmac_f32_e32 v7, v8, v7
	v_mul_f32_e32 v8, v4, v7
	v_fma_f32 v9, -v2, v8, v4
	v_fmac_f32_e32 v8, v9, v7
	v_fma_f32 v2, -v2, v8, v4
	v_div_fmas_f32 v2, v2, v7, v8
	v_fma_f32 v4, v1, v6, v5
	v_fma_f32 v5, -v1, v5, v6
	v_div_fixup_f32 v2, v2, v3, 1.0
	v_mul_f32_e32 v1, v4, v2
	v_mul_f32_e32 v2, v5, v2
.LBB177_135:                            ;   in Loop: Header=BB177_117 Depth=1
	s_add_i32 s14, s13, 4
	s_add_i32 s8, s13, 7
	s_addk_i32 s11, 0x800
	s_cmp_ge_i32 s8, s24
	ds_write_b64 v14, v[1:2]
	s_cbranch_scc1 .LBB177_137
; %bb.136:                              ;   in Loop: Header=BB177_117 Depth=1
	s_mov_b32 s13, s14
	s_branch .LBB177_117
.LBB177_137:
	s_cmp_ge_i32 s14, s24
	s_cbranch_scc1 .LBB177_146
; %bb.138:
	v_mov_b32_e32 v1, 0x8000
	v_lshl_or_b32 v7, v0, 3, v1
	s_lshl_b32 s11, s14, 9
	s_branch .LBB177_140
.LBB177_139:                            ;   in Loop: Header=BB177_140 Depth=1
	s_add_i32 s14, s14, 1
	s_addk_i32 s11, 0x200
	s_cmp_ge_i32 s14, s24
	ds_write_b64 v8, v[5:6]
	s_cbranch_scc1 .LBB177_146
.LBB177_140:                            ; =>This Loop Header: Depth=1
                                        ;     Child Loop BB177_141 Depth 2
	v_lshl_add_u32 v8, s14, 9, v13
	ds_read_b64 v[1:2], v8
	s_cmp_eq_u32 s14, 0
	s_mov_b32 s8, s11
	v_mov_b32_e32 v3, v7
	s_mov_b32 s9, s14
	s_cbranch_scc1 .LBB177_142
.LBB177_141:                            ;   Parent Loop BB177_140 Depth=1
                                        ; =>  This Inner Loop Header: Depth=2
	v_mov_b32_e32 v6, s8
	ds_read_b64 v[4:5], v3
	ds_read_b64 v[9:10], v6
	s_add_i32 s9, s9, -1
	s_add_i32 s8, s8, 8
	v_add_u32_e32 v3, 0x200, v3
	s_cmp_eq_u32 s9, 0
	s_waitcnt lgkmcnt(0)
	v_mul_f32_e32 v6, v10, v5
	v_mul_f32_e32 v5, v9, v5
	v_fma_f32 v6, v9, v4, -v6
	v_fmac_f32_e32 v5, v10, v4
	v_sub_f32_e32 v1, v1, v6
	v_sub_f32_e32 v2, v2, v5
	s_cbranch_scc0 .LBB177_141
.LBB177_142:                            ;   in Loop: Header=BB177_140 Depth=1
	s_mul_i32 s8, s14, 0x208
	v_mov_b32_e32 v3, s8
	ds_read_b64 v[3:4], v3
	s_mov_b64 s[8:9], -1
                                        ; implicit-def: $vgpr5
	s_waitcnt lgkmcnt(0)
	v_cmp_ngt_f32_e64 s[18:19], |v3|, |v4|
	s_and_b64 vcc, exec, s[18:19]
	s_cbranch_vccz .LBB177_144
; %bb.143:                              ;   in Loop: Header=BB177_140 Depth=1
	v_div_scale_f32 v5, s[8:9], v4, v4, v3
	v_div_scale_f32 v6, vcc, v3, v4, v3
	v_rcp_f32_e32 v9, v5
	v_fma_f32 v10, -v5, v9, 1.0
	v_fmac_f32_e32 v9, v10, v9
	v_mul_f32_e32 v10, v6, v9
	v_fma_f32 v11, -v5, v10, v6
	v_fmac_f32_e32 v10, v11, v9
	v_fma_f32 v5, -v5, v10, v6
	v_div_fmas_f32 v5, v5, v9, v10
	v_div_fixup_f32 v5, v5, v4, v3
	v_fma_f32 v6, v3, v5, v4
	v_div_scale_f32 v9, s[8:9], v6, v6, 1.0
	v_div_scale_f32 v10, vcc, 1.0, v6, 1.0
	s_mov_b64 s[8:9], 0
	v_rcp_f32_e32 v11, v9
	v_fma_f32 v12, -v9, v11, 1.0
	v_fmac_f32_e32 v11, v12, v11
	v_mul_f32_e32 v12, v10, v11
	v_fma_f32 v14, -v9, v12, v10
	v_fmac_f32_e32 v12, v14, v11
	v_fma_f32 v9, -v9, v12, v10
	v_div_fmas_f32 v9, v9, v11, v12
	v_fma_f32 v10, v1, v5, v2
	v_fma_f32 v11, v2, v5, -v1
	v_div_fixup_f32 v6, v9, v6, 1.0
	v_mul_f32_e32 v5, v10, v6
	v_mul_f32_e32 v6, v11, v6
.LBB177_144:                            ;   in Loop: Header=BB177_140 Depth=1
	s_andn2_b64 vcc, exec, s[8:9]
	s_cbranch_vccnz .LBB177_139
; %bb.145:                              ;   in Loop: Header=BB177_140 Depth=1
	v_div_scale_f32 v5, s[8:9], v3, v3, v4
	v_div_scale_f32 v6, vcc, v4, v3, v4
	v_rcp_f32_e32 v9, v5
	v_fma_f32 v10, -v5, v9, 1.0
	v_fmac_f32_e32 v9, v10, v9
	v_mul_f32_e32 v10, v6, v9
	v_fma_f32 v11, -v5, v10, v6
	v_fmac_f32_e32 v10, v11, v9
	v_fma_f32 v5, -v5, v10, v6
	v_div_fmas_f32 v5, v5, v9, v10
	v_div_fixup_f32 v5, v5, v3, v4
	v_fmac_f32_e32 v3, v4, v5
	v_div_scale_f32 v4, s[8:9], v3, v3, 1.0
	v_div_scale_f32 v6, vcc, 1.0, v3, 1.0
	v_rcp_f32_e32 v9, v4
	v_fma_f32 v10, -v4, v9, 1.0
	v_fmac_f32_e32 v9, v10, v9
	v_mul_f32_e32 v10, v6, v9
	v_fma_f32 v11, -v4, v10, v6
	v_fmac_f32_e32 v10, v11, v9
	v_fma_f32 v4, -v4, v10, v6
	v_div_fmas_f32 v4, v4, v9, v10
	v_fma_f32 v6, v2, v5, v1
	v_fma_f32 v1, -v1, v5, v2
	v_div_fixup_f32 v2, v4, v3, 1.0
	v_mul_f32_e32 v5, v6, v2
	v_mul_f32_e32 v6, v1, v2
	s_branch .LBB177_139
.LBB177_146:
	s_and_saveexec_b64 s[8:9], s[0:1]
	s_cbranch_execz .LBB177_150
; %bb.147:
	s_cmp_lt_i32 s12, 1
	s_cbranch_scc1 .LBB177_150
; %bb.148:
	s_lshl_b64 s[0:1], s[4:5], 3
	s_add_u32 s2, s2, s0
	s_addc_u32 s3, s3, s1
	s_lshl_b64 s[0:1], s[16:17], 3
	s_add_u32 s0, s2, s0
	s_addc_u32 s1, s3, s1
	s_add_u32 s0, s0, s6
	s_addc_u32 s1, s1, s7
	s_ashr_i32 s11, s10, 31
	v_lshlrev_b32_e32 v2, 3, v0
	v_mov_b32_e32 v1, s1
	v_add_co_u32_e32 v0, vcc, s0, v2
	s_lshl_b64 s[0:1], s[10:11], 3
	v_addc_co_u32_e32 v1, vcc, 0, v1, vcc
	v_or_b32_e32 v2, 0x8000, v2
	v_mov_b32_e32 v3, s1
.LBB177_149:                            ; =>This Inner Loop Header: Depth=1
	ds_read_b64 v[4:5], v2
	s_add_i32 s12, s12, -1
	v_add_u32_e32 v2, 0x200, v2
	s_cmp_lg_u32 s12, 0
	s_waitcnt lgkmcnt(0)
	global_store_dwordx2 v[0:1], v[4:5], off
	v_add_co_u32_e32 v0, vcc, s0, v0
	v_addc_co_u32_e32 v1, vcc, v1, v3, vcc
	s_cbranch_scc1 .LBB177_149
.LBB177_150:
	s_endpgm
	.section	.rodata,"a",@progbits
	.p2align	6, 0x0
	.amdhsa_kernel _ZL31rocblas_trsm_small_right_deviceI19rocblas_complex_numIfES1_PKS1_PS1_Li64EEv13rocblas_fill_18rocblas_operation_17rocblas_diagonal_iiT0_T1_lilT2_lili
		.amdhsa_group_segment_fixed_size 65536
		.amdhsa_private_segment_fixed_size 0
		.amdhsa_kernarg_size 360
		.amdhsa_user_sgpr_count 6
		.amdhsa_user_sgpr_private_segment_buffer 1
		.amdhsa_user_sgpr_dispatch_ptr 0
		.amdhsa_user_sgpr_queue_ptr 0
		.amdhsa_user_sgpr_kernarg_segment_ptr 1
		.amdhsa_user_sgpr_dispatch_id 0
		.amdhsa_user_sgpr_flat_scratch_init 0
		.amdhsa_user_sgpr_private_segment_size 0
		.amdhsa_uses_dynamic_stack 0
		.amdhsa_system_sgpr_private_segment_wavefront_offset 0
		.amdhsa_system_sgpr_workgroup_id_x 1
		.amdhsa_system_sgpr_workgroup_id_y 0
		.amdhsa_system_sgpr_workgroup_id_z 1
		.amdhsa_system_sgpr_workgroup_info 0
		.amdhsa_system_vgpr_workitem_id 0
		.amdhsa_next_free_vgpr 129
		.amdhsa_next_free_sgpr 98
		.amdhsa_reserve_vcc 1
		.amdhsa_reserve_flat_scratch 0
		.amdhsa_float_round_mode_32 0
		.amdhsa_float_round_mode_16_64 0
		.amdhsa_float_denorm_mode_32 3
		.amdhsa_float_denorm_mode_16_64 3
		.amdhsa_dx10_clamp 1
		.amdhsa_ieee_mode 1
		.amdhsa_fp16_overflow 0
		.amdhsa_exception_fp_ieee_invalid_op 0
		.amdhsa_exception_fp_denorm_src 0
		.amdhsa_exception_fp_ieee_div_zero 0
		.amdhsa_exception_fp_ieee_overflow 0
		.amdhsa_exception_fp_ieee_underflow 0
		.amdhsa_exception_fp_ieee_inexact 0
		.amdhsa_exception_int_div_zero 0
	.end_amdhsa_kernel
	.section	.text._ZL31rocblas_trsm_small_right_deviceI19rocblas_complex_numIfES1_PKS1_PS1_Li64EEv13rocblas_fill_18rocblas_operation_17rocblas_diagonal_iiT0_T1_lilT2_lili,"axG",@progbits,_ZL31rocblas_trsm_small_right_deviceI19rocblas_complex_numIfES1_PKS1_PS1_Li64EEv13rocblas_fill_18rocblas_operation_17rocblas_diagonal_iiT0_T1_lilT2_lili,comdat
.Lfunc_end177:
	.size	_ZL31rocblas_trsm_small_right_deviceI19rocblas_complex_numIfES1_PKS1_PS1_Li64EEv13rocblas_fill_18rocblas_operation_17rocblas_diagonal_iiT0_T1_lilT2_lili, .Lfunc_end177-_ZL31rocblas_trsm_small_right_deviceI19rocblas_complex_numIfES1_PKS1_PS1_Li64EEv13rocblas_fill_18rocblas_operation_17rocblas_diagonal_iiT0_T1_lilT2_lili
                                        ; -- End function
	.set _ZL31rocblas_trsm_small_right_deviceI19rocblas_complex_numIfES1_PKS1_PS1_Li64EEv13rocblas_fill_18rocblas_operation_17rocblas_diagonal_iiT0_T1_lilT2_lili.num_vgpr, 31
	.set _ZL31rocblas_trsm_small_right_deviceI19rocblas_complex_numIfES1_PKS1_PS1_Li64EEv13rocblas_fill_18rocblas_operation_17rocblas_diagonal_iiT0_T1_lilT2_lili.num_agpr, 0
	.set _ZL31rocblas_trsm_small_right_deviceI19rocblas_complex_numIfES1_PKS1_PS1_Li64EEv13rocblas_fill_18rocblas_operation_17rocblas_diagonal_iiT0_T1_lilT2_lili.numbered_sgpr, 32
	.set _ZL31rocblas_trsm_small_right_deviceI19rocblas_complex_numIfES1_PKS1_PS1_Li64EEv13rocblas_fill_18rocblas_operation_17rocblas_diagonal_iiT0_T1_lilT2_lili.num_named_barrier, 0
	.set _ZL31rocblas_trsm_small_right_deviceI19rocblas_complex_numIfES1_PKS1_PS1_Li64EEv13rocblas_fill_18rocblas_operation_17rocblas_diagonal_iiT0_T1_lilT2_lili.private_seg_size, 0
	.set _ZL31rocblas_trsm_small_right_deviceI19rocblas_complex_numIfES1_PKS1_PS1_Li64EEv13rocblas_fill_18rocblas_operation_17rocblas_diagonal_iiT0_T1_lilT2_lili.uses_vcc, 1
	.set _ZL31rocblas_trsm_small_right_deviceI19rocblas_complex_numIfES1_PKS1_PS1_Li64EEv13rocblas_fill_18rocblas_operation_17rocblas_diagonal_iiT0_T1_lilT2_lili.uses_flat_scratch, 0
	.set _ZL31rocblas_trsm_small_right_deviceI19rocblas_complex_numIfES1_PKS1_PS1_Li64EEv13rocblas_fill_18rocblas_operation_17rocblas_diagonal_iiT0_T1_lilT2_lili.has_dyn_sized_stack, 0
	.set _ZL31rocblas_trsm_small_right_deviceI19rocblas_complex_numIfES1_PKS1_PS1_Li64EEv13rocblas_fill_18rocblas_operation_17rocblas_diagonal_iiT0_T1_lilT2_lili.has_recursion, 0
	.set _ZL31rocblas_trsm_small_right_deviceI19rocblas_complex_numIfES1_PKS1_PS1_Li64EEv13rocblas_fill_18rocblas_operation_17rocblas_diagonal_iiT0_T1_lilT2_lili.has_indirect_call, 0
	.section	.AMDGPU.csdata,"",@progbits
; Kernel info:
; codeLenInByte = 12120
; TotalNumSgprs: 36
; NumVgprs: 31
; ScratchSize: 0
; MemoryBound: 0
; FloatMode: 240
; IeeeMode: 1
; LDSByteSize: 65536 bytes/workgroup (compile time only)
; SGPRBlocks: 12
; VGPRBlocks: 32
; NumSGPRsForWavesPerEU: 102
; NumVGPRsForWavesPerEU: 129
; Occupancy: 1
; WaveLimiterHint : 0
; COMPUTE_PGM_RSRC2:SCRATCH_EN: 0
; COMPUTE_PGM_RSRC2:USER_SGPR: 6
; COMPUTE_PGM_RSRC2:TRAP_HANDLER: 0
; COMPUTE_PGM_RSRC2:TGID_X_EN: 1
; COMPUTE_PGM_RSRC2:TGID_Y_EN: 0
; COMPUTE_PGM_RSRC2:TGID_Z_EN: 1
; COMPUTE_PGM_RSRC2:TIDIG_COMP_CNT: 0
	.section	.text._ZL39rocblas_trsm_block_forward_substitutionI19rocblas_complex_numIfES1_PKS1_PS1_Lb0ELb0ELb0EEv18rocblas_operation_llT0_T1_lllT2_lllib,"axG",@progbits,_ZL39rocblas_trsm_block_forward_substitutionI19rocblas_complex_numIfES1_PKS1_PS1_Lb0ELb0ELb0EEv18rocblas_operation_llT0_T1_lllT2_lllib,comdat
	.globl	_ZL39rocblas_trsm_block_forward_substitutionI19rocblas_complex_numIfES1_PKS1_PS1_Lb0ELb0ELb0EEv18rocblas_operation_llT0_T1_lllT2_lllib ; -- Begin function _ZL39rocblas_trsm_block_forward_substitutionI19rocblas_complex_numIfES1_PKS1_PS1_Lb0ELb0ELb0EEv18rocblas_operation_llT0_T1_lllT2_lllib
	.p2align	8
	.type	_ZL39rocblas_trsm_block_forward_substitutionI19rocblas_complex_numIfES1_PKS1_PS1_Lb0ELb0ELb0EEv18rocblas_operation_llT0_T1_lllT2_lllib,@function
_ZL39rocblas_trsm_block_forward_substitutionI19rocblas_complex_numIfES1_PKS1_PS1_Lb0ELb0ELb0EEv18rocblas_operation_llT0_T1_lllT2_lllib: ; @_ZL39rocblas_trsm_block_forward_substitutionI19rocblas_complex_numIfES1_PKS1_PS1_Lb0ELb0ELb0EEv18rocblas_operation_llT0_T1_lllT2_lllib
; %bb.0:
	s_load_dword s0, s[4:5], 0x64
	s_load_dwordx4 s[28:31], s[4:5], 0x8
	s_load_dwordx2 s[10:11], s[4:5], 0x18
	s_load_dwordx16 s[12:27], s[4:5], 0x20
	s_load_dword s6, s[4:5], 0x74
	s_waitcnt lgkmcnt(0)
	s_bitcmp1_b32 s0, 0
	s_cselect_b64 s[0:1], -1, 0
	s_xor_b64 s[2:3], s[0:1], -1
	s_mul_i32 s0, s19, s8
	s_mul_hi_u32 s1, s18, s8
	s_add_i32 s1, s1, s0
	s_mul_i32 s0, s18, s8
	s_lshl_b64 s[0:1], s[0:1], 3
	s_add_u32 s9, s12, s0
	s_addc_u32 s12, s13, s1
	s_lshl_b64 s[0:1], s[14:15], 3
	s_add_u32 s0, s9, s0
	s_addc_u32 s1, s12, s1
	s_add_u32 s12, s4, 0x68
	v_mov_b32_e32 v2, v1
	s_addc_u32 s13, s5, 0
	s_lshr_b32 s6, s6, 16
	s_and_b64 vcc, exec, s[2:3]
	s_cbranch_vccnz .LBB178_15
; %bb.1:
	v_cmp_lt_i64_e64 s[18:19], s[28:29], 1
	s_lshl_b32 s9, s6, 3
	s_add_i32 s14, s9, 0
	s_and_b64 vcc, exec, s[18:19]
	s_cbranch_vccnz .LBB178_14
; %bb.2:
	v_mad_u64_u32 v[3:4], s[18:19], s16, v0, 0
	v_mov_b32_e32 v1, 0
	v_cmp_le_u64_e32 vcc, s[28:29], v[0:1]
	v_mov_b32_e32 v1, v4
	v_mad_u64_u32 v[4:5], s[18:19], s17, v0, v[1:2]
	v_lshlrev_b32_e32 v6, 3, v0
	v_mov_b32_e32 v7, s1
	v_add_co_u32_e64 v1, s[0:1], s0, v6
	v_lshlrev_b64 v[3:4], 3, v[3:4]
	v_addc_co_u32_e64 v10, s[0:1], 0, v7, s[0:1]
	v_add_co_u32_e64 v3, s[0:1], v1, v3
	v_addc_co_u32_e64 v4, s[0:1], v10, v4, s[0:1]
	v_add_u32_e32 v9, s14, v6
	s_xor_b64 s[0:1], vcc, -1
	s_mov_b32 s9, s6
	v_mov_b32_e32 v11, v2
	s_branch .LBB178_6
.LBB178_3:                              ;   in Loop: Header=BB178_6 Depth=1
	s_or_b64 exec, exec, s[36:37]
	s_load_dword s15, s[12:13], 0xc
	s_waitcnt lgkmcnt(0)
	s_and_b32 s15, s15, 0xffff
	v_mul_u32_u24_e32 v5, s15, v0
	v_lshl_add_u32 v5, v5, 3, v9
	ds_write_b64 v5, v[7:8]
.LBB178_4:                              ;   in Loop: Header=BB178_6 Depth=1
	s_or_b64 exec, exec, s[34:35]
.LBB178_5:                              ;   in Loop: Header=BB178_6 Depth=1
	s_or_b64 exec, exec, s[18:19]
	s_ashr_i32 s15, s9, 31
	v_mov_b32_e32 v5, s9
	v_mov_b32_e32 v6, s15
	v_cmp_le_i64_e32 vcc, s[28:29], v[5:6]
	v_add_u32_e32 v11, s6, v11
	s_add_i32 s9, s9, s6
	s_cbranch_vccnz .LBB178_14
.LBB178_6:                              ; =>This Inner Loop Header: Depth=1
	v_cmp_gt_i32_e32 vcc, v0, v11
	s_and_b64 s[18:19], s[0:1], vcc
	s_and_saveexec_b64 s[34:35], s[18:19]
	s_xor_b64 s[18:19], exec, s[34:35]
	s_cbranch_execz .LBB178_8
; %bb.7:                                ;   in Loop: Header=BB178_6 Depth=1
	v_ashrrev_i32_e32 v7, 31, v11
	v_mul_lo_u32 v8, s17, v11
	v_mad_u64_u32 v[5:6], s[34:35], s16, v11, 0
	v_mul_lo_u32 v7, s16, v7
	s_load_dword s15, s[12:13], 0xc
	v_add3_u32 v6, v6, v7, v8
	v_lshlrev_b64 v[5:6], 3, v[5:6]
	s_waitcnt lgkmcnt(0)
	s_and_b32 s15, s15, 0xffff
	v_add_co_u32_e32 v5, vcc, v1, v5
	v_addc_co_u32_e32 v6, vcc, v10, v6, vcc
	global_load_dwordx2 v[5:6], v[5:6], off
	v_mul_lo_u32 v7, v11, s15
	v_lshl_add_u32 v7, v7, 3, v9
	s_waitcnt vmcnt(0)
	ds_write_b64 v7, v[5:6]
.LBB178_8:                              ;   in Loop: Header=BB178_6 Depth=1
	s_andn2_saveexec_b64 s[18:19], s[18:19]
	s_cbranch_execz .LBB178_5
; %bb.9:                                ;   in Loop: Header=BB178_6 Depth=1
	v_cmp_eq_u32_e32 vcc, v0, v11
	s_and_b64 s[36:37], s[0:1], vcc
	s_and_saveexec_b64 s[34:35], s[36:37]
	s_cbranch_execz .LBB178_4
; %bb.10:                               ;   in Loop: Header=BB178_6 Depth=1
	global_load_dwordx2 v[5:6], v[3:4], off
                                        ; implicit-def: $vgpr7
	s_waitcnt vmcnt(0)
	v_cmp_ngt_f32_e64 s[36:37], |v5|, |v6|
	s_and_saveexec_b64 s[38:39], s[36:37]
	s_xor_b64 s[36:37], exec, s[38:39]
	s_cbranch_execz .LBB178_12
; %bb.11:                               ;   in Loop: Header=BB178_6 Depth=1
	v_div_scale_f32 v7, s[38:39], v6, v6, v5
	v_div_scale_f32 v8, vcc, v5, v6, v5
	v_rcp_f32_e32 v12, v7
	v_fma_f32 v13, -v7, v12, 1.0
	v_fmac_f32_e32 v12, v13, v12
	v_mul_f32_e32 v13, v8, v12
	v_fma_f32 v14, -v7, v13, v8
	v_fmac_f32_e32 v13, v14, v12
	v_fma_f32 v7, -v7, v13, v8
	v_div_fmas_f32 v7, v7, v12, v13
	v_div_fixup_f32 v7, v7, v6, v5
	v_fmac_f32_e32 v6, v5, v7
	v_div_scale_f32 v5, s[38:39], v6, v6, 1.0
	v_div_scale_f32 v8, vcc, 1.0, v6, 1.0
	v_rcp_f32_e32 v12, v5
	v_fma_f32 v13, -v5, v12, 1.0
	v_fmac_f32_e32 v12, v13, v12
	v_mul_f32_e32 v13, v8, v12
	v_fma_f32 v14, -v5, v13, v8
	v_fmac_f32_e32 v13, v14, v12
	v_fma_f32 v5, -v5, v13, v8
	v_div_fmas_f32 v5, v5, v12, v13
	v_div_fixup_f32 v5, v5, v6, 1.0
	v_mul_f32_e32 v7, v7, v5
	v_xor_b32_e32 v8, 0x80000000, v5
                                        ; implicit-def: $vgpr5_vgpr6
.LBB178_12:                             ;   in Loop: Header=BB178_6 Depth=1
	s_andn2_saveexec_b64 s[36:37], s[36:37]
	s_cbranch_execz .LBB178_3
; %bb.13:                               ;   in Loop: Header=BB178_6 Depth=1
	v_div_scale_f32 v7, s[38:39], v5, v5, v6
	v_div_scale_f32 v8, vcc, v6, v5, v6
	v_rcp_f32_e32 v12, v7
	v_fma_f32 v13, -v7, v12, 1.0
	v_fmac_f32_e32 v12, v13, v12
	v_mul_f32_e32 v13, v8, v12
	v_fma_f32 v14, -v7, v13, v8
	v_fmac_f32_e32 v13, v14, v12
	v_fma_f32 v7, -v7, v13, v8
	v_div_fmas_f32 v7, v7, v12, v13
	v_div_fixup_f32 v8, v7, v5, v6
	v_fmac_f32_e32 v5, v6, v8
	v_div_scale_f32 v6, s[38:39], v5, v5, 1.0
	v_div_scale_f32 v7, vcc, 1.0, v5, 1.0
	v_rcp_f32_e32 v12, v6
	v_fma_f32 v13, -v6, v12, 1.0
	v_fmac_f32_e32 v12, v13, v12
	v_mul_f32_e32 v13, v7, v12
	v_fma_f32 v14, -v6, v13, v7
	v_fmac_f32_e32 v13, v14, v12
	v_fma_f32 v6, -v6, v13, v7
	v_div_fmas_f32 v6, v6, v12, v13
	v_div_fixup_f32 v7, v6, v5, 1.0
	v_mul_f32_e64 v8, v8, -v7
	s_branch .LBB178_3
.LBB178_14:
	s_mov_b64 s[0:1], src_shared_base
	s_load_dword s0, s[12:13], 0xc
	s_mov_b32 s15, s1
	s_mov_b32 s17, 0
	s_waitcnt lgkmcnt(0)
	s_and_b32 s16, s0, 0xffff
	s_mov_b64 s[0:1], s[14:15]
.LBB178_15:
	s_mul_i32 s7, s7, s6
	v_add_u32_e32 v3, s7, v2
	v_mov_b32_e32 v4, 0
	v_cmp_gt_i64_e32 vcc, s[30:31], v[3:4]
	s_and_saveexec_b64 s[6:7], vcc
	s_cbranch_execz .LBB178_43
; %bb.16:
	v_mov_b32_e32 v1, v4
	v_cmp_gt_i64_e32 vcc, s[28:29], v[0:1]
	s_and_b64 exec, exec, vcc
	s_cbranch_execz .LBB178_43
; %bb.17:
	s_mul_i32 s6, s27, s8
	s_mul_hi_u32 s7, s26, s8
	s_add_i32 s7, s7, s6
	s_mul_i32 s6, s26, s8
	v_mad_u64_u32 v[4:5], s[8:9], s24, v3, 0
	s_lshl_b64 s[6:7], s[6:7], 3
	s_add_u32 s8, s20, s6
	s_addc_u32 s9, s21, s7
	v_mad_u64_u32 v[5:6], s[6:7], s25, v3, v[5:6]
	s_lshl_b64 s[6:7], s[22:23], 3
	s_add_u32 s6, s8, s6
	v_lshlrev_b64 v[3:4], 3, v[4:5]
	s_addc_u32 s7, s9, s7
	v_mov_b32_e32 v5, s7
	v_add_co_u32_e32 v3, vcc, s6, v3
	v_addc_co_u32_e32 v4, vcc, v5, v4, vcc
	v_lshlrev_b32_e32 v7, 3, v0
	v_add_co_u32_e32 v3, vcc, v3, v7
	v_addc_co_u32_e32 v4, vcc, 0, v4, vcc
	global_load_dwordx2 v[8:9], v[3:4], off
	v_cmp_lt_u64_e64 s[8:9], s[28:29], 2
	s_add_u32 s6, s28, -1
	s_addc_u32 s7, s29, -1
	s_and_b64 vcc, exec, s[8:9]
	s_waitcnt vmcnt(0)
	v_mul_f32_e32 v5, s11, v9
	v_mul_f32_e32 v6, s10, v9
	v_fma_f32 v5, s10, v8, -v5
	v_fmac_f32_e32 v6, s11, v8
	s_cbranch_vccnz .LBB178_34
; %bb.18:
	v_mad_u64_u32 v[9:10], s[8:9], v0, s16, v[0:1]
	s_load_dword s8, s[4:5], 0x0
	v_mov_b32_e32 v12, s1
	v_mov_b32_e32 v8, v10
	v_mad_u64_u32 v[10:11], s[4:5], v0, s17, v[8:9]
	v_add_co_u32_e32 v7, vcc, s0, v7
	v_lshlrev_b64 v[9:10], 3, v[9:10]
	v_addc_co_u32_e32 v8, vcc, 0, v12, vcc
	s_waitcnt lgkmcnt(0)
	s_cmpk_lg_i32 s8, 0x71
	v_add_co_u32_e32 v9, vcc, s0, v9
	s_cselect_b64 s[4:5], -1, 0
	v_addc_co_u32_e32 v10, vcc, v12, v10, vcc
	v_lshl_add_u32 v2, v2, 3, 0
	s_lshl_b64 s[8:9], s[16:17], 3
	s_mov_b64 s[10:11], 0
	s_branch .LBB178_21
.LBB178_19:                             ;   in Loop: Header=BB178_21 Depth=1
	ds_read_b64 v[13:14], v2
	s_waitcnt vmcnt(0) lgkmcnt(0)
	v_mul_f32_e32 v15, v12, v14
	v_mul_f32_e32 v14, v14, v11
	v_fma_f32 v11, v13, v11, -v15
	v_fmac_f32_e32 v14, v12, v13
	v_sub_f32_e32 v5, v5, v11
	v_sub_f32_e32 v6, v6, v14
.LBB178_20:                             ;   in Loop: Header=BB178_21 Depth=1
	s_or_b64 exec, exec, s[12:13]
	s_add_u32 s10, s10, 1
	s_addc_u32 s11, s11, 0
	v_mov_b32_e32 v11, s9
	v_add_co_u32_e32 v7, vcc, s8, v7
	s_cmp_eq_u64 s[6:7], s[10:11]
	v_addc_co_u32_e32 v8, vcc, v8, v11, vcc
	s_cbranch_scc1 .LBB178_34
.LBB178_21:                             ; =>This Inner Loop Header: Depth=1
	v_cmp_eq_u64_e32 vcc, s[10:11], v[0:1]
	s_barrier
	s_and_saveexec_b64 s[12:13], vcc
	s_cbranch_execz .LBB178_29
; %bb.22:                               ;   in Loop: Header=BB178_21 Depth=1
	flat_load_dwordx2 v[11:12], v[9:10]
	s_andn2_b64 vcc, exec, s[2:3]
	s_cbranch_vccnz .LBB178_28
; %bb.23:                               ;   in Loop: Header=BB178_21 Depth=1
	s_waitcnt vmcnt(0) lgkmcnt(0)
	v_cmp_ngt_f32_e64 s[14:15], |v11|, |v12|
	s_and_saveexec_b64 s[18:19], s[14:15]
	s_xor_b64 s[14:15], exec, s[18:19]
	s_cbranch_execz .LBB178_25
; %bb.24:                               ;   in Loop: Header=BB178_21 Depth=1
	v_div_scale_f32 v13, s[18:19], v12, v12, v11
	v_div_scale_f32 v14, vcc, v11, v12, v11
	v_rcp_f32_e32 v15, v13
	v_fma_f32 v16, -v13, v15, 1.0
	v_fmac_f32_e32 v15, v16, v15
	v_mul_f32_e32 v16, v14, v15
	v_fma_f32 v17, -v13, v16, v14
	v_fmac_f32_e32 v16, v17, v15
	v_fma_f32 v13, -v13, v16, v14
	v_div_fmas_f32 v13, v13, v15, v16
	v_div_fixup_f32 v13, v13, v12, v11
	v_fmac_f32_e32 v12, v11, v13
	v_div_scale_f32 v11, s[18:19], v12, v12, 1.0
	v_div_scale_f32 v14, vcc, 1.0, v12, 1.0
	v_rcp_f32_e32 v15, v11
	v_fma_f32 v16, -v11, v15, 1.0
	v_fmac_f32_e32 v15, v16, v15
	v_mul_f32_e32 v16, v14, v15
	v_fma_f32 v17, -v11, v16, v14
	v_fmac_f32_e32 v16, v17, v15
	v_fma_f32 v11, -v11, v16, v14
	v_div_fmas_f32 v11, v11, v15, v16
	v_div_fixup_f32 v12, v11, v12, 1.0
	v_mul_f32_e32 v11, v13, v12
	v_xor_b32_e32 v12, 0x80000000, v12
.LBB178_25:                             ;   in Loop: Header=BB178_21 Depth=1
	s_andn2_saveexec_b64 s[14:15], s[14:15]
	s_cbranch_execz .LBB178_27
; %bb.26:                               ;   in Loop: Header=BB178_21 Depth=1
	v_div_scale_f32 v13, s[18:19], v11, v11, v12
	v_div_scale_f32 v14, vcc, v12, v11, v12
	v_rcp_f32_e32 v15, v13
	v_fma_f32 v16, -v13, v15, 1.0
	v_fmac_f32_e32 v15, v16, v15
	v_mul_f32_e32 v16, v14, v15
	v_fma_f32 v17, -v13, v16, v14
	v_fmac_f32_e32 v16, v17, v15
	v_fma_f32 v13, -v13, v16, v14
	v_div_fmas_f32 v13, v13, v15, v16
	v_div_fixup_f32 v13, v13, v11, v12
	v_fmac_f32_e32 v11, v12, v13
	v_div_scale_f32 v12, s[18:19], v11, v11, 1.0
	v_div_scale_f32 v14, vcc, 1.0, v11, 1.0
	v_rcp_f32_e32 v15, v12
	v_fma_f32 v16, -v12, v15, 1.0
	v_fmac_f32_e32 v15, v16, v15
	v_mul_f32_e32 v16, v14, v15
	v_fma_f32 v17, -v12, v16, v14
	v_fmac_f32_e32 v16, v17, v15
	v_fma_f32 v12, -v12, v16, v14
	v_div_fmas_f32 v12, v12, v15, v16
	v_div_fixup_f32 v11, v12, v11, 1.0
	v_mul_f32_e64 v12, v13, -v11
.LBB178_27:                             ;   in Loop: Header=BB178_21 Depth=1
	s_or_b64 exec, exec, s[14:15]
.LBB178_28:                             ;   in Loop: Header=BB178_21 Depth=1
	s_waitcnt vmcnt(0) lgkmcnt(0)
	v_mul_f32_e32 v13, v6, v12
	v_mul_f32_e32 v14, v5, v12
	v_fma_f32 v13, v5, v11, -v13
	v_fmac_f32_e32 v14, v6, v11
	v_mov_b32_e32 v6, v14
	v_mov_b32_e32 v5, v13
	ds_write_b64 v2, v[13:14]
.LBB178_29:                             ;   in Loop: Header=BB178_21 Depth=1
	s_or_b64 exec, exec, s[12:13]
	v_cmp_lt_u64_e32 vcc, s[10:11], v[0:1]
	s_waitcnt lgkmcnt(0)
	s_barrier
	s_and_saveexec_b64 s[12:13], vcc
	s_cbranch_execz .LBB178_20
; %bb.30:                               ;   in Loop: Header=BB178_21 Depth=1
	s_mov_b64 s[14:15], -1
	s_and_b64 vcc, exec, s[4:5]
                                        ; implicit-def: $vgpr11
	s_cbranch_vccz .LBB178_32
; %bb.31:                               ;   in Loop: Header=BB178_21 Depth=1
	flat_load_dwordx2 v[11:12], v[7:8]
	s_mov_b64 s[14:15], 0
.LBB178_32:                             ;   in Loop: Header=BB178_21 Depth=1
	s_andn2_b64 vcc, exec, s[14:15]
	s_cbranch_vccnz .LBB178_19
; %bb.33:                               ;   in Loop: Header=BB178_21 Depth=1
	s_waitcnt vmcnt(0) lgkmcnt(0)
	flat_load_dwordx2 v[11:12], v[7:8]
	s_waitcnt vmcnt(0) lgkmcnt(0)
	v_xor_b32_e32 v12, 0x80000000, v12
	s_branch .LBB178_19
.LBB178_34:
	v_cmp_eq_u64_e32 vcc, s[6:7], v[0:1]
	s_and_saveexec_b64 s[4:5], vcc
	s_cbranch_execz .LBB178_42
; %bb.35:
	v_mad_u64_u32 v[1:2], s[6:7], v0, s16, v[0:1]
	v_mad_u64_u32 v[7:8], s[6:7], v0, s17, v[2:3]
	v_mov_b32_e32 v8, s1
	v_mov_b32_e32 v2, v7
	v_lshlrev_b64 v[0:1], 3, v[1:2]
	v_add_co_u32_e32 v0, vcc, s0, v0
	v_addc_co_u32_e32 v1, vcc, v8, v1, vcc
	flat_load_dwordx2 v[0:1], v[0:1]
	s_andn2_b64 vcc, exec, s[2:3]
	s_cbranch_vccnz .LBB178_41
; %bb.36:
	s_waitcnt vmcnt(0) lgkmcnt(0)
	v_cmp_ngt_f32_e64 s[0:1], |v0|, |v1|
	s_and_saveexec_b64 s[2:3], s[0:1]
	s_xor_b64 s[0:1], exec, s[2:3]
	s_cbranch_execz .LBB178_38
; %bb.37:
	v_div_scale_f32 v2, s[2:3], v1, v1, v0
	v_div_scale_f32 v7, vcc, v0, v1, v0
	v_rcp_f32_e32 v8, v2
	v_fma_f32 v9, -v2, v8, 1.0
	v_fmac_f32_e32 v8, v9, v8
	v_mul_f32_e32 v9, v7, v8
	v_fma_f32 v10, -v2, v9, v7
	v_fmac_f32_e32 v9, v10, v8
	v_fma_f32 v2, -v2, v9, v7
	v_div_fmas_f32 v2, v2, v8, v9
	v_div_fixup_f32 v2, v2, v1, v0
	v_fmac_f32_e32 v1, v0, v2
	v_div_scale_f32 v0, s[2:3], v1, v1, 1.0
	v_div_scale_f32 v7, vcc, 1.0, v1, 1.0
	v_rcp_f32_e32 v8, v0
	v_fma_f32 v9, -v0, v8, 1.0
	v_fmac_f32_e32 v8, v9, v8
	v_mul_f32_e32 v9, v7, v8
	v_fma_f32 v10, -v0, v9, v7
	v_fmac_f32_e32 v9, v10, v8
	v_fma_f32 v0, -v0, v9, v7
	v_div_fmas_f32 v0, v0, v8, v9
	v_div_fixup_f32 v1, v0, v1, 1.0
	v_mul_f32_e32 v0, v2, v1
	v_xor_b32_e32 v1, 0x80000000, v1
.LBB178_38:
	s_andn2_saveexec_b64 s[0:1], s[0:1]
	s_cbranch_execz .LBB178_40
; %bb.39:
	v_div_scale_f32 v2, s[2:3], v0, v0, v1
	v_div_scale_f32 v7, vcc, v1, v0, v1
	v_rcp_f32_e32 v8, v2
	v_fma_f32 v9, -v2, v8, 1.0
	v_fmac_f32_e32 v8, v9, v8
	v_mul_f32_e32 v9, v7, v8
	v_fma_f32 v10, -v2, v9, v7
	v_fmac_f32_e32 v9, v10, v8
	v_fma_f32 v2, -v2, v9, v7
	v_div_fmas_f32 v2, v2, v8, v9
	v_div_fixup_f32 v2, v2, v0, v1
	v_fmac_f32_e32 v0, v1, v2
	v_div_scale_f32 v1, s[2:3], v0, v0, 1.0
	v_div_scale_f32 v7, vcc, 1.0, v0, 1.0
	v_rcp_f32_e32 v8, v1
	v_fma_f32 v9, -v1, v8, 1.0
	v_fmac_f32_e32 v8, v9, v8
	v_mul_f32_e32 v9, v7, v8
	v_fma_f32 v10, -v1, v9, v7
	v_fmac_f32_e32 v9, v10, v8
	v_fma_f32 v1, -v1, v9, v7
	v_div_fmas_f32 v1, v1, v8, v9
	v_div_fixup_f32 v0, v1, v0, 1.0
	v_mul_f32_e64 v1, v2, -v0
.LBB178_40:
	s_or_b64 exec, exec, s[0:1]
.LBB178_41:
	s_waitcnt vmcnt(0) lgkmcnt(0)
	v_mul_f32_e32 v2, v6, v1
	v_fma_f32 v2, v5, v0, -v2
	v_mul_f32_e32 v6, v6, v0
	v_fmac_f32_e32 v6, v5, v1
	v_mov_b32_e32 v5, v2
.LBB178_42:
	s_or_b64 exec, exec, s[4:5]
	global_store_dwordx2 v[3:4], v[5:6], off
.LBB178_43:
	s_endpgm
	.section	.rodata,"a",@progbits
	.p2align	6, 0x0
	.amdhsa_kernel _ZL39rocblas_trsm_block_forward_substitutionI19rocblas_complex_numIfES1_PKS1_PS1_Lb0ELb0ELb0EEv18rocblas_operation_llT0_T1_lllT2_lllib
		.amdhsa_group_segment_fixed_size 0
		.amdhsa_private_segment_fixed_size 0
		.amdhsa_kernarg_size 360
		.amdhsa_user_sgpr_count 6
		.amdhsa_user_sgpr_private_segment_buffer 1
		.amdhsa_user_sgpr_dispatch_ptr 0
		.amdhsa_user_sgpr_queue_ptr 0
		.amdhsa_user_sgpr_kernarg_segment_ptr 1
		.amdhsa_user_sgpr_dispatch_id 0
		.amdhsa_user_sgpr_flat_scratch_init 0
		.amdhsa_user_sgpr_private_segment_size 0
		.amdhsa_uses_dynamic_stack 0
		.amdhsa_system_sgpr_private_segment_wavefront_offset 0
		.amdhsa_system_sgpr_workgroup_id_x 1
		.amdhsa_system_sgpr_workgroup_id_y 1
		.amdhsa_system_sgpr_workgroup_id_z 1
		.amdhsa_system_sgpr_workgroup_info 0
		.amdhsa_system_vgpr_workitem_id 1
		.amdhsa_next_free_vgpr 18
		.amdhsa_next_free_sgpr 40
		.amdhsa_reserve_vcc 1
		.amdhsa_reserve_flat_scratch 0
		.amdhsa_float_round_mode_32 0
		.amdhsa_float_round_mode_16_64 0
		.amdhsa_float_denorm_mode_32 3
		.amdhsa_float_denorm_mode_16_64 3
		.amdhsa_dx10_clamp 1
		.amdhsa_ieee_mode 1
		.amdhsa_fp16_overflow 0
		.amdhsa_exception_fp_ieee_invalid_op 0
		.amdhsa_exception_fp_denorm_src 0
		.amdhsa_exception_fp_ieee_div_zero 0
		.amdhsa_exception_fp_ieee_overflow 0
		.amdhsa_exception_fp_ieee_underflow 0
		.amdhsa_exception_fp_ieee_inexact 0
		.amdhsa_exception_int_div_zero 0
	.end_amdhsa_kernel
	.section	.text._ZL39rocblas_trsm_block_forward_substitutionI19rocblas_complex_numIfES1_PKS1_PS1_Lb0ELb0ELb0EEv18rocblas_operation_llT0_T1_lllT2_lllib,"axG",@progbits,_ZL39rocblas_trsm_block_forward_substitutionI19rocblas_complex_numIfES1_PKS1_PS1_Lb0ELb0ELb0EEv18rocblas_operation_llT0_T1_lllT2_lllib,comdat
.Lfunc_end178:
	.size	_ZL39rocblas_trsm_block_forward_substitutionI19rocblas_complex_numIfES1_PKS1_PS1_Lb0ELb0ELb0EEv18rocblas_operation_llT0_T1_lllT2_lllib, .Lfunc_end178-_ZL39rocblas_trsm_block_forward_substitutionI19rocblas_complex_numIfES1_PKS1_PS1_Lb0ELb0ELb0EEv18rocblas_operation_llT0_T1_lllT2_lllib
                                        ; -- End function
	.set _ZL39rocblas_trsm_block_forward_substitutionI19rocblas_complex_numIfES1_PKS1_PS1_Lb0ELb0ELb0EEv18rocblas_operation_llT0_T1_lllT2_lllib.num_vgpr, 18
	.set _ZL39rocblas_trsm_block_forward_substitutionI19rocblas_complex_numIfES1_PKS1_PS1_Lb0ELb0ELb0EEv18rocblas_operation_llT0_T1_lllT2_lllib.num_agpr, 0
	.set _ZL39rocblas_trsm_block_forward_substitutionI19rocblas_complex_numIfES1_PKS1_PS1_Lb0ELb0ELb0EEv18rocblas_operation_llT0_T1_lllT2_lllib.numbered_sgpr, 40
	.set _ZL39rocblas_trsm_block_forward_substitutionI19rocblas_complex_numIfES1_PKS1_PS1_Lb0ELb0ELb0EEv18rocblas_operation_llT0_T1_lllT2_lllib.num_named_barrier, 0
	.set _ZL39rocblas_trsm_block_forward_substitutionI19rocblas_complex_numIfES1_PKS1_PS1_Lb0ELb0ELb0EEv18rocblas_operation_llT0_T1_lllT2_lllib.private_seg_size, 0
	.set _ZL39rocblas_trsm_block_forward_substitutionI19rocblas_complex_numIfES1_PKS1_PS1_Lb0ELb0ELb0EEv18rocblas_operation_llT0_T1_lllT2_lllib.uses_vcc, 1
	.set _ZL39rocblas_trsm_block_forward_substitutionI19rocblas_complex_numIfES1_PKS1_PS1_Lb0ELb0ELb0EEv18rocblas_operation_llT0_T1_lllT2_lllib.uses_flat_scratch, 0
	.set _ZL39rocblas_trsm_block_forward_substitutionI19rocblas_complex_numIfES1_PKS1_PS1_Lb0ELb0ELb0EEv18rocblas_operation_llT0_T1_lllT2_lllib.has_dyn_sized_stack, 0
	.set _ZL39rocblas_trsm_block_forward_substitutionI19rocblas_complex_numIfES1_PKS1_PS1_Lb0ELb0ELb0EEv18rocblas_operation_llT0_T1_lllT2_lllib.has_recursion, 0
	.set _ZL39rocblas_trsm_block_forward_substitutionI19rocblas_complex_numIfES1_PKS1_PS1_Lb0ELb0ELb0EEv18rocblas_operation_llT0_T1_lllT2_lllib.has_indirect_call, 0
	.section	.AMDGPU.csdata,"",@progbits
; Kernel info:
; codeLenInByte = 2188
; TotalNumSgprs: 44
; NumVgprs: 18
; ScratchSize: 0
; MemoryBound: 0
; FloatMode: 240
; IeeeMode: 1
; LDSByteSize: 0 bytes/workgroup (compile time only)
; SGPRBlocks: 5
; VGPRBlocks: 4
; NumSGPRsForWavesPerEU: 44
; NumVGPRsForWavesPerEU: 18
; Occupancy: 10
; WaveLimiterHint : 1
; COMPUTE_PGM_RSRC2:SCRATCH_EN: 0
; COMPUTE_PGM_RSRC2:USER_SGPR: 6
; COMPUTE_PGM_RSRC2:TRAP_HANDLER: 0
; COMPUTE_PGM_RSRC2:TGID_X_EN: 1
; COMPUTE_PGM_RSRC2:TGID_Y_EN: 1
; COMPUTE_PGM_RSRC2:TGID_Z_EN: 1
; COMPUTE_PGM_RSRC2:TIDIG_COMP_CNT: 1
	.section	.text._ZL40rocblas_trsm_block_backward_substitutionI19rocblas_complex_numIfES1_PKS1_PS1_Lb0ELb0ELb0EEv18rocblas_operation_llT0_T1_lllT2_lllib,"axG",@progbits,_ZL40rocblas_trsm_block_backward_substitutionI19rocblas_complex_numIfES1_PKS1_PS1_Lb0ELb0ELb0EEv18rocblas_operation_llT0_T1_lllT2_lllib,comdat
	.globl	_ZL40rocblas_trsm_block_backward_substitutionI19rocblas_complex_numIfES1_PKS1_PS1_Lb0ELb0ELb0EEv18rocblas_operation_llT0_T1_lllT2_lllib ; -- Begin function _ZL40rocblas_trsm_block_backward_substitutionI19rocblas_complex_numIfES1_PKS1_PS1_Lb0ELb0ELb0EEv18rocblas_operation_llT0_T1_lllT2_lllib
	.p2align	8
	.type	_ZL40rocblas_trsm_block_backward_substitutionI19rocblas_complex_numIfES1_PKS1_PS1_Lb0ELb0ELb0EEv18rocblas_operation_llT0_T1_lllT2_lllib,@function
_ZL40rocblas_trsm_block_backward_substitutionI19rocblas_complex_numIfES1_PKS1_PS1_Lb0ELb0ELb0EEv18rocblas_operation_llT0_T1_lllT2_lllib: ; @_ZL40rocblas_trsm_block_backward_substitutionI19rocblas_complex_numIfES1_PKS1_PS1_Lb0ELb0ELb0EEv18rocblas_operation_llT0_T1_lllT2_lllib
; %bb.0:
	s_load_dword s0, s[4:5], 0x64
	s_load_dwordx4 s[28:31], s[4:5], 0x8
	s_load_dwordx2 s[34:35], s[4:5], 0x18
	s_load_dwordx16 s[12:27], s[4:5], 0x20
	s_load_dword s6, s[4:5], 0x74
	s_waitcnt lgkmcnt(0)
	s_bitcmp1_b32 s0, 0
	s_cselect_b64 s[0:1], -1, 0
	s_xor_b64 s[10:11], s[0:1], -1
	s_mul_i32 s0, s19, s8
	s_mul_hi_u32 s1, s18, s8
	s_add_i32 s1, s1, s0
	s_mul_i32 s0, s18, s8
	s_lshl_b64 s[0:1], s[0:1], 3
	s_add_u32 s2, s12, s0
	s_addc_u32 s3, s13, s1
	s_lshl_b64 s[0:1], s[14:15], 3
	s_add_u32 s2, s2, s0
	s_addc_u32 s3, s3, s1
	s_add_u32 s14, s4, 0x68
	v_mov_b32_e32 v2, v1
	s_addc_u32 s15, s5, 0
	s_lshr_b32 s6, s6, 16
	s_mov_b64 s[0:1], 1
	s_and_b64 vcc, exec, s[10:11]
	s_cbranch_vccnz .LBB179_15
; %bb.1:
	s_lshl_b32 s0, s6, 3
	s_add_i32 s18, s0, 0
	v_cmp_lt_i64_e64 s[0:1], s[28:29], 1
	s_mov_b64 s[12:13], 1
	s_and_b64 vcc, exec, s[0:1]
	s_cbranch_vccnz .LBB179_16
; %bb.2:
	v_mad_u64_u32 v[3:4], s[0:1], s16, v0, 0
	v_lshlrev_b32_e32 v6, 3, v0
	v_add_u32_e32 v10, s18, v6
	v_mov_b32_e32 v1, v4
	v_mad_u64_u32 v[4:5], s[0:1], s17, v0, v[1:2]
	v_mov_b32_e32 v1, 0
	v_cmp_le_u64_e64 s[16:17], s[28:29], v[0:1]
	v_lshlrev_b64 v[3:4], 3, v[3:4]
	v_cmp_gt_u64_e64 s[0:1], s[28:29], v[0:1]
	v_mov_b32_e32 v5, s3
	v_add_co_u32_e32 v1, vcc, s2, v3
	v_addc_co_u32_e32 v11, vcc, v5, v4, vcc
	v_add_co_u32_e32 v3, vcc, v1, v6
	v_addc_co_u32_e32 v4, vcc, 0, v11, vcc
	s_xor_b64 s[36:37], s[16:17], -1
	s_mov_b32 s9, s6
	v_mov_b32_e32 v5, v2
	s_branch .LBB179_5
.LBB179_3:                              ;   in Loop: Header=BB179_5 Depth=1
	s_or_b64 exec, exec, s[38:39]
	s_load_dword s19, s[14:15], 0xc
	s_waitcnt lgkmcnt(0)
	s_and_b32 s19, s19, 0xffff
	v_mul_u32_u24_e32 v6, s19, v0
	v_lshl_add_u32 v6, v6, 3, v10
	ds_write_b64 v6, v[8:9]
.LBB179_4:                              ;   in Loop: Header=BB179_5 Depth=1
	s_or_b64 exec, exec, s[2:3]
	s_ashr_i32 s2, s9, 31
	v_mov_b32_e32 v6, s9
	v_mov_b32_e32 v7, s2
	v_cmp_le_i64_e32 vcc, s[28:29], v[6:7]
	v_add_u32_e32 v5, s6, v5
	s_add_i32 s9, s9, s6
	s_cbranch_vccnz .LBB179_16
.LBB179_5:                              ; =>This Inner Loop Header: Depth=1
	s_mov_b64 s[40:41], s[16:17]
	s_and_saveexec_b64 s[38:39], s[0:1]
	s_cbranch_execz .LBB179_9
; %bb.6:                                ;   in Loop: Header=BB179_5 Depth=1
	v_ashrrev_i32_e32 v6, 31, v5
	v_cmp_gt_i64_e32 vcc, s[28:29], v[5:6]
	v_cmp_lt_i32_e64 s[2:3], v0, v5
	s_and_b64 s[42:43], s[2:3], vcc
	s_mov_b64 s[40:41], -1
	s_and_saveexec_b64 s[2:3], s[42:43]
	s_cbranch_execz .LBB179_8
; %bb.7:                                ;   in Loop: Header=BB179_5 Depth=1
	v_lshlrev_b64 v[6:7], 3, v[5:6]
	s_load_dword s19, s[14:15], 0xc
	v_add_co_u32_e32 v6, vcc, v1, v6
	v_addc_co_u32_e32 v7, vcc, v11, v7, vcc
	global_load_dwordx2 v[6:7], v[6:7], off
	s_waitcnt lgkmcnt(0)
	s_and_b32 s19, s19, 0xffff
	v_mul_lo_u32 v8, v5, s19
	s_xor_b64 s[40:41], exec, -1
	v_lshl_add_u32 v8, v8, 3, v10
	s_waitcnt vmcnt(0)
	ds_write_b64 v8, v[6:7]
.LBB179_8:                              ;   in Loop: Header=BB179_5 Depth=1
	s_or_b64 exec, exec, s[2:3]
	s_andn2_b64 s[2:3], s[16:17], exec
	s_and_b64 s[40:41], s[40:41], exec
	s_or_b64 s[40:41], s[2:3], s[40:41]
.LBB179_9:                              ;   in Loop: Header=BB179_5 Depth=1
	s_or_b64 exec, exec, s[38:39]
	s_and_saveexec_b64 s[2:3], s[40:41]
	s_cbranch_execz .LBB179_4
; %bb.10:                               ;   in Loop: Header=BB179_5 Depth=1
	v_cmp_eq_u32_e32 vcc, v0, v5
	s_and_b64 s[38:39], s[36:37], vcc
	s_and_b64 exec, exec, s[38:39]
	s_cbranch_execz .LBB179_4
; %bb.11:                               ;   in Loop: Header=BB179_5 Depth=1
	global_load_dwordx2 v[6:7], v[3:4], off
                                        ; implicit-def: $vgpr8
	s_waitcnt vmcnt(0)
	v_cmp_ngt_f32_e64 s[38:39], |v6|, |v7|
	s_and_saveexec_b64 s[40:41], s[38:39]
	s_xor_b64 s[38:39], exec, s[40:41]
	s_cbranch_execz .LBB179_13
; %bb.12:                               ;   in Loop: Header=BB179_5 Depth=1
	v_div_scale_f32 v8, s[40:41], v7, v7, v6
	v_div_scale_f32 v9, vcc, v6, v7, v6
	v_rcp_f32_e32 v12, v8
	v_fma_f32 v13, -v8, v12, 1.0
	v_fmac_f32_e32 v12, v13, v12
	v_mul_f32_e32 v13, v9, v12
	v_fma_f32 v14, -v8, v13, v9
	v_fmac_f32_e32 v13, v14, v12
	v_fma_f32 v8, -v8, v13, v9
	v_div_fmas_f32 v8, v8, v12, v13
	v_div_fixup_f32 v8, v8, v7, v6
	v_fmac_f32_e32 v7, v6, v8
	v_div_scale_f32 v6, s[40:41], v7, v7, 1.0
	v_div_scale_f32 v9, vcc, 1.0, v7, 1.0
	v_rcp_f32_e32 v12, v6
	v_fma_f32 v13, -v6, v12, 1.0
	v_fmac_f32_e32 v12, v13, v12
	v_mul_f32_e32 v13, v9, v12
	v_fma_f32 v14, -v6, v13, v9
	v_fmac_f32_e32 v13, v14, v12
	v_fma_f32 v6, -v6, v13, v9
	v_div_fmas_f32 v6, v6, v12, v13
	v_div_fixup_f32 v6, v6, v7, 1.0
	v_mul_f32_e32 v8, v8, v6
	v_xor_b32_e32 v9, 0x80000000, v6
                                        ; implicit-def: $vgpr6_vgpr7
.LBB179_13:                             ;   in Loop: Header=BB179_5 Depth=1
	s_andn2_saveexec_b64 s[38:39], s[38:39]
	s_cbranch_execz .LBB179_3
; %bb.14:                               ;   in Loop: Header=BB179_5 Depth=1
	v_div_scale_f32 v8, s[40:41], v6, v6, v7
	v_div_scale_f32 v9, vcc, v7, v6, v7
	v_rcp_f32_e32 v12, v8
	v_fma_f32 v13, -v8, v12, 1.0
	v_fmac_f32_e32 v12, v13, v12
	v_mul_f32_e32 v13, v9, v12
	v_fma_f32 v14, -v8, v13, v9
	v_fmac_f32_e32 v13, v14, v12
	v_fma_f32 v8, -v8, v13, v9
	v_div_fmas_f32 v8, v8, v12, v13
	v_div_fixup_f32 v9, v8, v6, v7
	v_fmac_f32_e32 v6, v7, v9
	v_div_scale_f32 v7, s[40:41], v6, v6, 1.0
	v_div_scale_f32 v8, vcc, 1.0, v6, 1.0
	v_rcp_f32_e32 v12, v7
	v_fma_f32 v13, -v7, v12, 1.0
	v_fmac_f32_e32 v12, v13, v12
	v_mul_f32_e32 v13, v8, v12
	v_fma_f32 v14, -v7, v13, v8
	v_fmac_f32_e32 v13, v14, v12
	v_fma_f32 v7, -v7, v13, v8
	v_div_fmas_f32 v7, v7, v12, v13
	v_div_fixup_f32 v8, v7, v6, 1.0
	v_mul_f32_e64 v9, v9, -v8
	s_branch .LBB179_3
.LBB179_15:
	s_mov_b64 s[12:13], s[16:17]
	s_branch .LBB179_17
.LBB179_16:
	s_load_dword s0, s[14:15], 0xc
	s_mov_b64 s[2:3], src_shared_base
	s_mov_b32 s19, s3
	s_mov_b32 s1, 0
	s_mov_b64 s[2:3], s[18:19]
	s_waitcnt lgkmcnt(0)
	s_and_b32 s0, s0, 0xffff
.LBB179_17:
	s_mul_i32 s7, s7, s6
	v_add_u32_e32 v3, s7, v2
	v_mov_b32_e32 v4, 0
	v_cmp_gt_i64_e32 vcc, s[30:31], v[3:4]
	s_and_saveexec_b64 s[6:7], vcc
	s_cbranch_execz .LBB179_46
; %bb.18:
	v_mov_b32_e32 v1, v4
	v_cmp_gt_i64_e32 vcc, s[28:29], v[0:1]
	s_and_b64 exec, exec, vcc
	s_cbranch_execz .LBB179_46
; %bb.19:
	s_mul_i32 s6, s27, s8
	s_mul_hi_u32 s7, s26, s8
	s_add_i32 s7, s7, s6
	s_mul_i32 s6, s26, s8
	v_mad_u64_u32 v[5:6], s[8:9], s24, v0, 0
	s_lshl_b64 s[6:7], s[6:7], 3
	s_add_u32 s8, s20, s6
	s_addc_u32 s9, s21, s7
	v_mad_u64_u32 v[6:7], s[6:7], s25, v0, v[6:7]
	s_lshl_b64 s[6:7], s[22:23], 3
	s_add_u32 s6, s8, s6
	v_lshlrev_b64 v[5:6], 3, v[5:6]
	s_addc_u32 s7, s9, s7
	v_mov_b32_e32 v7, s7
	v_add_co_u32_e32 v5, vcc, s6, v5
	v_lshlrev_b64 v[3:4], 3, v[3:4]
	v_addc_co_u32_e32 v6, vcc, v7, v6, vcc
	v_add_co_u32_e32 v3, vcc, v5, v3
	v_addc_co_u32_e32 v4, vcc, v6, v4, vcc
	global_load_dwordx2 v[7:8], v[3:4], off
	v_cmp_lt_u64_e64 s[6:7], s[28:29], 2
	s_and_b64 vcc, exec, s[6:7]
	s_waitcnt vmcnt(0)
	v_mul_f32_e32 v5, s35, v8
	v_mul_f32_e32 v6, s34, v8
	v_fma_f32 v5, s34, v7, -v5
	v_fmac_f32_e32 v6, s35, v7
	s_cbranch_vccnz .LBB179_37
; %bb.20:
	s_load_dword s4, s[4:5], 0x0
	v_mov_b32_e32 v14, s3
	v_lshl_add_u32 v2, v2, 3, 0
	s_waitcnt lgkmcnt(0)
	s_cmpk_lg_i32 s4, 0x71
	s_cselect_b64 s[4:5], -1, 0
	s_add_u32 s6, s0, s12
	v_mad_u64_u32 v[7:8], s[6:7], s6, v0, 0
	v_mad_u64_u32 v[9:10], s[6:7], s12, v0, 0
	s_addc_u32 s6, s1, s13
	v_mad_u64_u32 v[11:12], s[6:7], s6, v0, v[8:9]
	v_mov_b32_e32 v8, v10
	v_mad_u64_u32 v[12:13], s[6:7], s13, v0, v[8:9]
	s_add_u32 s6, s28, -1
	v_mov_b32_e32 v8, v11
	s_addc_u32 s7, s29, -1
	v_lshlrev_b64 v[7:8], 3, v[7:8]
	s_mul_i32 s8, s0, s7
	s_mul_hi_u32 s9, s0, s6
	v_mov_b32_e32 v10, v12
	s_add_i32 s9, s9, s8
	s_mul_i32 s8, s0, s6
	v_add_co_u32_e32 v7, vcc, s2, v7
	s_lshl_b64 s[8:9], s[8:9], 3
	v_lshlrev_b64 v[9:10], 3, v[9:10]
	v_addc_co_u32_e32 v8, vcc, v14, v8, vcc
	s_add_u32 s8, s2, s8
	s_addc_u32 s9, s3, s9
	v_add_co_u32_e32 v9, vcc, s8, v9
	s_lshl_b32 s8, s0, 3
	v_mov_b32_e32 v11, s9
	s_sub_u32 s16, 0, s8
	v_addc_co_u32_e32 v10, vcc, v11, v10, vcc
	s_subb_u32 s17, 0, 0
.LBB179_21:                             ; =>This Inner Loop Header: Depth=1
	v_cmp_eq_u64_e32 vcc, s[6:7], v[0:1]
	s_barrier
	s_and_saveexec_b64 s[8:9], vcc
	s_cbranch_execz .LBB179_29
; %bb.22:                               ;   in Loop: Header=BB179_21 Depth=1
	flat_load_dwordx2 v[11:12], v[7:8]
	s_andn2_b64 vcc, exec, s[10:11]
	s_cbranch_vccnz .LBB179_28
; %bb.23:                               ;   in Loop: Header=BB179_21 Depth=1
	s_waitcnt vmcnt(0) lgkmcnt(0)
	v_cmp_ngt_f32_e64 s[14:15], |v11|, |v12|
	s_and_saveexec_b64 s[18:19], s[14:15]
	s_xor_b64 s[14:15], exec, s[18:19]
	s_cbranch_execz .LBB179_25
; %bb.24:                               ;   in Loop: Header=BB179_21 Depth=1
	v_div_scale_f32 v13, s[18:19], v12, v12, v11
	v_div_scale_f32 v14, vcc, v11, v12, v11
	v_rcp_f32_e32 v15, v13
	v_fma_f32 v16, -v13, v15, 1.0
	v_fmac_f32_e32 v15, v16, v15
	v_mul_f32_e32 v16, v14, v15
	v_fma_f32 v17, -v13, v16, v14
	v_fmac_f32_e32 v16, v17, v15
	v_fma_f32 v13, -v13, v16, v14
	v_div_fmas_f32 v13, v13, v15, v16
	v_div_fixup_f32 v13, v13, v12, v11
	v_fmac_f32_e32 v12, v11, v13
	v_div_scale_f32 v11, s[18:19], v12, v12, 1.0
	v_div_scale_f32 v14, vcc, 1.0, v12, 1.0
	v_rcp_f32_e32 v15, v11
	v_fma_f32 v16, -v11, v15, 1.0
	v_fmac_f32_e32 v15, v16, v15
	v_mul_f32_e32 v16, v14, v15
	v_fma_f32 v17, -v11, v16, v14
	v_fmac_f32_e32 v16, v17, v15
	v_fma_f32 v11, -v11, v16, v14
	v_div_fmas_f32 v11, v11, v15, v16
	v_div_fixup_f32 v12, v11, v12, 1.0
	v_mul_f32_e32 v11, v13, v12
	v_xor_b32_e32 v12, 0x80000000, v12
.LBB179_25:                             ;   in Loop: Header=BB179_21 Depth=1
	s_andn2_saveexec_b64 s[14:15], s[14:15]
	s_cbranch_execz .LBB179_27
; %bb.26:                               ;   in Loop: Header=BB179_21 Depth=1
	v_div_scale_f32 v13, s[18:19], v11, v11, v12
	v_div_scale_f32 v14, vcc, v12, v11, v12
	v_rcp_f32_e32 v15, v13
	v_fma_f32 v16, -v13, v15, 1.0
	v_fmac_f32_e32 v15, v16, v15
	v_mul_f32_e32 v16, v14, v15
	v_fma_f32 v17, -v13, v16, v14
	v_fmac_f32_e32 v16, v17, v15
	v_fma_f32 v13, -v13, v16, v14
	v_div_fmas_f32 v13, v13, v15, v16
	v_div_fixup_f32 v13, v13, v11, v12
	v_fmac_f32_e32 v11, v12, v13
	v_div_scale_f32 v12, s[18:19], v11, v11, 1.0
	v_div_scale_f32 v14, vcc, 1.0, v11, 1.0
	v_rcp_f32_e32 v15, v12
	v_fma_f32 v16, -v12, v15, 1.0
	v_fmac_f32_e32 v15, v16, v15
	v_mul_f32_e32 v16, v14, v15
	v_fma_f32 v17, -v12, v16, v14
	v_fmac_f32_e32 v16, v17, v15
	v_fma_f32 v12, -v12, v16, v14
	v_div_fmas_f32 v12, v12, v15, v16
	v_div_fixup_f32 v11, v12, v11, 1.0
	v_mul_f32_e64 v12, v13, -v11
.LBB179_27:                             ;   in Loop: Header=BB179_21 Depth=1
	s_or_b64 exec, exec, s[14:15]
.LBB179_28:                             ;   in Loop: Header=BB179_21 Depth=1
	s_waitcnt vmcnt(0) lgkmcnt(0)
	v_mul_f32_e32 v13, v6, v12
	v_mul_f32_e32 v14, v5, v12
	v_fma_f32 v13, v5, v11, -v13
	v_fmac_f32_e32 v14, v6, v11
	v_mov_b32_e32 v6, v14
	v_mov_b32_e32 v5, v13
	ds_write_b64 v2, v[13:14]
.LBB179_29:                             ;   in Loop: Header=BB179_21 Depth=1
	s_or_b64 exec, exec, s[8:9]
	v_cmp_gt_i64_e32 vcc, s[6:7], v[0:1]
	s_waitcnt lgkmcnt(0)
	s_barrier
	s_and_saveexec_b64 s[8:9], vcc
	s_cbranch_execz .LBB179_35
; %bb.30:                               ;   in Loop: Header=BB179_21 Depth=1
	s_mov_b64 s[14:15], -1
	s_and_b64 vcc, exec, s[4:5]
                                        ; implicit-def: $vgpr11
	s_cbranch_vccz .LBB179_32
; %bb.31:                               ;   in Loop: Header=BB179_21 Depth=1
	flat_load_dwordx2 v[11:12], v[9:10]
	s_mov_b64 s[14:15], 0
.LBB179_32:                             ;   in Loop: Header=BB179_21 Depth=1
	s_andn2_b64 vcc, exec, s[14:15]
	s_cbranch_vccnz .LBB179_34
; %bb.33:                               ;   in Loop: Header=BB179_21 Depth=1
	s_waitcnt vmcnt(0) lgkmcnt(0)
	flat_load_dwordx2 v[11:12], v[9:10]
	s_waitcnt vmcnt(0) lgkmcnt(0)
	v_xor_b32_e32 v12, 0x80000000, v12
.LBB179_34:                             ;   in Loop: Header=BB179_21 Depth=1
	ds_read_b64 v[13:14], v2
	s_waitcnt vmcnt(0) lgkmcnt(0)
	v_mul_f32_e32 v15, v12, v14
	v_mul_f32_e32 v14, v14, v11
	v_fma_f32 v11, v13, v11, -v15
	v_fmac_f32_e32 v14, v12, v13
	v_sub_f32_e32 v5, v5, v11
	v_sub_f32_e32 v6, v6, v14
.LBB179_35:                             ;   in Loop: Header=BB179_21 Depth=1
	s_or_b64 exec, exec, s[8:9]
	s_add_u32 s8, s6, -1
	s_addc_u32 s9, s7, -1
	s_add_u32 s6, s6, 1
	s_addc_u32 s7, s7, 0
	v_mov_b32_e32 v11, s17
	v_cmp_lt_u64_e64 s[6:7], s[6:7], 3
	v_add_co_u32_e32 v9, vcc, s16, v9
	v_addc_co_u32_e32 v10, vcc, v10, v11, vcc
	s_and_b64 vcc, exec, s[6:7]
	s_cbranch_vccnz .LBB179_37
; %bb.36:                               ;   in Loop: Header=BB179_21 Depth=1
	s_mov_b64 s[6:7], s[8:9]
	s_branch .LBB179_21
.LBB179_37:
	v_cmp_eq_u32_e32 vcc, 0, v0
	s_and_saveexec_b64 s[4:5], vcc
	s_cbranch_execz .LBB179_45
; %bb.38:
	s_add_u32 s0, s0, s12
	v_mad_u64_u32 v[1:2], s[6:7], s0, v0, 0
	s_addc_u32 s0, s1, s13
	v_mad_u64_u32 v[7:8], s[0:1], s0, v0, v[2:3]
	v_mov_b32_e32 v8, s3
	v_mov_b32_e32 v2, v7
	v_lshlrev_b64 v[0:1], 3, v[1:2]
	v_add_co_u32_e32 v0, vcc, s2, v0
	v_addc_co_u32_e32 v1, vcc, v8, v1, vcc
	flat_load_dwordx2 v[0:1], v[0:1]
	s_andn2_b64 vcc, exec, s[10:11]
	s_cbranch_vccnz .LBB179_44
; %bb.39:
	s_waitcnt vmcnt(0) lgkmcnt(0)
	v_cmp_ngt_f32_e64 s[0:1], |v0|, |v1|
	s_and_saveexec_b64 s[2:3], s[0:1]
	s_xor_b64 s[0:1], exec, s[2:3]
	s_cbranch_execz .LBB179_41
; %bb.40:
	v_div_scale_f32 v2, s[2:3], v1, v1, v0
	v_div_scale_f32 v7, vcc, v0, v1, v0
	v_rcp_f32_e32 v8, v2
	v_fma_f32 v9, -v2, v8, 1.0
	v_fmac_f32_e32 v8, v9, v8
	v_mul_f32_e32 v9, v7, v8
	v_fma_f32 v10, -v2, v9, v7
	v_fmac_f32_e32 v9, v10, v8
	v_fma_f32 v2, -v2, v9, v7
	v_div_fmas_f32 v2, v2, v8, v9
	v_div_fixup_f32 v2, v2, v1, v0
	v_fmac_f32_e32 v1, v0, v2
	v_div_scale_f32 v0, s[2:3], v1, v1, 1.0
	v_div_scale_f32 v7, vcc, 1.0, v1, 1.0
	v_rcp_f32_e32 v8, v0
	v_fma_f32 v9, -v0, v8, 1.0
	v_fmac_f32_e32 v8, v9, v8
	v_mul_f32_e32 v9, v7, v8
	v_fma_f32 v10, -v0, v9, v7
	v_fmac_f32_e32 v9, v10, v8
	v_fma_f32 v0, -v0, v9, v7
	v_div_fmas_f32 v0, v0, v8, v9
	v_div_fixup_f32 v1, v0, v1, 1.0
	v_mul_f32_e32 v0, v2, v1
	v_xor_b32_e32 v1, 0x80000000, v1
.LBB179_41:
	s_andn2_saveexec_b64 s[0:1], s[0:1]
	s_cbranch_execz .LBB179_43
; %bb.42:
	v_div_scale_f32 v2, s[2:3], v0, v0, v1
	v_div_scale_f32 v7, vcc, v1, v0, v1
	v_rcp_f32_e32 v8, v2
	v_fma_f32 v9, -v2, v8, 1.0
	v_fmac_f32_e32 v8, v9, v8
	v_mul_f32_e32 v9, v7, v8
	v_fma_f32 v10, -v2, v9, v7
	v_fmac_f32_e32 v9, v10, v8
	v_fma_f32 v2, -v2, v9, v7
	v_div_fmas_f32 v2, v2, v8, v9
	v_div_fixup_f32 v2, v2, v0, v1
	v_fmac_f32_e32 v0, v1, v2
	v_div_scale_f32 v1, s[2:3], v0, v0, 1.0
	v_div_scale_f32 v7, vcc, 1.0, v0, 1.0
	v_rcp_f32_e32 v8, v1
	v_fma_f32 v9, -v1, v8, 1.0
	v_fmac_f32_e32 v8, v9, v8
	v_mul_f32_e32 v9, v7, v8
	v_fma_f32 v10, -v1, v9, v7
	v_fmac_f32_e32 v9, v10, v8
	v_fma_f32 v1, -v1, v9, v7
	v_div_fmas_f32 v1, v1, v8, v9
	v_div_fixup_f32 v0, v1, v0, 1.0
	v_mul_f32_e64 v1, v2, -v0
.LBB179_43:
	s_or_b64 exec, exec, s[0:1]
.LBB179_44:
	s_waitcnt vmcnt(0) lgkmcnt(0)
	v_mul_f32_e32 v2, v6, v1
	v_fma_f32 v2, v5, v0, -v2
	v_mul_f32_e32 v6, v6, v0
	v_fmac_f32_e32 v6, v5, v1
	v_mov_b32_e32 v5, v2
.LBB179_45:
	s_or_b64 exec, exec, s[4:5]
	global_store_dwordx2 v[3:4], v[5:6], off
.LBB179_46:
	s_endpgm
	.section	.rodata,"a",@progbits
	.p2align	6, 0x0
	.amdhsa_kernel _ZL40rocblas_trsm_block_backward_substitutionI19rocblas_complex_numIfES1_PKS1_PS1_Lb0ELb0ELb0EEv18rocblas_operation_llT0_T1_lllT2_lllib
		.amdhsa_group_segment_fixed_size 0
		.amdhsa_private_segment_fixed_size 0
		.amdhsa_kernarg_size 360
		.amdhsa_user_sgpr_count 6
		.amdhsa_user_sgpr_private_segment_buffer 1
		.amdhsa_user_sgpr_dispatch_ptr 0
		.amdhsa_user_sgpr_queue_ptr 0
		.amdhsa_user_sgpr_kernarg_segment_ptr 1
		.amdhsa_user_sgpr_dispatch_id 0
		.amdhsa_user_sgpr_flat_scratch_init 0
		.amdhsa_user_sgpr_private_segment_size 0
		.amdhsa_uses_dynamic_stack 0
		.amdhsa_system_sgpr_private_segment_wavefront_offset 0
		.amdhsa_system_sgpr_workgroup_id_x 1
		.amdhsa_system_sgpr_workgroup_id_y 1
		.amdhsa_system_sgpr_workgroup_id_z 1
		.amdhsa_system_sgpr_workgroup_info 0
		.amdhsa_system_vgpr_workitem_id 1
		.amdhsa_next_free_vgpr 18
		.amdhsa_next_free_sgpr 44
		.amdhsa_reserve_vcc 1
		.amdhsa_reserve_flat_scratch 0
		.amdhsa_float_round_mode_32 0
		.amdhsa_float_round_mode_16_64 0
		.amdhsa_float_denorm_mode_32 3
		.amdhsa_float_denorm_mode_16_64 3
		.amdhsa_dx10_clamp 1
		.amdhsa_ieee_mode 1
		.amdhsa_fp16_overflow 0
		.amdhsa_exception_fp_ieee_invalid_op 0
		.amdhsa_exception_fp_denorm_src 0
		.amdhsa_exception_fp_ieee_div_zero 0
		.amdhsa_exception_fp_ieee_overflow 0
		.amdhsa_exception_fp_ieee_underflow 0
		.amdhsa_exception_fp_ieee_inexact 0
		.amdhsa_exception_int_div_zero 0
	.end_amdhsa_kernel
	.section	.text._ZL40rocblas_trsm_block_backward_substitutionI19rocblas_complex_numIfES1_PKS1_PS1_Lb0ELb0ELb0EEv18rocblas_operation_llT0_T1_lllT2_lllib,"axG",@progbits,_ZL40rocblas_trsm_block_backward_substitutionI19rocblas_complex_numIfES1_PKS1_PS1_Lb0ELb0ELb0EEv18rocblas_operation_llT0_T1_lllT2_lllib,comdat
.Lfunc_end179:
	.size	_ZL40rocblas_trsm_block_backward_substitutionI19rocblas_complex_numIfES1_PKS1_PS1_Lb0ELb0ELb0EEv18rocblas_operation_llT0_T1_lllT2_lllib, .Lfunc_end179-_ZL40rocblas_trsm_block_backward_substitutionI19rocblas_complex_numIfES1_PKS1_PS1_Lb0ELb0ELb0EEv18rocblas_operation_llT0_T1_lllT2_lllib
                                        ; -- End function
	.set _ZL40rocblas_trsm_block_backward_substitutionI19rocblas_complex_numIfES1_PKS1_PS1_Lb0ELb0ELb0EEv18rocblas_operation_llT0_T1_lllT2_lllib.num_vgpr, 18
	.set _ZL40rocblas_trsm_block_backward_substitutionI19rocblas_complex_numIfES1_PKS1_PS1_Lb0ELb0ELb0EEv18rocblas_operation_llT0_T1_lllT2_lllib.num_agpr, 0
	.set _ZL40rocblas_trsm_block_backward_substitutionI19rocblas_complex_numIfES1_PKS1_PS1_Lb0ELb0ELb0EEv18rocblas_operation_llT0_T1_lllT2_lllib.numbered_sgpr, 44
	.set _ZL40rocblas_trsm_block_backward_substitutionI19rocblas_complex_numIfES1_PKS1_PS1_Lb0ELb0ELb0EEv18rocblas_operation_llT0_T1_lllT2_lllib.num_named_barrier, 0
	.set _ZL40rocblas_trsm_block_backward_substitutionI19rocblas_complex_numIfES1_PKS1_PS1_Lb0ELb0ELb0EEv18rocblas_operation_llT0_T1_lllT2_lllib.private_seg_size, 0
	.set _ZL40rocblas_trsm_block_backward_substitutionI19rocblas_complex_numIfES1_PKS1_PS1_Lb0ELb0ELb0EEv18rocblas_operation_llT0_T1_lllT2_lllib.uses_vcc, 1
	.set _ZL40rocblas_trsm_block_backward_substitutionI19rocblas_complex_numIfES1_PKS1_PS1_Lb0ELb0ELb0EEv18rocblas_operation_llT0_T1_lllT2_lllib.uses_flat_scratch, 0
	.set _ZL40rocblas_trsm_block_backward_substitutionI19rocblas_complex_numIfES1_PKS1_PS1_Lb0ELb0ELb0EEv18rocblas_operation_llT0_T1_lllT2_lllib.has_dyn_sized_stack, 0
	.set _ZL40rocblas_trsm_block_backward_substitutionI19rocblas_complex_numIfES1_PKS1_PS1_Lb0ELb0ELb0EEv18rocblas_operation_llT0_T1_lllT2_lllib.has_recursion, 0
	.set _ZL40rocblas_trsm_block_backward_substitutionI19rocblas_complex_numIfES1_PKS1_PS1_Lb0ELb0ELb0EEv18rocblas_operation_llT0_T1_lllT2_lllib.has_indirect_call, 0
	.section	.AMDGPU.csdata,"",@progbits
; Kernel info:
; codeLenInByte = 2312
; TotalNumSgprs: 48
; NumVgprs: 18
; ScratchSize: 0
; MemoryBound: 0
; FloatMode: 240
; IeeeMode: 1
; LDSByteSize: 0 bytes/workgroup (compile time only)
; SGPRBlocks: 5
; VGPRBlocks: 4
; NumSGPRsForWavesPerEU: 48
; NumVGPRsForWavesPerEU: 18
; Occupancy: 10
; WaveLimiterHint : 1
; COMPUTE_PGM_RSRC2:SCRATCH_EN: 0
; COMPUTE_PGM_RSRC2:USER_SGPR: 6
; COMPUTE_PGM_RSRC2:TRAP_HANDLER: 0
; COMPUTE_PGM_RSRC2:TGID_X_EN: 1
; COMPUTE_PGM_RSRC2:TGID_Y_EN: 1
; COMPUTE_PGM_RSRC2:TGID_Z_EN: 1
; COMPUTE_PGM_RSRC2:TIDIG_COMP_CNT: 1
	.section	.text._ZL39rocblas_trsm_block_forward_substitutionI19rocblas_complex_numIfES1_PKS1_PS1_Lb0ELb0ELb1EEv18rocblas_operation_llT0_T1_lllT2_lllib,"axG",@progbits,_ZL39rocblas_trsm_block_forward_substitutionI19rocblas_complex_numIfES1_PKS1_PS1_Lb0ELb0ELb1EEv18rocblas_operation_llT0_T1_lllT2_lllib,comdat
	.globl	_ZL39rocblas_trsm_block_forward_substitutionI19rocblas_complex_numIfES1_PKS1_PS1_Lb0ELb0ELb1EEv18rocblas_operation_llT0_T1_lllT2_lllib ; -- Begin function _ZL39rocblas_trsm_block_forward_substitutionI19rocblas_complex_numIfES1_PKS1_PS1_Lb0ELb0ELb1EEv18rocblas_operation_llT0_T1_lllT2_lllib
	.p2align	8
	.type	_ZL39rocblas_trsm_block_forward_substitutionI19rocblas_complex_numIfES1_PKS1_PS1_Lb0ELb0ELb1EEv18rocblas_operation_llT0_T1_lllT2_lllib,@function
_ZL39rocblas_trsm_block_forward_substitutionI19rocblas_complex_numIfES1_PKS1_PS1_Lb0ELb0ELb1EEv18rocblas_operation_llT0_T1_lllT2_lllib: ; @_ZL39rocblas_trsm_block_forward_substitutionI19rocblas_complex_numIfES1_PKS1_PS1_Lb0ELb0ELb1EEv18rocblas_operation_llT0_T1_lllT2_lllib
; %bb.0:
	s_load_dwordx16 s[12:27], s[4:5], 0x20
	s_load_dwordx4 s[28:31], s[4:5], 0x8
	s_load_dwordx2 s[2:3], s[4:5], 0x18
	v_mov_b32_e32 v2, v1
	s_waitcnt lgkmcnt(0)
	s_mul_i32 s0, s19, s8
	s_mul_hi_u32 s1, s18, s8
	s_add_i32 s1, s1, s0
	s_mul_i32 s0, s18, s8
	s_lshl_b64 s[0:1], s[0:1], 3
	s_add_u32 s6, s12, s0
	s_addc_u32 s9, s13, s1
	s_lshl_b64 s[0:1], s[14:15], 3
	s_load_dword s14, s[4:5], 0x64
	s_load_dword s15, s[4:5], 0x74
	s_add_u32 s10, s6, s0
	s_addc_u32 s11, s9, s1
	s_add_u32 s12, s4, 0x68
	s_addc_u32 s13, s5, 0
	s_waitcnt lgkmcnt(0)
	s_lshr_b32 s6, s15, 16
	s_bitcmp0_b32 s14, 0
	s_cbranch_scc1 .LBB180_7
; %bb.1:
	v_cmp_lt_i64_e64 s[0:1], s[28:29], 1
	s_lshl_b32 s9, s6, 3
	s_add_i32 s14, s9, 0
	s_and_b64 vcc, exec, s[0:1]
	s_cbranch_vccnz .LBB180_6
; %bb.2:
	v_lshlrev_b32_e32 v4, 3, v0
	v_mov_b32_e32 v1, 0
	v_cmp_gt_u64_e64 s[0:1], s[28:29], v[0:1]
	v_mov_b32_e32 v5, s11
	v_add_co_u32_e32 v1, vcc, s10, v4
	v_add_u32_e32 v3, s14, v4
	v_addc_co_u32_e32 v4, vcc, 0, v5, vcc
	s_mov_b32 s9, 0
	s_branch .LBB180_4
.LBB180_3:                              ;   in Loop: Header=BB180_4 Depth=1
	s_or_b64 exec, exec, s[10:11]
	s_add_i32 s9, s9, s6
	s_ashr_i32 s10, s9, 31
	v_mov_b32_e32 v5, s9
	v_mov_b32_e32 v6, s10
	v_cmp_le_i64_e32 vcc, s[28:29], v[5:6]
	s_cbranch_vccnz .LBB180_6
.LBB180_4:                              ; =>This Inner Loop Header: Depth=1
	v_add_u32_e32 v5, s9, v2
	v_cmp_gt_i32_e32 vcc, v0, v5
	s_and_b64 s[18:19], s[0:1], vcc
	s_and_saveexec_b64 s[10:11], s[18:19]
	s_cbranch_execz .LBB180_3
; %bb.5:                                ;   in Loop: Header=BB180_4 Depth=1
	v_ashrrev_i32_e32 v8, 31, v5
	v_mul_lo_u32 v9, s17, v5
	v_mad_u64_u32 v[6:7], s[18:19], s16, v5, 0
	v_mul_lo_u32 v8, s16, v8
	s_load_dword s15, s[12:13], 0xc
	v_add3_u32 v7, v7, v8, v9
	v_lshlrev_b64 v[6:7], 3, v[6:7]
	s_waitcnt lgkmcnt(0)
	s_and_b32 s15, s15, 0xffff
	v_add_co_u32_e32 v6, vcc, v1, v6
	v_addc_co_u32_e32 v7, vcc, v4, v7, vcc
	global_load_dwordx2 v[6:7], v[6:7], off
	v_mul_lo_u32 v5, v5, s15
	v_lshl_add_u32 v5, v5, 3, v3
	s_waitcnt vmcnt(0)
	ds_write_b64 v5, v[6:7]
	s_branch .LBB180_3
.LBB180_6:
	s_mov_b64 s[0:1], src_shared_base
	s_load_dword s0, s[12:13], 0xc
	s_mov_b32 s15, s1
	s_mov_b32 s17, 0
	s_mov_b64 s[10:11], s[14:15]
	s_waitcnt lgkmcnt(0)
	s_and_b32 s16, s0, 0xffff
.LBB180_7:
	s_mul_i32 s7, s7, s6
	v_add_u32_e32 v3, s7, v2
	v_mov_b32_e32 v4, 0
	v_cmp_gt_i64_e32 vcc, s[30:31], v[3:4]
	s_and_saveexec_b64 s[0:1], vcc
	s_cbranch_execz .LBB180_21
; %bb.8:
	v_mov_b32_e32 v1, v4
	v_cmp_gt_i64_e32 vcc, s[28:29], v[0:1]
	s_and_b64 exec, exec, vcc
	s_cbranch_execz .LBB180_21
; %bb.9:
	s_mul_i32 s0, s27, s8
	s_mul_hi_u32 s1, s26, s8
	v_mad_u64_u32 v[4:5], s[6:7], s24, v3, 0
	s_add_i32 s1, s1, s0
	s_mul_i32 s0, s26, s8
	s_lshl_b64 s[0:1], s[0:1], 3
	s_add_u32 s6, s20, s0
	s_addc_u32 s7, s21, s1
	v_mad_u64_u32 v[5:6], s[0:1], s25, v3, v[5:6]
	s_lshl_b64 s[0:1], s[22:23], 3
	s_add_u32 s0, s6, s0
	v_lshlrev_b64 v[3:4], 3, v[4:5]
	s_addc_u32 s1, s7, s1
	v_mov_b32_e32 v5, s1
	v_add_co_u32_e32 v3, vcc, s0, v3
	v_addc_co_u32_e32 v4, vcc, v5, v4, vcc
	v_lshlrev_b32_e32 v7, 3, v0
	v_add_co_u32_e32 v3, vcc, v3, v7
	v_addc_co_u32_e32 v4, vcc, 0, v4, vcc
	global_load_dwordx2 v[8:9], v[3:4], off
	v_cmp_lt_u64_e64 s[0:1], s[28:29], 2
	s_and_b64 vcc, exec, s[0:1]
	s_waitcnt vmcnt(0)
	v_mul_f32_e32 v5, s3, v9
	v_mul_f32_e32 v6, s2, v9
	v_fma_f32 v5, s2, v8, -v5
	v_fmac_f32_e32 v6, s3, v8
	s_cbranch_vccnz .LBB180_20
; %bb.10:
	s_load_dword s0, s[4:5], 0x0
	v_mov_b32_e32 v8, s11
	v_add_co_u32_e32 v7, vcc, s10, v7
	v_addc_co_u32_e32 v8, vcc, 0, v8, vcc
	s_waitcnt lgkmcnt(0)
	s_cmpk_lg_i32 s0, 0x71
	s_cselect_b64 s[0:1], -1, 0
	s_add_u32 s2, s28, -1
	v_lshl_add_u32 v2, v2, 3, 0
	s_addc_u32 s3, s29, -1
	s_lshl_b64 s[4:5], s[16:17], 3
	s_mov_b64 s[6:7], 0
	s_branch .LBB180_13
.LBB180_11:                             ;   in Loop: Header=BB180_13 Depth=1
	ds_read_b64 v[11:12], v2
	s_waitcnt vmcnt(0) lgkmcnt(0)
	v_mul_f32_e32 v13, v10, v12
	v_mul_f32_e32 v12, v12, v9
	v_fma_f32 v9, v11, v9, -v13
	v_fmac_f32_e32 v12, v10, v11
	v_sub_f32_e32 v5, v5, v9
	v_sub_f32_e32 v6, v6, v12
.LBB180_12:                             ;   in Loop: Header=BB180_13 Depth=1
	s_or_b64 exec, exec, s[8:9]
	s_add_u32 s6, s6, 1
	s_addc_u32 s7, s7, 0
	v_mov_b32_e32 v9, s5
	v_add_co_u32_e32 v7, vcc, s4, v7
	s_cmp_eq_u64 s[2:3], s[6:7]
	v_addc_co_u32_e32 v8, vcc, v8, v9, vcc
	s_cbranch_scc1 .LBB180_20
.LBB180_13:                             ; =>This Inner Loop Header: Depth=1
	v_cmp_eq_u64_e32 vcc, s[6:7], v[0:1]
	s_barrier
	s_and_saveexec_b64 s[8:9], vcc
; %bb.14:                               ;   in Loop: Header=BB180_13 Depth=1
	ds_write_b64 v2, v[5:6]
; %bb.15:                               ;   in Loop: Header=BB180_13 Depth=1
	s_or_b64 exec, exec, s[8:9]
	v_cmp_lt_u64_e32 vcc, s[6:7], v[0:1]
	s_waitcnt lgkmcnt(0)
	s_barrier
	s_and_saveexec_b64 s[8:9], vcc
	s_cbranch_execz .LBB180_12
; %bb.16:                               ;   in Loop: Header=BB180_13 Depth=1
	s_mov_b64 s[10:11], -1
	s_and_b64 vcc, exec, s[0:1]
                                        ; implicit-def: $vgpr9
	s_cbranch_vccz .LBB180_18
; %bb.17:                               ;   in Loop: Header=BB180_13 Depth=1
	flat_load_dwordx2 v[9:10], v[7:8]
	s_mov_b64 s[10:11], 0
.LBB180_18:                             ;   in Loop: Header=BB180_13 Depth=1
	s_andn2_b64 vcc, exec, s[10:11]
	s_cbranch_vccnz .LBB180_11
; %bb.19:                               ;   in Loop: Header=BB180_13 Depth=1
	s_waitcnt vmcnt(0) lgkmcnt(0)
	flat_load_dwordx2 v[9:10], v[7:8]
	s_waitcnt vmcnt(0) lgkmcnt(0)
	v_xor_b32_e32 v10, 0x80000000, v10
	s_branch .LBB180_11
.LBB180_20:
	global_store_dwordx2 v[3:4], v[5:6], off
.LBB180_21:
	s_endpgm
	.section	.rodata,"a",@progbits
	.p2align	6, 0x0
	.amdhsa_kernel _ZL39rocblas_trsm_block_forward_substitutionI19rocblas_complex_numIfES1_PKS1_PS1_Lb0ELb0ELb1EEv18rocblas_operation_llT0_T1_lllT2_lllib
		.amdhsa_group_segment_fixed_size 0
		.amdhsa_private_segment_fixed_size 0
		.amdhsa_kernarg_size 360
		.amdhsa_user_sgpr_count 6
		.amdhsa_user_sgpr_private_segment_buffer 1
		.amdhsa_user_sgpr_dispatch_ptr 0
		.amdhsa_user_sgpr_queue_ptr 0
		.amdhsa_user_sgpr_kernarg_segment_ptr 1
		.amdhsa_user_sgpr_dispatch_id 0
		.amdhsa_user_sgpr_flat_scratch_init 0
		.amdhsa_user_sgpr_private_segment_size 0
		.amdhsa_uses_dynamic_stack 0
		.amdhsa_system_sgpr_private_segment_wavefront_offset 0
		.amdhsa_system_sgpr_workgroup_id_x 1
		.amdhsa_system_sgpr_workgroup_id_y 1
		.amdhsa_system_sgpr_workgroup_id_z 1
		.amdhsa_system_sgpr_workgroup_info 0
		.amdhsa_system_vgpr_workitem_id 1
		.amdhsa_next_free_vgpr 14
		.amdhsa_next_free_sgpr 32
		.amdhsa_reserve_vcc 1
		.amdhsa_reserve_flat_scratch 0
		.amdhsa_float_round_mode_32 0
		.amdhsa_float_round_mode_16_64 0
		.amdhsa_float_denorm_mode_32 3
		.amdhsa_float_denorm_mode_16_64 3
		.amdhsa_dx10_clamp 1
		.amdhsa_ieee_mode 1
		.amdhsa_fp16_overflow 0
		.amdhsa_exception_fp_ieee_invalid_op 0
		.amdhsa_exception_fp_denorm_src 0
		.amdhsa_exception_fp_ieee_div_zero 0
		.amdhsa_exception_fp_ieee_overflow 0
		.amdhsa_exception_fp_ieee_underflow 0
		.amdhsa_exception_fp_ieee_inexact 0
		.amdhsa_exception_int_div_zero 0
	.end_amdhsa_kernel
	.section	.text._ZL39rocblas_trsm_block_forward_substitutionI19rocblas_complex_numIfES1_PKS1_PS1_Lb0ELb0ELb1EEv18rocblas_operation_llT0_T1_lllT2_lllib,"axG",@progbits,_ZL39rocblas_trsm_block_forward_substitutionI19rocblas_complex_numIfES1_PKS1_PS1_Lb0ELb0ELb1EEv18rocblas_operation_llT0_T1_lllT2_lllib,comdat
.Lfunc_end180:
	.size	_ZL39rocblas_trsm_block_forward_substitutionI19rocblas_complex_numIfES1_PKS1_PS1_Lb0ELb0ELb1EEv18rocblas_operation_llT0_T1_lllT2_lllib, .Lfunc_end180-_ZL39rocblas_trsm_block_forward_substitutionI19rocblas_complex_numIfES1_PKS1_PS1_Lb0ELb0ELb1EEv18rocblas_operation_llT0_T1_lllT2_lllib
                                        ; -- End function
	.set _ZL39rocblas_trsm_block_forward_substitutionI19rocblas_complex_numIfES1_PKS1_PS1_Lb0ELb0ELb1EEv18rocblas_operation_llT0_T1_lllT2_lllib.num_vgpr, 14
	.set _ZL39rocblas_trsm_block_forward_substitutionI19rocblas_complex_numIfES1_PKS1_PS1_Lb0ELb0ELb1EEv18rocblas_operation_llT0_T1_lllT2_lllib.num_agpr, 0
	.set _ZL39rocblas_trsm_block_forward_substitutionI19rocblas_complex_numIfES1_PKS1_PS1_Lb0ELb0ELb1EEv18rocblas_operation_llT0_T1_lllT2_lllib.numbered_sgpr, 32
	.set _ZL39rocblas_trsm_block_forward_substitutionI19rocblas_complex_numIfES1_PKS1_PS1_Lb0ELb0ELb1EEv18rocblas_operation_llT0_T1_lllT2_lllib.num_named_barrier, 0
	.set _ZL39rocblas_trsm_block_forward_substitutionI19rocblas_complex_numIfES1_PKS1_PS1_Lb0ELb0ELb1EEv18rocblas_operation_llT0_T1_lllT2_lllib.private_seg_size, 0
	.set _ZL39rocblas_trsm_block_forward_substitutionI19rocblas_complex_numIfES1_PKS1_PS1_Lb0ELb0ELb1EEv18rocblas_operation_llT0_T1_lllT2_lllib.uses_vcc, 1
	.set _ZL39rocblas_trsm_block_forward_substitutionI19rocblas_complex_numIfES1_PKS1_PS1_Lb0ELb0ELb1EEv18rocblas_operation_llT0_T1_lllT2_lllib.uses_flat_scratch, 0
	.set _ZL39rocblas_trsm_block_forward_substitutionI19rocblas_complex_numIfES1_PKS1_PS1_Lb0ELb0ELb1EEv18rocblas_operation_llT0_T1_lllT2_lllib.has_dyn_sized_stack, 0
	.set _ZL39rocblas_trsm_block_forward_substitutionI19rocblas_complex_numIfES1_PKS1_PS1_Lb0ELb0ELb1EEv18rocblas_operation_llT0_T1_lllT2_lllib.has_recursion, 0
	.set _ZL39rocblas_trsm_block_forward_substitutionI19rocblas_complex_numIfES1_PKS1_PS1_Lb0ELb0ELb1EEv18rocblas_operation_llT0_T1_lllT2_lllib.has_indirect_call, 0
	.section	.AMDGPU.csdata,"",@progbits
; Kernel info:
; codeLenInByte = 800
; TotalNumSgprs: 36
; NumVgprs: 14
; ScratchSize: 0
; MemoryBound: 0
; FloatMode: 240
; IeeeMode: 1
; LDSByteSize: 0 bytes/workgroup (compile time only)
; SGPRBlocks: 4
; VGPRBlocks: 3
; NumSGPRsForWavesPerEU: 36
; NumVGPRsForWavesPerEU: 14
; Occupancy: 10
; WaveLimiterHint : 1
; COMPUTE_PGM_RSRC2:SCRATCH_EN: 0
; COMPUTE_PGM_RSRC2:USER_SGPR: 6
; COMPUTE_PGM_RSRC2:TRAP_HANDLER: 0
; COMPUTE_PGM_RSRC2:TGID_X_EN: 1
; COMPUTE_PGM_RSRC2:TGID_Y_EN: 1
; COMPUTE_PGM_RSRC2:TGID_Z_EN: 1
; COMPUTE_PGM_RSRC2:TIDIG_COMP_CNT: 1
	.section	.text._ZL40rocblas_trsm_block_backward_substitutionI19rocblas_complex_numIfES1_PKS1_PS1_Lb0ELb0ELb1EEv18rocblas_operation_llT0_T1_lllT2_lllib,"axG",@progbits,_ZL40rocblas_trsm_block_backward_substitutionI19rocblas_complex_numIfES1_PKS1_PS1_Lb0ELb0ELb1EEv18rocblas_operation_llT0_T1_lllT2_lllib,comdat
	.globl	_ZL40rocblas_trsm_block_backward_substitutionI19rocblas_complex_numIfES1_PKS1_PS1_Lb0ELb0ELb1EEv18rocblas_operation_llT0_T1_lllT2_lllib ; -- Begin function _ZL40rocblas_trsm_block_backward_substitutionI19rocblas_complex_numIfES1_PKS1_PS1_Lb0ELb0ELb1EEv18rocblas_operation_llT0_T1_lllT2_lllib
	.p2align	8
	.type	_ZL40rocblas_trsm_block_backward_substitutionI19rocblas_complex_numIfES1_PKS1_PS1_Lb0ELb0ELb1EEv18rocblas_operation_llT0_T1_lllT2_lllib,@function
_ZL40rocblas_trsm_block_backward_substitutionI19rocblas_complex_numIfES1_PKS1_PS1_Lb0ELb0ELb1EEv18rocblas_operation_llT0_T1_lllT2_lllib: ; @_ZL40rocblas_trsm_block_backward_substitutionI19rocblas_complex_numIfES1_PKS1_PS1_Lb0ELb0ELb1EEv18rocblas_operation_llT0_T1_lllT2_lllib
; %bb.0:
	s_load_dwordx16 s[12:27], s[4:5], 0x20
	s_load_dwordx4 s[28:31], s[4:5], 0x8
	s_load_dwordx2 s[10:11], s[4:5], 0x18
	s_load_dword s9, s[4:5], 0x64
	s_load_dword s6, s[4:5], 0x74
	v_mov_b32_e32 v2, v1
	s_waitcnt lgkmcnt(0)
	s_mul_i32 s0, s19, s8
	s_mul_hi_u32 s1, s18, s8
	s_add_i32 s1, s1, s0
	s_mul_i32 s0, s18, s8
	s_lshl_b64 s[0:1], s[0:1], 3
	s_add_u32 s2, s12, s0
	s_addc_u32 s3, s13, s1
	s_lshl_b64 s[0:1], s[14:15], 3
	s_add_u32 s2, s2, s0
	s_addc_u32 s3, s3, s1
	s_add_u32 s18, s4, 0x68
	s_addc_u32 s19, s5, 0
	s_lshr_b32 s6, s6, 16
	s_bitcmp0_b32 s9, 0
	s_mov_b64 s[14:15], 1
	s_cbranch_scc1 .LBB181_6
; %bb.1:
	s_lshl_b32 s0, s6, 3
	s_add_i32 s34, s0, 0
	v_cmp_lt_i64_e64 s[0:1], s[28:29], 1
	s_mov_b64 s[12:13], 1
	s_and_b64 vcc, exec, s[0:1]
	s_cbranch_vccnz .LBB181_7
; %bb.2:
	v_mad_u64_u32 v[3:4], s[0:1], s16, v0, 0
	v_lshl_add_u32 v5, v0, 3, s34
	s_mov_b32 s9, 0
	v_mov_b32_e32 v1, v4
	v_mad_u64_u32 v[6:7], s[0:1], s17, v0, v[1:2]
	v_mov_b32_e32 v1, 0
	v_mov_b32_e32 v7, s3
	v_mov_b32_e32 v4, v6
	v_lshlrev_b64 v[3:4], 3, v[3:4]
	v_cmp_gt_u64_e64 s[0:1], s[28:29], v[0:1]
	v_add_co_u32_e32 v1, vcc, s2, v3
	v_addc_co_u32_e32 v6, vcc, v7, v4, vcc
	s_branch .LBB181_4
.LBB181_3:                              ;   in Loop: Header=BB181_4 Depth=1
	s_or_b64 exec, exec, s[2:3]
	s_add_i32 s9, s9, s6
	s_ashr_i32 s2, s9, 31
	v_mov_b32_e32 v3, s9
	v_mov_b32_e32 v4, s2
	v_cmp_le_i64_e32 vcc, s[28:29], v[3:4]
	s_cbranch_vccnz .LBB181_7
.LBB181_4:                              ; =>This Inner Loop Header: Depth=1
	v_add_u32_e32 v3, s9, v2
	v_ashrrev_i32_e32 v4, 31, v3
	v_cmp_gt_i64_e32 vcc, s[28:29], v[3:4]
	v_cmp_lt_i32_e64 s[2:3], v0, v3
	s_and_b64 s[2:3], s[2:3], vcc
	s_and_b64 s[14:15], s[0:1], s[2:3]
	s_and_saveexec_b64 s[2:3], s[14:15]
	s_cbranch_execz .LBB181_3
; %bb.5:                                ;   in Loop: Header=BB181_4 Depth=1
	v_lshlrev_b64 v[7:8], 3, v[3:4]
	s_load_dword s14, s[18:19], 0xc
	v_add_co_u32_e32 v7, vcc, v1, v7
	v_addc_co_u32_e32 v8, vcc, v6, v8, vcc
	global_load_dwordx2 v[7:8], v[7:8], off
	s_waitcnt lgkmcnt(0)
	s_and_b32 s14, s14, 0xffff
	v_mul_lo_u32 v3, v3, s14
	v_lshl_add_u32 v3, v3, 3, v5
	s_waitcnt vmcnt(0)
	ds_write_b64 v3, v[7:8]
	s_branch .LBB181_3
.LBB181_6:
	s_mov_b64 s[12:13], s[16:17]
	s_branch .LBB181_8
.LBB181_7:
	s_mov_b64 s[0:1], src_shared_base
	s_load_dword s0, s[18:19], 0xc
	s_mov_b32 s35, s1
	s_mov_b64 s[2:3], s[34:35]
	s_waitcnt lgkmcnt(0)
	s_and_b32 s14, s0, 0xffff
.LBB181_8:
	s_mul_i32 s7, s7, s6
	v_add_u32_e32 v3, s7, v2
	v_mov_b32_e32 v4, 0
	v_cmp_gt_i64_e32 vcc, s[30:31], v[3:4]
	s_and_saveexec_b64 s[0:1], vcc
	s_cbranch_execz .LBB181_23
; %bb.9:
	v_mov_b32_e32 v1, v4
	v_cmp_gt_i64_e32 vcc, s[28:29], v[0:1]
	s_and_b64 exec, exec, vcc
	s_cbranch_execz .LBB181_23
; %bb.10:
	s_mul_i32 s0, s27, s8
	s_mul_hi_u32 s1, s26, s8
	v_mad_u64_u32 v[5:6], s[6:7], s24, v0, 0
	s_add_i32 s1, s1, s0
	s_mul_i32 s0, s26, s8
	s_lshl_b64 s[0:1], s[0:1], 3
	s_add_u32 s6, s20, s0
	s_addc_u32 s7, s21, s1
	v_mad_u64_u32 v[6:7], s[0:1], s25, v0, v[6:7]
	s_lshl_b64 s[0:1], s[22:23], 3
	s_add_u32 s0, s6, s0
	v_lshlrev_b64 v[5:6], 3, v[5:6]
	s_addc_u32 s1, s7, s1
	v_mov_b32_e32 v7, s1
	v_add_co_u32_e32 v5, vcc, s0, v5
	v_lshlrev_b64 v[3:4], 3, v[3:4]
	v_addc_co_u32_e32 v6, vcc, v7, v6, vcc
	v_add_co_u32_e32 v3, vcc, v5, v3
	v_addc_co_u32_e32 v4, vcc, v6, v4, vcc
	global_load_dwordx2 v[7:8], v[3:4], off
	v_cmp_lt_u64_e64 s[0:1], s[28:29], 2
	s_and_b64 vcc, exec, s[0:1]
	s_waitcnt vmcnt(0)
	v_mul_f32_e32 v5, s11, v8
	v_mul_f32_e32 v6, s10, v8
	v_fma_f32 v5, s10, v7, -v5
	v_fmac_f32_e32 v6, s11, v7
	s_cbranch_vccnz .LBB181_22
; %bb.11:
	s_load_dword s4, s[4:5], 0x0
	v_mad_u64_u32 v[7:8], s[0:1], s12, v0, 0
	v_lshl_add_u32 v2, v2, 3, 0
	v_mad_u64_u32 v[8:9], s[0:1], s13, v0, v[8:9]
	s_waitcnt lgkmcnt(0)
	s_cmpk_lg_i32 s4, 0x71
	s_cselect_b64 s[0:1], -1, 0
	s_add_u32 s4, s28, -1
	s_addc_u32 s5, s29, -1
	s_mul_i32 s6, s14, s5
	s_mul_hi_u32 s7, s14, s4
	s_add_i32 s7, s7, s6
	s_mul_i32 s6, s14, s4
	s_lshl_b64 s[6:7], s[6:7], 3
	v_lshlrev_b64 v[7:8], 3, v[7:8]
	s_add_u32 s2, s2, s6
	s_addc_u32 s3, s3, s7
	v_add_co_u32_e32 v7, vcc, s2, v7
	s_lshl_b32 s2, s14, 3
	v_mov_b32_e32 v9, s3
	s_sub_u32 s8, 0, s2
	v_addc_co_u32_e32 v8, vcc, v9, v8, vcc
	s_subb_u32 s9, 0, 0
.LBB181_12:                             ; =>This Inner Loop Header: Depth=1
	v_cmp_eq_u64_e32 vcc, s[4:5], v[0:1]
	s_barrier
	s_and_saveexec_b64 s[2:3], vcc
; %bb.13:                               ;   in Loop: Header=BB181_12 Depth=1
	ds_write_b64 v2, v[5:6]
; %bb.14:                               ;   in Loop: Header=BB181_12 Depth=1
	s_or_b64 exec, exec, s[2:3]
	v_cmp_gt_i64_e32 vcc, s[4:5], v[0:1]
	s_waitcnt lgkmcnt(0)
	s_barrier
	s_and_saveexec_b64 s[2:3], vcc
	s_cbranch_execz .LBB181_20
; %bb.15:                               ;   in Loop: Header=BB181_12 Depth=1
	s_mov_b64 s[6:7], -1
	s_and_b64 vcc, exec, s[0:1]
                                        ; implicit-def: $vgpr9
	s_cbranch_vccz .LBB181_17
; %bb.16:                               ;   in Loop: Header=BB181_12 Depth=1
	flat_load_dwordx2 v[9:10], v[7:8]
	s_mov_b64 s[6:7], 0
.LBB181_17:                             ;   in Loop: Header=BB181_12 Depth=1
	s_andn2_b64 vcc, exec, s[6:7]
	s_cbranch_vccnz .LBB181_19
; %bb.18:                               ;   in Loop: Header=BB181_12 Depth=1
	s_waitcnt vmcnt(0) lgkmcnt(0)
	flat_load_dwordx2 v[9:10], v[7:8]
	s_waitcnt vmcnt(0) lgkmcnt(0)
	v_xor_b32_e32 v10, 0x80000000, v10
.LBB181_19:                             ;   in Loop: Header=BB181_12 Depth=1
	ds_read_b64 v[11:12], v2
	s_waitcnt vmcnt(0) lgkmcnt(0)
	v_mul_f32_e32 v13, v10, v12
	v_mul_f32_e32 v12, v12, v9
	v_fma_f32 v9, v11, v9, -v13
	v_fmac_f32_e32 v12, v10, v11
	v_sub_f32_e32 v5, v5, v9
	v_sub_f32_e32 v6, v6, v12
.LBB181_20:                             ;   in Loop: Header=BB181_12 Depth=1
	s_or_b64 exec, exec, s[2:3]
	s_add_u32 s2, s4, -1
	s_addc_u32 s3, s5, -1
	s_add_u32 s4, s4, 1
	s_addc_u32 s5, s5, 0
	v_mov_b32_e32 v9, s9
	v_cmp_lt_u64_e64 s[4:5], s[4:5], 3
	v_add_co_u32_e32 v7, vcc, s8, v7
	v_addc_co_u32_e32 v8, vcc, v8, v9, vcc
	s_and_b64 vcc, exec, s[4:5]
	s_cbranch_vccnz .LBB181_22
; %bb.21:                               ;   in Loop: Header=BB181_12 Depth=1
	s_mov_b64 s[4:5], s[2:3]
	s_branch .LBB181_12
.LBB181_22:
	global_store_dwordx2 v[3:4], v[5:6], off
.LBB181_23:
	s_endpgm
	.section	.rodata,"a",@progbits
	.p2align	6, 0x0
	.amdhsa_kernel _ZL40rocblas_trsm_block_backward_substitutionI19rocblas_complex_numIfES1_PKS1_PS1_Lb0ELb0ELb1EEv18rocblas_operation_llT0_T1_lllT2_lllib
		.amdhsa_group_segment_fixed_size 0
		.amdhsa_private_segment_fixed_size 0
		.amdhsa_kernarg_size 360
		.amdhsa_user_sgpr_count 6
		.amdhsa_user_sgpr_private_segment_buffer 1
		.amdhsa_user_sgpr_dispatch_ptr 0
		.amdhsa_user_sgpr_queue_ptr 0
		.amdhsa_user_sgpr_kernarg_segment_ptr 1
		.amdhsa_user_sgpr_dispatch_id 0
		.amdhsa_user_sgpr_flat_scratch_init 0
		.amdhsa_user_sgpr_private_segment_size 0
		.amdhsa_uses_dynamic_stack 0
		.amdhsa_system_sgpr_private_segment_wavefront_offset 0
		.amdhsa_system_sgpr_workgroup_id_x 1
		.amdhsa_system_sgpr_workgroup_id_y 1
		.amdhsa_system_sgpr_workgroup_id_z 1
		.amdhsa_system_sgpr_workgroup_info 0
		.amdhsa_system_vgpr_workitem_id 1
		.amdhsa_next_free_vgpr 14
		.amdhsa_next_free_sgpr 36
		.amdhsa_reserve_vcc 1
		.amdhsa_reserve_flat_scratch 0
		.amdhsa_float_round_mode_32 0
		.amdhsa_float_round_mode_16_64 0
		.amdhsa_float_denorm_mode_32 3
		.amdhsa_float_denorm_mode_16_64 3
		.amdhsa_dx10_clamp 1
		.amdhsa_ieee_mode 1
		.amdhsa_fp16_overflow 0
		.amdhsa_exception_fp_ieee_invalid_op 0
		.amdhsa_exception_fp_denorm_src 0
		.amdhsa_exception_fp_ieee_div_zero 0
		.amdhsa_exception_fp_ieee_overflow 0
		.amdhsa_exception_fp_ieee_underflow 0
		.amdhsa_exception_fp_ieee_inexact 0
		.amdhsa_exception_int_div_zero 0
	.end_amdhsa_kernel
	.section	.text._ZL40rocblas_trsm_block_backward_substitutionI19rocblas_complex_numIfES1_PKS1_PS1_Lb0ELb0ELb1EEv18rocblas_operation_llT0_T1_lllT2_lllib,"axG",@progbits,_ZL40rocblas_trsm_block_backward_substitutionI19rocblas_complex_numIfES1_PKS1_PS1_Lb0ELb0ELb1EEv18rocblas_operation_llT0_T1_lllT2_lllib,comdat
.Lfunc_end181:
	.size	_ZL40rocblas_trsm_block_backward_substitutionI19rocblas_complex_numIfES1_PKS1_PS1_Lb0ELb0ELb1EEv18rocblas_operation_llT0_T1_lllT2_lllib, .Lfunc_end181-_ZL40rocblas_trsm_block_backward_substitutionI19rocblas_complex_numIfES1_PKS1_PS1_Lb0ELb0ELb1EEv18rocblas_operation_llT0_T1_lllT2_lllib
                                        ; -- End function
	.set _ZL40rocblas_trsm_block_backward_substitutionI19rocblas_complex_numIfES1_PKS1_PS1_Lb0ELb0ELb1EEv18rocblas_operation_llT0_T1_lllT2_lllib.num_vgpr, 14
	.set _ZL40rocblas_trsm_block_backward_substitutionI19rocblas_complex_numIfES1_PKS1_PS1_Lb0ELb0ELb1EEv18rocblas_operation_llT0_T1_lllT2_lllib.num_agpr, 0
	.set _ZL40rocblas_trsm_block_backward_substitutionI19rocblas_complex_numIfES1_PKS1_PS1_Lb0ELb0ELb1EEv18rocblas_operation_llT0_T1_lllT2_lllib.numbered_sgpr, 36
	.set _ZL40rocblas_trsm_block_backward_substitutionI19rocblas_complex_numIfES1_PKS1_PS1_Lb0ELb0ELb1EEv18rocblas_operation_llT0_T1_lllT2_lllib.num_named_barrier, 0
	.set _ZL40rocblas_trsm_block_backward_substitutionI19rocblas_complex_numIfES1_PKS1_PS1_Lb0ELb0ELb1EEv18rocblas_operation_llT0_T1_lllT2_lllib.private_seg_size, 0
	.set _ZL40rocblas_trsm_block_backward_substitutionI19rocblas_complex_numIfES1_PKS1_PS1_Lb0ELb0ELb1EEv18rocblas_operation_llT0_T1_lllT2_lllib.uses_vcc, 1
	.set _ZL40rocblas_trsm_block_backward_substitutionI19rocblas_complex_numIfES1_PKS1_PS1_Lb0ELb0ELb1EEv18rocblas_operation_llT0_T1_lllT2_lllib.uses_flat_scratch, 0
	.set _ZL40rocblas_trsm_block_backward_substitutionI19rocblas_complex_numIfES1_PKS1_PS1_Lb0ELb0ELb1EEv18rocblas_operation_llT0_T1_lllT2_lllib.has_dyn_sized_stack, 0
	.set _ZL40rocblas_trsm_block_backward_substitutionI19rocblas_complex_numIfES1_PKS1_PS1_Lb0ELb0ELb1EEv18rocblas_operation_llT0_T1_lllT2_lllib.has_recursion, 0
	.set _ZL40rocblas_trsm_block_backward_substitutionI19rocblas_complex_numIfES1_PKS1_PS1_Lb0ELb0ELb1EEv18rocblas_operation_llT0_T1_lllT2_lllib.has_indirect_call, 0
	.section	.AMDGPU.csdata,"",@progbits
; Kernel info:
; codeLenInByte = 896
; TotalNumSgprs: 40
; NumVgprs: 14
; ScratchSize: 0
; MemoryBound: 0
; FloatMode: 240
; IeeeMode: 1
; LDSByteSize: 0 bytes/workgroup (compile time only)
; SGPRBlocks: 4
; VGPRBlocks: 3
; NumSGPRsForWavesPerEU: 40
; NumVGPRsForWavesPerEU: 14
; Occupancy: 10
; WaveLimiterHint : 1
; COMPUTE_PGM_RSRC2:SCRATCH_EN: 0
; COMPUTE_PGM_RSRC2:USER_SGPR: 6
; COMPUTE_PGM_RSRC2:TRAP_HANDLER: 0
; COMPUTE_PGM_RSRC2:TGID_X_EN: 1
; COMPUTE_PGM_RSRC2:TGID_Y_EN: 1
; COMPUTE_PGM_RSRC2:TGID_Z_EN: 1
; COMPUTE_PGM_RSRC2:TIDIG_COMP_CNT: 1
	.section	.text._ZL39rocblas_trsm_block_forward_substitutionI19rocblas_complex_numIfES1_PKS1_PS1_Lb0ELb1ELb0EEv18rocblas_operation_llT0_T1_lllT2_lllib,"axG",@progbits,_ZL39rocblas_trsm_block_forward_substitutionI19rocblas_complex_numIfES1_PKS1_PS1_Lb0ELb1ELb0EEv18rocblas_operation_llT0_T1_lllT2_lllib,comdat
	.globl	_ZL39rocblas_trsm_block_forward_substitutionI19rocblas_complex_numIfES1_PKS1_PS1_Lb0ELb1ELb0EEv18rocblas_operation_llT0_T1_lllT2_lllib ; -- Begin function _ZL39rocblas_trsm_block_forward_substitutionI19rocblas_complex_numIfES1_PKS1_PS1_Lb0ELb1ELb0EEv18rocblas_operation_llT0_T1_lllT2_lllib
	.p2align	8
	.type	_ZL39rocblas_trsm_block_forward_substitutionI19rocblas_complex_numIfES1_PKS1_PS1_Lb0ELb1ELb0EEv18rocblas_operation_llT0_T1_lllT2_lllib,@function
_ZL39rocblas_trsm_block_forward_substitutionI19rocblas_complex_numIfES1_PKS1_PS1_Lb0ELb1ELb0EEv18rocblas_operation_llT0_T1_lllT2_lllib: ; @_ZL39rocblas_trsm_block_forward_substitutionI19rocblas_complex_numIfES1_PKS1_PS1_Lb0ELb1ELb0EEv18rocblas_operation_llT0_T1_lllT2_lllib
; %bb.0:
	s_load_dword s0, s[4:5], 0x64
	s_load_dwordx4 s[28:31], s[4:5], 0x8
	s_load_dwordx2 s[10:11], s[4:5], 0x18
	s_load_dwordx16 s[12:27], s[4:5], 0x20
	s_load_dword s6, s[4:5], 0x74
	s_waitcnt lgkmcnt(0)
	s_bitcmp1_b32 s0, 0
	s_cselect_b64 s[0:1], -1, 0
	s_xor_b64 s[2:3], s[0:1], -1
	s_mul_i32 s0, s19, s8
	s_mul_hi_u32 s1, s18, s8
	s_add_i32 s1, s1, s0
	s_mul_i32 s0, s18, s8
	s_lshl_b64 s[0:1], s[0:1], 3
	s_add_u32 s9, s12, s0
	s_addc_u32 s12, s13, s1
	s_lshl_b64 s[0:1], s[14:15], 3
	s_add_u32 s0, s9, s0
	s_addc_u32 s1, s12, s1
	s_add_u32 s12, s4, 0x68
	v_mov_b32_e32 v2, v1
	s_addc_u32 s13, s5, 0
	s_lshr_b32 s6, s6, 16
	s_and_b64 vcc, exec, s[2:3]
	s_cbranch_vccnz .LBB182_15
; %bb.1:
	v_cmp_lt_i64_e64 s[18:19], s[28:29], 1
	s_lshl_b32 s9, s6, 3
	s_add_i32 s14, s9, 0
	s_and_b64 vcc, exec, s[18:19]
	s_cbranch_vccnz .LBB182_14
; %bb.2:
	v_mad_u64_u32 v[3:4], s[18:19], s16, v0, 0
	v_mov_b32_e32 v1, 0
	v_cmp_le_u64_e32 vcc, s[28:29], v[0:1]
	v_mov_b32_e32 v1, v4
	v_mad_u64_u32 v[4:5], s[18:19], s17, v0, v[1:2]
	v_lshlrev_b32_e32 v6, 3, v0
	v_mov_b32_e32 v7, s1
	v_add_co_u32_e64 v1, s[0:1], s0, v6
	v_lshlrev_b64 v[3:4], 3, v[3:4]
	v_addc_co_u32_e64 v10, s[0:1], 0, v7, s[0:1]
	v_add_co_u32_e64 v3, s[0:1], v1, v3
	v_addc_co_u32_e64 v4, s[0:1], v10, v4, s[0:1]
	v_add_u32_e32 v9, s14, v6
	s_xor_b64 s[0:1], vcc, -1
	s_mov_b32 s9, s6
	v_mov_b32_e32 v11, v2
	s_branch .LBB182_6
.LBB182_3:                              ;   in Loop: Header=BB182_6 Depth=1
	s_or_b64 exec, exec, s[36:37]
	s_load_dword s15, s[12:13], 0xc
	s_waitcnt lgkmcnt(0)
	s_and_b32 s15, s15, 0xffff
	v_mul_u32_u24_e32 v5, s15, v0
	v_lshl_add_u32 v5, v5, 3, v9
	ds_write_b64 v5, v[7:8]
.LBB182_4:                              ;   in Loop: Header=BB182_6 Depth=1
	s_or_b64 exec, exec, s[34:35]
.LBB182_5:                              ;   in Loop: Header=BB182_6 Depth=1
	s_or_b64 exec, exec, s[18:19]
	s_ashr_i32 s15, s9, 31
	v_mov_b32_e32 v5, s9
	v_mov_b32_e32 v6, s15
	v_cmp_le_i64_e32 vcc, s[28:29], v[5:6]
	v_add_u32_e32 v11, s6, v11
	s_add_i32 s9, s9, s6
	s_cbranch_vccnz .LBB182_14
.LBB182_6:                              ; =>This Inner Loop Header: Depth=1
	v_cmp_gt_i32_e32 vcc, v0, v11
	s_and_b64 s[18:19], s[0:1], vcc
	s_and_saveexec_b64 s[34:35], s[18:19]
	s_xor_b64 s[18:19], exec, s[34:35]
	s_cbranch_execz .LBB182_8
; %bb.7:                                ;   in Loop: Header=BB182_6 Depth=1
	v_ashrrev_i32_e32 v7, 31, v11
	v_mul_lo_u32 v8, s17, v11
	v_mad_u64_u32 v[5:6], s[34:35], s16, v11, 0
	v_mul_lo_u32 v7, s16, v7
	s_load_dword s15, s[12:13], 0xc
	v_add3_u32 v6, v6, v7, v8
	v_lshlrev_b64 v[5:6], 3, v[5:6]
	s_waitcnt lgkmcnt(0)
	s_and_b32 s15, s15, 0xffff
	v_add_co_u32_e32 v5, vcc, v1, v5
	v_addc_co_u32_e32 v6, vcc, v10, v6, vcc
	global_load_dwordx2 v[5:6], v[5:6], off
	v_mul_lo_u32 v7, v11, s15
	v_lshl_add_u32 v7, v7, 3, v9
	s_waitcnt vmcnt(0)
	ds_write_b64 v7, v[5:6]
.LBB182_8:                              ;   in Loop: Header=BB182_6 Depth=1
	s_andn2_saveexec_b64 s[18:19], s[18:19]
	s_cbranch_execz .LBB182_5
; %bb.9:                                ;   in Loop: Header=BB182_6 Depth=1
	v_cmp_eq_u32_e32 vcc, v0, v11
	s_and_b64 s[36:37], s[0:1], vcc
	s_and_saveexec_b64 s[34:35], s[36:37]
	s_cbranch_execz .LBB182_4
; %bb.10:                               ;   in Loop: Header=BB182_6 Depth=1
	global_load_dwordx2 v[5:6], v[3:4], off
                                        ; implicit-def: $vgpr7
	s_waitcnt vmcnt(0)
	v_cmp_ngt_f32_e64 s[36:37], |v5|, |v6|
	s_and_saveexec_b64 s[38:39], s[36:37]
	s_xor_b64 s[36:37], exec, s[38:39]
	s_cbranch_execz .LBB182_12
; %bb.11:                               ;   in Loop: Header=BB182_6 Depth=1
	v_div_scale_f32 v7, s[38:39], v6, v6, v5
	v_div_scale_f32 v8, vcc, v5, v6, v5
	v_rcp_f32_e32 v12, v7
	v_fma_f32 v13, -v7, v12, 1.0
	v_fmac_f32_e32 v12, v13, v12
	v_mul_f32_e32 v13, v8, v12
	v_fma_f32 v14, -v7, v13, v8
	v_fmac_f32_e32 v13, v14, v12
	v_fma_f32 v7, -v7, v13, v8
	v_div_fmas_f32 v7, v7, v12, v13
	v_div_fixup_f32 v7, v7, v6, v5
	v_fmac_f32_e32 v6, v5, v7
	v_div_scale_f32 v5, s[38:39], v6, v6, 1.0
	v_div_scale_f32 v8, vcc, 1.0, v6, 1.0
	v_rcp_f32_e32 v12, v5
	v_fma_f32 v13, -v5, v12, 1.0
	v_fmac_f32_e32 v12, v13, v12
	v_mul_f32_e32 v13, v8, v12
	v_fma_f32 v14, -v5, v13, v8
	v_fmac_f32_e32 v13, v14, v12
	v_fma_f32 v5, -v5, v13, v8
	v_div_fmas_f32 v5, v5, v12, v13
	v_div_fixup_f32 v5, v5, v6, 1.0
	v_mul_f32_e32 v7, v7, v5
	v_xor_b32_e32 v8, 0x80000000, v5
                                        ; implicit-def: $vgpr5_vgpr6
.LBB182_12:                             ;   in Loop: Header=BB182_6 Depth=1
	s_andn2_saveexec_b64 s[36:37], s[36:37]
	s_cbranch_execz .LBB182_3
; %bb.13:                               ;   in Loop: Header=BB182_6 Depth=1
	v_div_scale_f32 v7, s[38:39], v5, v5, v6
	v_div_scale_f32 v8, vcc, v6, v5, v6
	v_rcp_f32_e32 v12, v7
	v_fma_f32 v13, -v7, v12, 1.0
	v_fmac_f32_e32 v12, v13, v12
	v_mul_f32_e32 v13, v8, v12
	v_fma_f32 v14, -v7, v13, v8
	v_fmac_f32_e32 v13, v14, v12
	v_fma_f32 v7, -v7, v13, v8
	v_div_fmas_f32 v7, v7, v12, v13
	v_div_fixup_f32 v8, v7, v5, v6
	v_fmac_f32_e32 v5, v6, v8
	v_div_scale_f32 v6, s[38:39], v5, v5, 1.0
	v_div_scale_f32 v7, vcc, 1.0, v5, 1.0
	v_rcp_f32_e32 v12, v6
	v_fma_f32 v13, -v6, v12, 1.0
	v_fmac_f32_e32 v12, v13, v12
	v_mul_f32_e32 v13, v7, v12
	v_fma_f32 v14, -v6, v13, v7
	v_fmac_f32_e32 v13, v14, v12
	v_fma_f32 v6, -v6, v13, v7
	v_div_fmas_f32 v6, v6, v12, v13
	v_div_fixup_f32 v7, v6, v5, 1.0
	v_mul_f32_e64 v8, v8, -v7
	s_branch .LBB182_3
.LBB182_14:
	s_mov_b64 s[0:1], src_shared_base
	s_load_dword s0, s[12:13], 0xc
	s_mov_b32 s15, s1
	s_mov_b32 s17, 0
	s_waitcnt lgkmcnt(0)
	s_and_b32 s16, s0, 0xffff
	s_mov_b64 s[0:1], s[14:15]
.LBB182_15:
	s_mul_i32 s7, s7, s6
	v_add_u32_e32 v3, s7, v2
	v_mov_b32_e32 v4, 0
	v_cmp_gt_i64_e32 vcc, s[30:31], v[3:4]
	s_and_saveexec_b64 s[6:7], vcc
	s_cbranch_execz .LBB182_43
; %bb.16:
	v_mov_b32_e32 v1, v4
	v_cmp_gt_i64_e32 vcc, s[28:29], v[0:1]
	s_and_b64 exec, exec, vcc
	s_cbranch_execz .LBB182_43
; %bb.17:
	s_mul_i32 s6, s27, s8
	s_mul_hi_u32 s7, s26, s8
	s_add_i32 s7, s7, s6
	s_mul_i32 s6, s26, s8
	v_mad_u64_u32 v[5:6], s[8:9], s24, v0, 0
	s_lshl_b64 s[6:7], s[6:7], 3
	s_add_u32 s8, s20, s6
	s_addc_u32 s9, s21, s7
	v_mad_u64_u32 v[6:7], s[6:7], s25, v0, v[6:7]
	s_lshl_b64 s[6:7], s[22:23], 3
	s_add_u32 s6, s8, s6
	v_lshlrev_b64 v[5:6], 3, v[5:6]
	s_addc_u32 s7, s9, s7
	v_mov_b32_e32 v7, s7
	v_add_co_u32_e32 v5, vcc, s6, v5
	v_lshlrev_b64 v[3:4], 3, v[3:4]
	v_addc_co_u32_e32 v6, vcc, v7, v6, vcc
	v_add_co_u32_e32 v3, vcc, v5, v3
	v_addc_co_u32_e32 v4, vcc, v6, v4, vcc
	global_load_dwordx2 v[7:8], v[3:4], off
	v_cmp_lt_u64_e64 s[8:9], s[28:29], 2
	s_add_u32 s6, s28, -1
	s_addc_u32 s7, s29, -1
	s_and_b64 vcc, exec, s[8:9]
	s_waitcnt vmcnt(0)
	v_mul_f32_e32 v5, s11, v8
	v_mul_f32_e32 v6, s10, v8
	v_fma_f32 v5, s10, v7, -v5
	v_fmac_f32_e32 v6, s11, v7
	s_cbranch_vccnz .LBB182_34
; %bb.18:
	v_mad_u64_u32 v[9:10], s[8:9], v0, s16, v[0:1]
	v_lshlrev_b32_e32 v8, 3, v0
	s_load_dword s8, s[4:5], 0x0
	v_mov_b32_e32 v7, v10
	v_mad_u64_u32 v[10:11], s[4:5], v0, s17, v[7:8]
	v_mov_b32_e32 v12, s1
	v_add_co_u32_e32 v7, vcc, s0, v8
	v_lshlrev_b64 v[9:10], 3, v[9:10]
	v_addc_co_u32_e32 v8, vcc, 0, v12, vcc
	s_waitcnt lgkmcnt(0)
	s_cmpk_lg_i32 s8, 0x71
	v_add_co_u32_e32 v9, vcc, s0, v9
	s_cselect_b64 s[4:5], -1, 0
	v_addc_co_u32_e32 v10, vcc, v12, v10, vcc
	v_lshl_add_u32 v2, v2, 3, 0
	s_lshl_b64 s[8:9], s[16:17], 3
	s_mov_b64 s[10:11], 0
	s_branch .LBB182_21
.LBB182_19:                             ;   in Loop: Header=BB182_21 Depth=1
	ds_read_b64 v[13:14], v2
	s_waitcnt vmcnt(0) lgkmcnt(0)
	v_mul_f32_e32 v15, v12, v14
	v_mul_f32_e32 v14, v14, v11
	v_fma_f32 v11, v13, v11, -v15
	v_fmac_f32_e32 v14, v12, v13
	v_sub_f32_e32 v5, v5, v11
	v_sub_f32_e32 v6, v6, v14
.LBB182_20:                             ;   in Loop: Header=BB182_21 Depth=1
	s_or_b64 exec, exec, s[12:13]
	s_add_u32 s10, s10, 1
	s_addc_u32 s11, s11, 0
	v_mov_b32_e32 v11, s9
	v_add_co_u32_e32 v7, vcc, s8, v7
	s_cmp_eq_u64 s[6:7], s[10:11]
	v_addc_co_u32_e32 v8, vcc, v8, v11, vcc
	s_cbranch_scc1 .LBB182_34
.LBB182_21:                             ; =>This Inner Loop Header: Depth=1
	v_cmp_eq_u64_e32 vcc, s[10:11], v[0:1]
	s_barrier
	s_and_saveexec_b64 s[12:13], vcc
	s_cbranch_execz .LBB182_29
; %bb.22:                               ;   in Loop: Header=BB182_21 Depth=1
	flat_load_dwordx2 v[11:12], v[9:10]
	s_andn2_b64 vcc, exec, s[2:3]
	s_cbranch_vccnz .LBB182_28
; %bb.23:                               ;   in Loop: Header=BB182_21 Depth=1
	s_waitcnt vmcnt(0) lgkmcnt(0)
	v_cmp_ngt_f32_e64 s[14:15], |v11|, |v12|
	s_and_saveexec_b64 s[18:19], s[14:15]
	s_xor_b64 s[14:15], exec, s[18:19]
	s_cbranch_execz .LBB182_25
; %bb.24:                               ;   in Loop: Header=BB182_21 Depth=1
	v_div_scale_f32 v13, s[18:19], v12, v12, v11
	v_div_scale_f32 v14, vcc, v11, v12, v11
	v_rcp_f32_e32 v15, v13
	v_fma_f32 v16, -v13, v15, 1.0
	v_fmac_f32_e32 v15, v16, v15
	v_mul_f32_e32 v16, v14, v15
	v_fma_f32 v17, -v13, v16, v14
	v_fmac_f32_e32 v16, v17, v15
	v_fma_f32 v13, -v13, v16, v14
	v_div_fmas_f32 v13, v13, v15, v16
	v_div_fixup_f32 v13, v13, v12, v11
	v_fmac_f32_e32 v12, v11, v13
	v_div_scale_f32 v11, s[18:19], v12, v12, 1.0
	v_div_scale_f32 v14, vcc, 1.0, v12, 1.0
	v_rcp_f32_e32 v15, v11
	v_fma_f32 v16, -v11, v15, 1.0
	v_fmac_f32_e32 v15, v16, v15
	v_mul_f32_e32 v16, v14, v15
	v_fma_f32 v17, -v11, v16, v14
	v_fmac_f32_e32 v16, v17, v15
	v_fma_f32 v11, -v11, v16, v14
	v_div_fmas_f32 v11, v11, v15, v16
	v_div_fixup_f32 v12, v11, v12, 1.0
	v_mul_f32_e32 v11, v13, v12
	v_xor_b32_e32 v12, 0x80000000, v12
.LBB182_25:                             ;   in Loop: Header=BB182_21 Depth=1
	s_andn2_saveexec_b64 s[14:15], s[14:15]
	s_cbranch_execz .LBB182_27
; %bb.26:                               ;   in Loop: Header=BB182_21 Depth=1
	v_div_scale_f32 v13, s[18:19], v11, v11, v12
	v_div_scale_f32 v14, vcc, v12, v11, v12
	v_rcp_f32_e32 v15, v13
	v_fma_f32 v16, -v13, v15, 1.0
	v_fmac_f32_e32 v15, v16, v15
	v_mul_f32_e32 v16, v14, v15
	v_fma_f32 v17, -v13, v16, v14
	v_fmac_f32_e32 v16, v17, v15
	v_fma_f32 v13, -v13, v16, v14
	v_div_fmas_f32 v13, v13, v15, v16
	v_div_fixup_f32 v13, v13, v11, v12
	v_fmac_f32_e32 v11, v12, v13
	v_div_scale_f32 v12, s[18:19], v11, v11, 1.0
	v_div_scale_f32 v14, vcc, 1.0, v11, 1.0
	v_rcp_f32_e32 v15, v12
	v_fma_f32 v16, -v12, v15, 1.0
	v_fmac_f32_e32 v15, v16, v15
	v_mul_f32_e32 v16, v14, v15
	v_fma_f32 v17, -v12, v16, v14
	v_fmac_f32_e32 v16, v17, v15
	v_fma_f32 v12, -v12, v16, v14
	v_div_fmas_f32 v12, v12, v15, v16
	v_div_fixup_f32 v11, v12, v11, 1.0
	v_mul_f32_e64 v12, v13, -v11
.LBB182_27:                             ;   in Loop: Header=BB182_21 Depth=1
	s_or_b64 exec, exec, s[14:15]
.LBB182_28:                             ;   in Loop: Header=BB182_21 Depth=1
	s_waitcnt vmcnt(0) lgkmcnt(0)
	v_mul_f32_e32 v13, v6, v12
	v_mul_f32_e32 v14, v5, v12
	v_fma_f32 v13, v5, v11, -v13
	v_fmac_f32_e32 v14, v6, v11
	v_mov_b32_e32 v6, v14
	v_mov_b32_e32 v5, v13
	ds_write_b64 v2, v[13:14]
.LBB182_29:                             ;   in Loop: Header=BB182_21 Depth=1
	s_or_b64 exec, exec, s[12:13]
	v_cmp_lt_u64_e32 vcc, s[10:11], v[0:1]
	s_waitcnt lgkmcnt(0)
	s_barrier
	s_and_saveexec_b64 s[12:13], vcc
	s_cbranch_execz .LBB182_20
; %bb.30:                               ;   in Loop: Header=BB182_21 Depth=1
	s_mov_b64 s[14:15], -1
	s_and_b64 vcc, exec, s[4:5]
                                        ; implicit-def: $vgpr11
	s_cbranch_vccz .LBB182_32
; %bb.31:                               ;   in Loop: Header=BB182_21 Depth=1
	flat_load_dwordx2 v[11:12], v[7:8]
	s_mov_b64 s[14:15], 0
.LBB182_32:                             ;   in Loop: Header=BB182_21 Depth=1
	s_andn2_b64 vcc, exec, s[14:15]
	s_cbranch_vccnz .LBB182_19
; %bb.33:                               ;   in Loop: Header=BB182_21 Depth=1
	s_waitcnt vmcnt(0) lgkmcnt(0)
	flat_load_dwordx2 v[11:12], v[7:8]
	s_waitcnt vmcnt(0) lgkmcnt(0)
	v_xor_b32_e32 v12, 0x80000000, v12
	s_branch .LBB182_19
.LBB182_34:
	v_cmp_eq_u64_e32 vcc, s[6:7], v[0:1]
	s_and_saveexec_b64 s[4:5], vcc
	s_cbranch_execz .LBB182_42
; %bb.35:
	v_mad_u64_u32 v[1:2], s[6:7], v0, s16, v[0:1]
	v_mad_u64_u32 v[7:8], s[6:7], v0, s17, v[2:3]
	v_mov_b32_e32 v8, s1
	v_mov_b32_e32 v2, v7
	v_lshlrev_b64 v[0:1], 3, v[1:2]
	v_add_co_u32_e32 v0, vcc, s0, v0
	v_addc_co_u32_e32 v1, vcc, v8, v1, vcc
	flat_load_dwordx2 v[0:1], v[0:1]
	s_andn2_b64 vcc, exec, s[2:3]
	s_cbranch_vccnz .LBB182_41
; %bb.36:
	s_waitcnt vmcnt(0) lgkmcnt(0)
	v_cmp_ngt_f32_e64 s[0:1], |v0|, |v1|
	s_and_saveexec_b64 s[2:3], s[0:1]
	s_xor_b64 s[0:1], exec, s[2:3]
	s_cbranch_execz .LBB182_38
; %bb.37:
	v_div_scale_f32 v2, s[2:3], v1, v1, v0
	v_div_scale_f32 v7, vcc, v0, v1, v0
	v_rcp_f32_e32 v8, v2
	v_fma_f32 v9, -v2, v8, 1.0
	v_fmac_f32_e32 v8, v9, v8
	v_mul_f32_e32 v9, v7, v8
	v_fma_f32 v10, -v2, v9, v7
	v_fmac_f32_e32 v9, v10, v8
	v_fma_f32 v2, -v2, v9, v7
	v_div_fmas_f32 v2, v2, v8, v9
	v_div_fixup_f32 v2, v2, v1, v0
	v_fmac_f32_e32 v1, v0, v2
	v_div_scale_f32 v0, s[2:3], v1, v1, 1.0
	v_div_scale_f32 v7, vcc, 1.0, v1, 1.0
	v_rcp_f32_e32 v8, v0
	v_fma_f32 v9, -v0, v8, 1.0
	v_fmac_f32_e32 v8, v9, v8
	v_mul_f32_e32 v9, v7, v8
	v_fma_f32 v10, -v0, v9, v7
	v_fmac_f32_e32 v9, v10, v8
	v_fma_f32 v0, -v0, v9, v7
	v_div_fmas_f32 v0, v0, v8, v9
	v_div_fixup_f32 v1, v0, v1, 1.0
	v_mul_f32_e32 v0, v2, v1
	v_xor_b32_e32 v1, 0x80000000, v1
.LBB182_38:
	s_andn2_saveexec_b64 s[0:1], s[0:1]
	s_cbranch_execz .LBB182_40
; %bb.39:
	v_div_scale_f32 v2, s[2:3], v0, v0, v1
	v_div_scale_f32 v7, vcc, v1, v0, v1
	v_rcp_f32_e32 v8, v2
	v_fma_f32 v9, -v2, v8, 1.0
	v_fmac_f32_e32 v8, v9, v8
	v_mul_f32_e32 v9, v7, v8
	v_fma_f32 v10, -v2, v9, v7
	v_fmac_f32_e32 v9, v10, v8
	v_fma_f32 v2, -v2, v9, v7
	v_div_fmas_f32 v2, v2, v8, v9
	v_div_fixup_f32 v2, v2, v0, v1
	v_fmac_f32_e32 v0, v1, v2
	v_div_scale_f32 v1, s[2:3], v0, v0, 1.0
	v_div_scale_f32 v7, vcc, 1.0, v0, 1.0
	v_rcp_f32_e32 v8, v1
	v_fma_f32 v9, -v1, v8, 1.0
	v_fmac_f32_e32 v8, v9, v8
	v_mul_f32_e32 v9, v7, v8
	v_fma_f32 v10, -v1, v9, v7
	v_fmac_f32_e32 v9, v10, v8
	v_fma_f32 v1, -v1, v9, v7
	v_div_fmas_f32 v1, v1, v8, v9
	v_div_fixup_f32 v0, v1, v0, 1.0
	v_mul_f32_e64 v1, v2, -v0
.LBB182_40:
	s_or_b64 exec, exec, s[0:1]
.LBB182_41:
	s_waitcnt vmcnt(0) lgkmcnt(0)
	v_mul_f32_e32 v2, v6, v1
	v_fma_f32 v2, v5, v0, -v2
	v_mul_f32_e32 v6, v6, v0
	v_fmac_f32_e32 v6, v5, v1
	v_mov_b32_e32 v5, v2
.LBB182_42:
	s_or_b64 exec, exec, s[4:5]
	global_store_dwordx2 v[3:4], v[5:6], off
.LBB182_43:
	s_endpgm
	.section	.rodata,"a",@progbits
	.p2align	6, 0x0
	.amdhsa_kernel _ZL39rocblas_trsm_block_forward_substitutionI19rocblas_complex_numIfES1_PKS1_PS1_Lb0ELb1ELb0EEv18rocblas_operation_llT0_T1_lllT2_lllib
		.amdhsa_group_segment_fixed_size 0
		.amdhsa_private_segment_fixed_size 0
		.amdhsa_kernarg_size 360
		.amdhsa_user_sgpr_count 6
		.amdhsa_user_sgpr_private_segment_buffer 1
		.amdhsa_user_sgpr_dispatch_ptr 0
		.amdhsa_user_sgpr_queue_ptr 0
		.amdhsa_user_sgpr_kernarg_segment_ptr 1
		.amdhsa_user_sgpr_dispatch_id 0
		.amdhsa_user_sgpr_flat_scratch_init 0
		.amdhsa_user_sgpr_private_segment_size 0
		.amdhsa_uses_dynamic_stack 0
		.amdhsa_system_sgpr_private_segment_wavefront_offset 0
		.amdhsa_system_sgpr_workgroup_id_x 1
		.amdhsa_system_sgpr_workgroup_id_y 1
		.amdhsa_system_sgpr_workgroup_id_z 1
		.amdhsa_system_sgpr_workgroup_info 0
		.amdhsa_system_vgpr_workitem_id 1
		.amdhsa_next_free_vgpr 18
		.amdhsa_next_free_sgpr 40
		.amdhsa_reserve_vcc 1
		.amdhsa_reserve_flat_scratch 0
		.amdhsa_float_round_mode_32 0
		.amdhsa_float_round_mode_16_64 0
		.amdhsa_float_denorm_mode_32 3
		.amdhsa_float_denorm_mode_16_64 3
		.amdhsa_dx10_clamp 1
		.amdhsa_ieee_mode 1
		.amdhsa_fp16_overflow 0
		.amdhsa_exception_fp_ieee_invalid_op 0
		.amdhsa_exception_fp_denorm_src 0
		.amdhsa_exception_fp_ieee_div_zero 0
		.amdhsa_exception_fp_ieee_overflow 0
		.amdhsa_exception_fp_ieee_underflow 0
		.amdhsa_exception_fp_ieee_inexact 0
		.amdhsa_exception_int_div_zero 0
	.end_amdhsa_kernel
	.section	.text._ZL39rocblas_trsm_block_forward_substitutionI19rocblas_complex_numIfES1_PKS1_PS1_Lb0ELb1ELb0EEv18rocblas_operation_llT0_T1_lllT2_lllib,"axG",@progbits,_ZL39rocblas_trsm_block_forward_substitutionI19rocblas_complex_numIfES1_PKS1_PS1_Lb0ELb1ELb0EEv18rocblas_operation_llT0_T1_lllT2_lllib,comdat
.Lfunc_end182:
	.size	_ZL39rocblas_trsm_block_forward_substitutionI19rocblas_complex_numIfES1_PKS1_PS1_Lb0ELb1ELb0EEv18rocblas_operation_llT0_T1_lllT2_lllib, .Lfunc_end182-_ZL39rocblas_trsm_block_forward_substitutionI19rocblas_complex_numIfES1_PKS1_PS1_Lb0ELb1ELb0EEv18rocblas_operation_llT0_T1_lllT2_lllib
                                        ; -- End function
	.set _ZL39rocblas_trsm_block_forward_substitutionI19rocblas_complex_numIfES1_PKS1_PS1_Lb0ELb1ELb0EEv18rocblas_operation_llT0_T1_lllT2_lllib.num_vgpr, 18
	.set _ZL39rocblas_trsm_block_forward_substitutionI19rocblas_complex_numIfES1_PKS1_PS1_Lb0ELb1ELb0EEv18rocblas_operation_llT0_T1_lllT2_lllib.num_agpr, 0
	.set _ZL39rocblas_trsm_block_forward_substitutionI19rocblas_complex_numIfES1_PKS1_PS1_Lb0ELb1ELb0EEv18rocblas_operation_llT0_T1_lllT2_lllib.numbered_sgpr, 40
	.set _ZL39rocblas_trsm_block_forward_substitutionI19rocblas_complex_numIfES1_PKS1_PS1_Lb0ELb1ELb0EEv18rocblas_operation_llT0_T1_lllT2_lllib.num_named_barrier, 0
	.set _ZL39rocblas_trsm_block_forward_substitutionI19rocblas_complex_numIfES1_PKS1_PS1_Lb0ELb1ELb0EEv18rocblas_operation_llT0_T1_lllT2_lllib.private_seg_size, 0
	.set _ZL39rocblas_trsm_block_forward_substitutionI19rocblas_complex_numIfES1_PKS1_PS1_Lb0ELb1ELb0EEv18rocblas_operation_llT0_T1_lllT2_lllib.uses_vcc, 1
	.set _ZL39rocblas_trsm_block_forward_substitutionI19rocblas_complex_numIfES1_PKS1_PS1_Lb0ELb1ELb0EEv18rocblas_operation_llT0_T1_lllT2_lllib.uses_flat_scratch, 0
	.set _ZL39rocblas_trsm_block_forward_substitutionI19rocblas_complex_numIfES1_PKS1_PS1_Lb0ELb1ELb0EEv18rocblas_operation_llT0_T1_lllT2_lllib.has_dyn_sized_stack, 0
	.set _ZL39rocblas_trsm_block_forward_substitutionI19rocblas_complex_numIfES1_PKS1_PS1_Lb0ELb1ELb0EEv18rocblas_operation_llT0_T1_lllT2_lllib.has_recursion, 0
	.set _ZL39rocblas_trsm_block_forward_substitutionI19rocblas_complex_numIfES1_PKS1_PS1_Lb0ELb1ELb0EEv18rocblas_operation_llT0_T1_lllT2_lllib.has_indirect_call, 0
	.section	.AMDGPU.csdata,"",@progbits
; Kernel info:
; codeLenInByte = 2196
; TotalNumSgprs: 44
; NumVgprs: 18
; ScratchSize: 0
; MemoryBound: 0
; FloatMode: 240
; IeeeMode: 1
; LDSByteSize: 0 bytes/workgroup (compile time only)
; SGPRBlocks: 5
; VGPRBlocks: 4
; NumSGPRsForWavesPerEU: 44
; NumVGPRsForWavesPerEU: 18
; Occupancy: 10
; WaveLimiterHint : 1
; COMPUTE_PGM_RSRC2:SCRATCH_EN: 0
; COMPUTE_PGM_RSRC2:USER_SGPR: 6
; COMPUTE_PGM_RSRC2:TRAP_HANDLER: 0
; COMPUTE_PGM_RSRC2:TGID_X_EN: 1
; COMPUTE_PGM_RSRC2:TGID_Y_EN: 1
; COMPUTE_PGM_RSRC2:TGID_Z_EN: 1
; COMPUTE_PGM_RSRC2:TIDIG_COMP_CNT: 1
	.section	.text._ZL40rocblas_trsm_block_backward_substitutionI19rocblas_complex_numIfES1_PKS1_PS1_Lb0ELb1ELb0EEv18rocblas_operation_llT0_T1_lllT2_lllib,"axG",@progbits,_ZL40rocblas_trsm_block_backward_substitutionI19rocblas_complex_numIfES1_PKS1_PS1_Lb0ELb1ELb0EEv18rocblas_operation_llT0_T1_lllT2_lllib,comdat
	.globl	_ZL40rocblas_trsm_block_backward_substitutionI19rocblas_complex_numIfES1_PKS1_PS1_Lb0ELb1ELb0EEv18rocblas_operation_llT0_T1_lllT2_lllib ; -- Begin function _ZL40rocblas_trsm_block_backward_substitutionI19rocblas_complex_numIfES1_PKS1_PS1_Lb0ELb1ELb0EEv18rocblas_operation_llT0_T1_lllT2_lllib
	.p2align	8
	.type	_ZL40rocblas_trsm_block_backward_substitutionI19rocblas_complex_numIfES1_PKS1_PS1_Lb0ELb1ELb0EEv18rocblas_operation_llT0_T1_lllT2_lllib,@function
_ZL40rocblas_trsm_block_backward_substitutionI19rocblas_complex_numIfES1_PKS1_PS1_Lb0ELb1ELb0EEv18rocblas_operation_llT0_T1_lllT2_lllib: ; @_ZL40rocblas_trsm_block_backward_substitutionI19rocblas_complex_numIfES1_PKS1_PS1_Lb0ELb1ELb0EEv18rocblas_operation_llT0_T1_lllT2_lllib
; %bb.0:
	s_load_dword s0, s[4:5], 0x64
	s_load_dwordx4 s[28:31], s[4:5], 0x8
	s_load_dwordx2 s[34:35], s[4:5], 0x18
	s_load_dwordx16 s[12:27], s[4:5], 0x20
	s_load_dword s6, s[4:5], 0x74
	s_waitcnt lgkmcnt(0)
	s_bitcmp1_b32 s0, 0
	s_cselect_b64 s[0:1], -1, 0
	s_xor_b64 s[10:11], s[0:1], -1
	s_mul_i32 s0, s19, s8
	s_mul_hi_u32 s1, s18, s8
	s_add_i32 s1, s1, s0
	s_mul_i32 s0, s18, s8
	s_lshl_b64 s[0:1], s[0:1], 3
	s_add_u32 s2, s12, s0
	s_addc_u32 s3, s13, s1
	s_lshl_b64 s[0:1], s[14:15], 3
	s_add_u32 s2, s2, s0
	s_addc_u32 s3, s3, s1
	s_add_u32 s14, s4, 0x68
	v_mov_b32_e32 v2, v1
	s_addc_u32 s15, s5, 0
	s_lshr_b32 s6, s6, 16
	s_mov_b64 s[0:1], 1
	s_and_b64 vcc, exec, s[10:11]
	s_cbranch_vccnz .LBB183_15
; %bb.1:
	s_lshl_b32 s0, s6, 3
	s_add_i32 s18, s0, 0
	v_cmp_lt_i64_e64 s[0:1], s[28:29], 1
	s_mov_b64 s[12:13], 1
	s_and_b64 vcc, exec, s[0:1]
	s_cbranch_vccnz .LBB183_16
; %bb.2:
	v_mad_u64_u32 v[3:4], s[0:1], s16, v0, 0
	v_lshlrev_b32_e32 v6, 3, v0
	v_add_u32_e32 v10, s18, v6
	v_mov_b32_e32 v1, v4
	v_mad_u64_u32 v[4:5], s[0:1], s17, v0, v[1:2]
	v_mov_b32_e32 v1, 0
	v_cmp_le_u64_e64 s[16:17], s[28:29], v[0:1]
	v_lshlrev_b64 v[3:4], 3, v[3:4]
	v_cmp_gt_u64_e64 s[0:1], s[28:29], v[0:1]
	v_mov_b32_e32 v5, s3
	v_add_co_u32_e32 v1, vcc, s2, v3
	v_addc_co_u32_e32 v11, vcc, v5, v4, vcc
	v_add_co_u32_e32 v3, vcc, v1, v6
	v_addc_co_u32_e32 v4, vcc, 0, v11, vcc
	s_xor_b64 s[36:37], s[16:17], -1
	s_mov_b32 s9, s6
	v_mov_b32_e32 v5, v2
	s_branch .LBB183_5
.LBB183_3:                              ;   in Loop: Header=BB183_5 Depth=1
	s_or_b64 exec, exec, s[38:39]
	s_load_dword s19, s[14:15], 0xc
	s_waitcnt lgkmcnt(0)
	s_and_b32 s19, s19, 0xffff
	v_mul_u32_u24_e32 v6, s19, v0
	v_lshl_add_u32 v6, v6, 3, v10
	ds_write_b64 v6, v[8:9]
.LBB183_4:                              ;   in Loop: Header=BB183_5 Depth=1
	s_or_b64 exec, exec, s[2:3]
	s_ashr_i32 s2, s9, 31
	v_mov_b32_e32 v6, s9
	v_mov_b32_e32 v7, s2
	v_cmp_le_i64_e32 vcc, s[28:29], v[6:7]
	v_add_u32_e32 v5, s6, v5
	s_add_i32 s9, s9, s6
	s_cbranch_vccnz .LBB183_16
.LBB183_5:                              ; =>This Inner Loop Header: Depth=1
	s_mov_b64 s[40:41], s[16:17]
	s_and_saveexec_b64 s[38:39], s[0:1]
	s_cbranch_execz .LBB183_9
; %bb.6:                                ;   in Loop: Header=BB183_5 Depth=1
	v_ashrrev_i32_e32 v6, 31, v5
	v_cmp_gt_i64_e32 vcc, s[28:29], v[5:6]
	v_cmp_lt_i32_e64 s[2:3], v0, v5
	s_and_b64 s[42:43], s[2:3], vcc
	s_mov_b64 s[40:41], -1
	s_and_saveexec_b64 s[2:3], s[42:43]
	s_cbranch_execz .LBB183_8
; %bb.7:                                ;   in Loop: Header=BB183_5 Depth=1
	v_lshlrev_b64 v[6:7], 3, v[5:6]
	s_load_dword s19, s[14:15], 0xc
	v_add_co_u32_e32 v6, vcc, v1, v6
	v_addc_co_u32_e32 v7, vcc, v11, v7, vcc
	global_load_dwordx2 v[6:7], v[6:7], off
	s_waitcnt lgkmcnt(0)
	s_and_b32 s19, s19, 0xffff
	v_mul_lo_u32 v8, v5, s19
	s_xor_b64 s[40:41], exec, -1
	v_lshl_add_u32 v8, v8, 3, v10
	s_waitcnt vmcnt(0)
	ds_write_b64 v8, v[6:7]
.LBB183_8:                              ;   in Loop: Header=BB183_5 Depth=1
	s_or_b64 exec, exec, s[2:3]
	s_andn2_b64 s[2:3], s[16:17], exec
	s_and_b64 s[40:41], s[40:41], exec
	s_or_b64 s[40:41], s[2:3], s[40:41]
.LBB183_9:                              ;   in Loop: Header=BB183_5 Depth=1
	s_or_b64 exec, exec, s[38:39]
	s_and_saveexec_b64 s[2:3], s[40:41]
	s_cbranch_execz .LBB183_4
; %bb.10:                               ;   in Loop: Header=BB183_5 Depth=1
	v_cmp_eq_u32_e32 vcc, v0, v5
	s_and_b64 s[38:39], s[36:37], vcc
	s_and_b64 exec, exec, s[38:39]
	s_cbranch_execz .LBB183_4
; %bb.11:                               ;   in Loop: Header=BB183_5 Depth=1
	global_load_dwordx2 v[6:7], v[3:4], off
                                        ; implicit-def: $vgpr8
	s_waitcnt vmcnt(0)
	v_cmp_ngt_f32_e64 s[38:39], |v6|, |v7|
	s_and_saveexec_b64 s[40:41], s[38:39]
	s_xor_b64 s[38:39], exec, s[40:41]
	s_cbranch_execz .LBB183_13
; %bb.12:                               ;   in Loop: Header=BB183_5 Depth=1
	v_div_scale_f32 v8, s[40:41], v7, v7, v6
	v_div_scale_f32 v9, vcc, v6, v7, v6
	v_rcp_f32_e32 v12, v8
	v_fma_f32 v13, -v8, v12, 1.0
	v_fmac_f32_e32 v12, v13, v12
	v_mul_f32_e32 v13, v9, v12
	v_fma_f32 v14, -v8, v13, v9
	v_fmac_f32_e32 v13, v14, v12
	v_fma_f32 v8, -v8, v13, v9
	v_div_fmas_f32 v8, v8, v12, v13
	v_div_fixup_f32 v8, v8, v7, v6
	v_fmac_f32_e32 v7, v6, v8
	v_div_scale_f32 v6, s[40:41], v7, v7, 1.0
	v_div_scale_f32 v9, vcc, 1.0, v7, 1.0
	v_rcp_f32_e32 v12, v6
	v_fma_f32 v13, -v6, v12, 1.0
	v_fmac_f32_e32 v12, v13, v12
	v_mul_f32_e32 v13, v9, v12
	v_fma_f32 v14, -v6, v13, v9
	v_fmac_f32_e32 v13, v14, v12
	v_fma_f32 v6, -v6, v13, v9
	v_div_fmas_f32 v6, v6, v12, v13
	v_div_fixup_f32 v6, v6, v7, 1.0
	v_mul_f32_e32 v8, v8, v6
	v_xor_b32_e32 v9, 0x80000000, v6
                                        ; implicit-def: $vgpr6_vgpr7
.LBB183_13:                             ;   in Loop: Header=BB183_5 Depth=1
	s_andn2_saveexec_b64 s[38:39], s[38:39]
	s_cbranch_execz .LBB183_3
; %bb.14:                               ;   in Loop: Header=BB183_5 Depth=1
	v_div_scale_f32 v8, s[40:41], v6, v6, v7
	v_div_scale_f32 v9, vcc, v7, v6, v7
	v_rcp_f32_e32 v12, v8
	v_fma_f32 v13, -v8, v12, 1.0
	v_fmac_f32_e32 v12, v13, v12
	v_mul_f32_e32 v13, v9, v12
	v_fma_f32 v14, -v8, v13, v9
	v_fmac_f32_e32 v13, v14, v12
	v_fma_f32 v8, -v8, v13, v9
	v_div_fmas_f32 v8, v8, v12, v13
	v_div_fixup_f32 v9, v8, v6, v7
	v_fmac_f32_e32 v6, v7, v9
	v_div_scale_f32 v7, s[40:41], v6, v6, 1.0
	v_div_scale_f32 v8, vcc, 1.0, v6, 1.0
	v_rcp_f32_e32 v12, v7
	v_fma_f32 v13, -v7, v12, 1.0
	v_fmac_f32_e32 v12, v13, v12
	v_mul_f32_e32 v13, v8, v12
	v_fma_f32 v14, -v7, v13, v8
	v_fmac_f32_e32 v13, v14, v12
	v_fma_f32 v7, -v7, v13, v8
	v_div_fmas_f32 v7, v7, v12, v13
	v_div_fixup_f32 v8, v7, v6, 1.0
	v_mul_f32_e64 v9, v9, -v8
	s_branch .LBB183_3
.LBB183_15:
	s_mov_b64 s[12:13], s[16:17]
	s_branch .LBB183_17
.LBB183_16:
	s_load_dword s0, s[14:15], 0xc
	s_mov_b64 s[2:3], src_shared_base
	s_mov_b32 s19, s3
	s_mov_b32 s1, 0
	s_mov_b64 s[2:3], s[18:19]
	s_waitcnt lgkmcnt(0)
	s_and_b32 s0, s0, 0xffff
.LBB183_17:
	s_mul_i32 s7, s7, s6
	v_add_u32_e32 v3, s7, v2
	v_mov_b32_e32 v4, 0
	v_cmp_gt_i64_e32 vcc, s[30:31], v[3:4]
	s_and_saveexec_b64 s[6:7], vcc
	s_cbranch_execz .LBB183_46
; %bb.18:
	v_mov_b32_e32 v1, v4
	v_cmp_gt_i64_e32 vcc, s[28:29], v[0:1]
	s_and_b64 exec, exec, vcc
	s_cbranch_execz .LBB183_46
; %bb.19:
	s_mul_i32 s6, s27, s8
	s_mul_hi_u32 s7, s26, s8
	s_add_i32 s7, s7, s6
	s_mul_i32 s6, s26, s8
	v_mad_u64_u32 v[4:5], s[8:9], s24, v3, 0
	s_lshl_b64 s[6:7], s[6:7], 3
	s_add_u32 s8, s20, s6
	s_addc_u32 s9, s21, s7
	v_mad_u64_u32 v[5:6], s[6:7], s25, v3, v[5:6]
	s_lshl_b64 s[6:7], s[22:23], 3
	s_add_u32 s6, s8, s6
	v_lshlrev_b64 v[3:4], 3, v[4:5]
	s_addc_u32 s7, s9, s7
	v_mov_b32_e32 v5, s7
	v_add_co_u32_e32 v3, vcc, s6, v3
	v_addc_co_u32_e32 v4, vcc, v5, v4, vcc
	v_lshlrev_b32_e32 v5, 3, v0
	v_add_co_u32_e32 v3, vcc, v3, v5
	v_addc_co_u32_e32 v4, vcc, 0, v4, vcc
	global_load_dwordx2 v[7:8], v[3:4], off
	v_cmp_lt_u64_e64 s[6:7], s[28:29], 2
	s_and_b64 vcc, exec, s[6:7]
	s_waitcnt vmcnt(0)
	v_mul_f32_e32 v5, s35, v8
	v_mul_f32_e32 v6, s34, v8
	v_fma_f32 v5, s34, v7, -v5
	v_fmac_f32_e32 v6, s35, v7
	s_cbranch_vccnz .LBB183_37
; %bb.20:
	s_load_dword s4, s[4:5], 0x0
	v_mov_b32_e32 v14, s3
	v_lshl_add_u32 v2, v2, 3, 0
	s_waitcnt lgkmcnt(0)
	s_cmpk_lg_i32 s4, 0x71
	s_cselect_b64 s[4:5], -1, 0
	s_add_u32 s6, s0, s12
	v_mad_u64_u32 v[7:8], s[6:7], s6, v0, 0
	v_mad_u64_u32 v[9:10], s[6:7], s12, v0, 0
	s_addc_u32 s6, s1, s13
	v_mad_u64_u32 v[11:12], s[6:7], s6, v0, v[8:9]
	v_mov_b32_e32 v8, v10
	v_mad_u64_u32 v[12:13], s[6:7], s13, v0, v[8:9]
	s_add_u32 s6, s28, -1
	v_mov_b32_e32 v8, v11
	s_addc_u32 s7, s29, -1
	v_lshlrev_b64 v[7:8], 3, v[7:8]
	s_mul_i32 s8, s0, s7
	s_mul_hi_u32 s9, s0, s6
	v_mov_b32_e32 v10, v12
	s_add_i32 s9, s9, s8
	s_mul_i32 s8, s0, s6
	v_add_co_u32_e32 v7, vcc, s2, v7
	s_lshl_b64 s[8:9], s[8:9], 3
	v_lshlrev_b64 v[9:10], 3, v[9:10]
	v_addc_co_u32_e32 v8, vcc, v14, v8, vcc
	s_add_u32 s8, s2, s8
	s_addc_u32 s9, s3, s9
	v_add_co_u32_e32 v9, vcc, s8, v9
	s_lshl_b32 s8, s0, 3
	v_mov_b32_e32 v11, s9
	s_sub_u32 s16, 0, s8
	v_addc_co_u32_e32 v10, vcc, v11, v10, vcc
	s_subb_u32 s17, 0, 0
.LBB183_21:                             ; =>This Inner Loop Header: Depth=1
	v_cmp_eq_u64_e32 vcc, s[6:7], v[0:1]
	s_barrier
	s_and_saveexec_b64 s[8:9], vcc
	s_cbranch_execz .LBB183_29
; %bb.22:                               ;   in Loop: Header=BB183_21 Depth=1
	flat_load_dwordx2 v[11:12], v[7:8]
	s_andn2_b64 vcc, exec, s[10:11]
	s_cbranch_vccnz .LBB183_28
; %bb.23:                               ;   in Loop: Header=BB183_21 Depth=1
	s_waitcnt vmcnt(0) lgkmcnt(0)
	v_cmp_ngt_f32_e64 s[14:15], |v11|, |v12|
	s_and_saveexec_b64 s[18:19], s[14:15]
	s_xor_b64 s[14:15], exec, s[18:19]
	s_cbranch_execz .LBB183_25
; %bb.24:                               ;   in Loop: Header=BB183_21 Depth=1
	v_div_scale_f32 v13, s[18:19], v12, v12, v11
	v_div_scale_f32 v14, vcc, v11, v12, v11
	v_rcp_f32_e32 v15, v13
	v_fma_f32 v16, -v13, v15, 1.0
	v_fmac_f32_e32 v15, v16, v15
	v_mul_f32_e32 v16, v14, v15
	v_fma_f32 v17, -v13, v16, v14
	v_fmac_f32_e32 v16, v17, v15
	v_fma_f32 v13, -v13, v16, v14
	v_div_fmas_f32 v13, v13, v15, v16
	v_div_fixup_f32 v13, v13, v12, v11
	v_fmac_f32_e32 v12, v11, v13
	v_div_scale_f32 v11, s[18:19], v12, v12, 1.0
	v_div_scale_f32 v14, vcc, 1.0, v12, 1.0
	v_rcp_f32_e32 v15, v11
	v_fma_f32 v16, -v11, v15, 1.0
	v_fmac_f32_e32 v15, v16, v15
	v_mul_f32_e32 v16, v14, v15
	v_fma_f32 v17, -v11, v16, v14
	v_fmac_f32_e32 v16, v17, v15
	v_fma_f32 v11, -v11, v16, v14
	v_div_fmas_f32 v11, v11, v15, v16
	v_div_fixup_f32 v12, v11, v12, 1.0
	v_mul_f32_e32 v11, v13, v12
	v_xor_b32_e32 v12, 0x80000000, v12
.LBB183_25:                             ;   in Loop: Header=BB183_21 Depth=1
	s_andn2_saveexec_b64 s[14:15], s[14:15]
	s_cbranch_execz .LBB183_27
; %bb.26:                               ;   in Loop: Header=BB183_21 Depth=1
	v_div_scale_f32 v13, s[18:19], v11, v11, v12
	v_div_scale_f32 v14, vcc, v12, v11, v12
	v_rcp_f32_e32 v15, v13
	v_fma_f32 v16, -v13, v15, 1.0
	v_fmac_f32_e32 v15, v16, v15
	v_mul_f32_e32 v16, v14, v15
	v_fma_f32 v17, -v13, v16, v14
	v_fmac_f32_e32 v16, v17, v15
	v_fma_f32 v13, -v13, v16, v14
	v_div_fmas_f32 v13, v13, v15, v16
	v_div_fixup_f32 v13, v13, v11, v12
	v_fmac_f32_e32 v11, v12, v13
	v_div_scale_f32 v12, s[18:19], v11, v11, 1.0
	v_div_scale_f32 v14, vcc, 1.0, v11, 1.0
	v_rcp_f32_e32 v15, v12
	v_fma_f32 v16, -v12, v15, 1.0
	v_fmac_f32_e32 v15, v16, v15
	v_mul_f32_e32 v16, v14, v15
	v_fma_f32 v17, -v12, v16, v14
	v_fmac_f32_e32 v16, v17, v15
	v_fma_f32 v12, -v12, v16, v14
	v_div_fmas_f32 v12, v12, v15, v16
	v_div_fixup_f32 v11, v12, v11, 1.0
	v_mul_f32_e64 v12, v13, -v11
.LBB183_27:                             ;   in Loop: Header=BB183_21 Depth=1
	s_or_b64 exec, exec, s[14:15]
.LBB183_28:                             ;   in Loop: Header=BB183_21 Depth=1
	s_waitcnt vmcnt(0) lgkmcnt(0)
	v_mul_f32_e32 v13, v6, v12
	v_mul_f32_e32 v14, v5, v12
	v_fma_f32 v13, v5, v11, -v13
	v_fmac_f32_e32 v14, v6, v11
	v_mov_b32_e32 v6, v14
	v_mov_b32_e32 v5, v13
	ds_write_b64 v2, v[13:14]
.LBB183_29:                             ;   in Loop: Header=BB183_21 Depth=1
	s_or_b64 exec, exec, s[8:9]
	v_cmp_gt_i64_e32 vcc, s[6:7], v[0:1]
	s_waitcnt lgkmcnt(0)
	s_barrier
	s_and_saveexec_b64 s[8:9], vcc
	s_cbranch_execz .LBB183_35
; %bb.30:                               ;   in Loop: Header=BB183_21 Depth=1
	s_mov_b64 s[14:15], -1
	s_and_b64 vcc, exec, s[4:5]
                                        ; implicit-def: $vgpr11
	s_cbranch_vccz .LBB183_32
; %bb.31:                               ;   in Loop: Header=BB183_21 Depth=1
	flat_load_dwordx2 v[11:12], v[9:10]
	s_mov_b64 s[14:15], 0
.LBB183_32:                             ;   in Loop: Header=BB183_21 Depth=1
	s_andn2_b64 vcc, exec, s[14:15]
	s_cbranch_vccnz .LBB183_34
; %bb.33:                               ;   in Loop: Header=BB183_21 Depth=1
	s_waitcnt vmcnt(0) lgkmcnt(0)
	flat_load_dwordx2 v[11:12], v[9:10]
	s_waitcnt vmcnt(0) lgkmcnt(0)
	v_xor_b32_e32 v12, 0x80000000, v12
.LBB183_34:                             ;   in Loop: Header=BB183_21 Depth=1
	ds_read_b64 v[13:14], v2
	s_waitcnt vmcnt(0) lgkmcnt(0)
	v_mul_f32_e32 v15, v12, v14
	v_mul_f32_e32 v14, v14, v11
	v_fma_f32 v11, v13, v11, -v15
	v_fmac_f32_e32 v14, v12, v13
	v_sub_f32_e32 v5, v5, v11
	v_sub_f32_e32 v6, v6, v14
.LBB183_35:                             ;   in Loop: Header=BB183_21 Depth=1
	s_or_b64 exec, exec, s[8:9]
	s_add_u32 s8, s6, -1
	s_addc_u32 s9, s7, -1
	s_add_u32 s6, s6, 1
	s_addc_u32 s7, s7, 0
	v_mov_b32_e32 v11, s17
	v_cmp_lt_u64_e64 s[6:7], s[6:7], 3
	v_add_co_u32_e32 v9, vcc, s16, v9
	v_addc_co_u32_e32 v10, vcc, v10, v11, vcc
	s_and_b64 vcc, exec, s[6:7]
	s_cbranch_vccnz .LBB183_37
; %bb.36:                               ;   in Loop: Header=BB183_21 Depth=1
	s_mov_b64 s[6:7], s[8:9]
	s_branch .LBB183_21
.LBB183_37:
	v_cmp_eq_u32_e32 vcc, 0, v0
	s_and_saveexec_b64 s[4:5], vcc
	s_cbranch_execz .LBB183_45
; %bb.38:
	s_add_u32 s0, s0, s12
	v_mad_u64_u32 v[1:2], s[6:7], s0, v0, 0
	s_addc_u32 s0, s1, s13
	v_mad_u64_u32 v[7:8], s[0:1], s0, v0, v[2:3]
	v_mov_b32_e32 v8, s3
	v_mov_b32_e32 v2, v7
	v_lshlrev_b64 v[0:1], 3, v[1:2]
	v_add_co_u32_e32 v0, vcc, s2, v0
	v_addc_co_u32_e32 v1, vcc, v8, v1, vcc
	flat_load_dwordx2 v[0:1], v[0:1]
	s_andn2_b64 vcc, exec, s[10:11]
	s_cbranch_vccnz .LBB183_44
; %bb.39:
	s_waitcnt vmcnt(0) lgkmcnt(0)
	v_cmp_ngt_f32_e64 s[0:1], |v0|, |v1|
	s_and_saveexec_b64 s[2:3], s[0:1]
	s_xor_b64 s[0:1], exec, s[2:3]
	s_cbranch_execz .LBB183_41
; %bb.40:
	v_div_scale_f32 v2, s[2:3], v1, v1, v0
	v_div_scale_f32 v7, vcc, v0, v1, v0
	v_rcp_f32_e32 v8, v2
	v_fma_f32 v9, -v2, v8, 1.0
	v_fmac_f32_e32 v8, v9, v8
	v_mul_f32_e32 v9, v7, v8
	v_fma_f32 v10, -v2, v9, v7
	v_fmac_f32_e32 v9, v10, v8
	v_fma_f32 v2, -v2, v9, v7
	v_div_fmas_f32 v2, v2, v8, v9
	v_div_fixup_f32 v2, v2, v1, v0
	v_fmac_f32_e32 v1, v0, v2
	v_div_scale_f32 v0, s[2:3], v1, v1, 1.0
	v_div_scale_f32 v7, vcc, 1.0, v1, 1.0
	v_rcp_f32_e32 v8, v0
	v_fma_f32 v9, -v0, v8, 1.0
	v_fmac_f32_e32 v8, v9, v8
	v_mul_f32_e32 v9, v7, v8
	v_fma_f32 v10, -v0, v9, v7
	v_fmac_f32_e32 v9, v10, v8
	v_fma_f32 v0, -v0, v9, v7
	v_div_fmas_f32 v0, v0, v8, v9
	v_div_fixup_f32 v1, v0, v1, 1.0
	v_mul_f32_e32 v0, v2, v1
	v_xor_b32_e32 v1, 0x80000000, v1
.LBB183_41:
	s_andn2_saveexec_b64 s[0:1], s[0:1]
	s_cbranch_execz .LBB183_43
; %bb.42:
	v_div_scale_f32 v2, s[2:3], v0, v0, v1
	v_div_scale_f32 v7, vcc, v1, v0, v1
	v_rcp_f32_e32 v8, v2
	v_fma_f32 v9, -v2, v8, 1.0
	v_fmac_f32_e32 v8, v9, v8
	v_mul_f32_e32 v9, v7, v8
	v_fma_f32 v10, -v2, v9, v7
	v_fmac_f32_e32 v9, v10, v8
	v_fma_f32 v2, -v2, v9, v7
	v_div_fmas_f32 v2, v2, v8, v9
	v_div_fixup_f32 v2, v2, v0, v1
	v_fmac_f32_e32 v0, v1, v2
	v_div_scale_f32 v1, s[2:3], v0, v0, 1.0
	v_div_scale_f32 v7, vcc, 1.0, v0, 1.0
	v_rcp_f32_e32 v8, v1
	v_fma_f32 v9, -v1, v8, 1.0
	v_fmac_f32_e32 v8, v9, v8
	v_mul_f32_e32 v9, v7, v8
	v_fma_f32 v10, -v1, v9, v7
	v_fmac_f32_e32 v9, v10, v8
	v_fma_f32 v1, -v1, v9, v7
	v_div_fmas_f32 v1, v1, v8, v9
	v_div_fixup_f32 v0, v1, v0, 1.0
	v_mul_f32_e64 v1, v2, -v0
.LBB183_43:
	s_or_b64 exec, exec, s[0:1]
.LBB183_44:
	s_waitcnt vmcnt(0) lgkmcnt(0)
	v_mul_f32_e32 v2, v6, v1
	v_fma_f32 v2, v5, v0, -v2
	v_mul_f32_e32 v6, v6, v0
	v_fmac_f32_e32 v6, v5, v1
	v_mov_b32_e32 v5, v2
.LBB183_45:
	s_or_b64 exec, exec, s[4:5]
	global_store_dwordx2 v[3:4], v[5:6], off
.LBB183_46:
	s_endpgm
	.section	.rodata,"a",@progbits
	.p2align	6, 0x0
	.amdhsa_kernel _ZL40rocblas_trsm_block_backward_substitutionI19rocblas_complex_numIfES1_PKS1_PS1_Lb0ELb1ELb0EEv18rocblas_operation_llT0_T1_lllT2_lllib
		.amdhsa_group_segment_fixed_size 0
		.amdhsa_private_segment_fixed_size 0
		.amdhsa_kernarg_size 360
		.amdhsa_user_sgpr_count 6
		.amdhsa_user_sgpr_private_segment_buffer 1
		.amdhsa_user_sgpr_dispatch_ptr 0
		.amdhsa_user_sgpr_queue_ptr 0
		.amdhsa_user_sgpr_kernarg_segment_ptr 1
		.amdhsa_user_sgpr_dispatch_id 0
		.amdhsa_user_sgpr_flat_scratch_init 0
		.amdhsa_user_sgpr_private_segment_size 0
		.amdhsa_uses_dynamic_stack 0
		.amdhsa_system_sgpr_private_segment_wavefront_offset 0
		.amdhsa_system_sgpr_workgroup_id_x 1
		.amdhsa_system_sgpr_workgroup_id_y 1
		.amdhsa_system_sgpr_workgroup_id_z 1
		.amdhsa_system_sgpr_workgroup_info 0
		.amdhsa_system_vgpr_workitem_id 1
		.amdhsa_next_free_vgpr 18
		.amdhsa_next_free_sgpr 44
		.amdhsa_reserve_vcc 1
		.amdhsa_reserve_flat_scratch 0
		.amdhsa_float_round_mode_32 0
		.amdhsa_float_round_mode_16_64 0
		.amdhsa_float_denorm_mode_32 3
		.amdhsa_float_denorm_mode_16_64 3
		.amdhsa_dx10_clamp 1
		.amdhsa_ieee_mode 1
		.amdhsa_fp16_overflow 0
		.amdhsa_exception_fp_ieee_invalid_op 0
		.amdhsa_exception_fp_denorm_src 0
		.amdhsa_exception_fp_ieee_div_zero 0
		.amdhsa_exception_fp_ieee_overflow 0
		.amdhsa_exception_fp_ieee_underflow 0
		.amdhsa_exception_fp_ieee_inexact 0
		.amdhsa_exception_int_div_zero 0
	.end_amdhsa_kernel
	.section	.text._ZL40rocblas_trsm_block_backward_substitutionI19rocblas_complex_numIfES1_PKS1_PS1_Lb0ELb1ELb0EEv18rocblas_operation_llT0_T1_lllT2_lllib,"axG",@progbits,_ZL40rocblas_trsm_block_backward_substitutionI19rocblas_complex_numIfES1_PKS1_PS1_Lb0ELb1ELb0EEv18rocblas_operation_llT0_T1_lllT2_lllib,comdat
.Lfunc_end183:
	.size	_ZL40rocblas_trsm_block_backward_substitutionI19rocblas_complex_numIfES1_PKS1_PS1_Lb0ELb1ELb0EEv18rocblas_operation_llT0_T1_lllT2_lllib, .Lfunc_end183-_ZL40rocblas_trsm_block_backward_substitutionI19rocblas_complex_numIfES1_PKS1_PS1_Lb0ELb1ELb0EEv18rocblas_operation_llT0_T1_lllT2_lllib
                                        ; -- End function
	.set _ZL40rocblas_trsm_block_backward_substitutionI19rocblas_complex_numIfES1_PKS1_PS1_Lb0ELb1ELb0EEv18rocblas_operation_llT0_T1_lllT2_lllib.num_vgpr, 18
	.set _ZL40rocblas_trsm_block_backward_substitutionI19rocblas_complex_numIfES1_PKS1_PS1_Lb0ELb1ELb0EEv18rocblas_operation_llT0_T1_lllT2_lllib.num_agpr, 0
	.set _ZL40rocblas_trsm_block_backward_substitutionI19rocblas_complex_numIfES1_PKS1_PS1_Lb0ELb1ELb0EEv18rocblas_operation_llT0_T1_lllT2_lllib.numbered_sgpr, 44
	.set _ZL40rocblas_trsm_block_backward_substitutionI19rocblas_complex_numIfES1_PKS1_PS1_Lb0ELb1ELb0EEv18rocblas_operation_llT0_T1_lllT2_lllib.num_named_barrier, 0
	.set _ZL40rocblas_trsm_block_backward_substitutionI19rocblas_complex_numIfES1_PKS1_PS1_Lb0ELb1ELb0EEv18rocblas_operation_llT0_T1_lllT2_lllib.private_seg_size, 0
	.set _ZL40rocblas_trsm_block_backward_substitutionI19rocblas_complex_numIfES1_PKS1_PS1_Lb0ELb1ELb0EEv18rocblas_operation_llT0_T1_lllT2_lllib.uses_vcc, 1
	.set _ZL40rocblas_trsm_block_backward_substitutionI19rocblas_complex_numIfES1_PKS1_PS1_Lb0ELb1ELb0EEv18rocblas_operation_llT0_T1_lllT2_lllib.uses_flat_scratch, 0
	.set _ZL40rocblas_trsm_block_backward_substitutionI19rocblas_complex_numIfES1_PKS1_PS1_Lb0ELb1ELb0EEv18rocblas_operation_llT0_T1_lllT2_lllib.has_dyn_sized_stack, 0
	.set _ZL40rocblas_trsm_block_backward_substitutionI19rocblas_complex_numIfES1_PKS1_PS1_Lb0ELb1ELb0EEv18rocblas_operation_llT0_T1_lllT2_lllib.has_recursion, 0
	.set _ZL40rocblas_trsm_block_backward_substitutionI19rocblas_complex_numIfES1_PKS1_PS1_Lb0ELb1ELb0EEv18rocblas_operation_llT0_T1_lllT2_lllib.has_indirect_call, 0
	.section	.AMDGPU.csdata,"",@progbits
; Kernel info:
; codeLenInByte = 2308
; TotalNumSgprs: 48
; NumVgprs: 18
; ScratchSize: 0
; MemoryBound: 0
; FloatMode: 240
; IeeeMode: 1
; LDSByteSize: 0 bytes/workgroup (compile time only)
; SGPRBlocks: 5
; VGPRBlocks: 4
; NumSGPRsForWavesPerEU: 48
; NumVGPRsForWavesPerEU: 18
; Occupancy: 10
; WaveLimiterHint : 1
; COMPUTE_PGM_RSRC2:SCRATCH_EN: 0
; COMPUTE_PGM_RSRC2:USER_SGPR: 6
; COMPUTE_PGM_RSRC2:TRAP_HANDLER: 0
; COMPUTE_PGM_RSRC2:TGID_X_EN: 1
; COMPUTE_PGM_RSRC2:TGID_Y_EN: 1
; COMPUTE_PGM_RSRC2:TGID_Z_EN: 1
; COMPUTE_PGM_RSRC2:TIDIG_COMP_CNT: 1
	.section	.text._ZL39rocblas_trsm_block_forward_substitutionI19rocblas_complex_numIfES1_PKS1_PS1_Lb0ELb1ELb1EEv18rocblas_operation_llT0_T1_lllT2_lllib,"axG",@progbits,_ZL39rocblas_trsm_block_forward_substitutionI19rocblas_complex_numIfES1_PKS1_PS1_Lb0ELb1ELb1EEv18rocblas_operation_llT0_T1_lllT2_lllib,comdat
	.globl	_ZL39rocblas_trsm_block_forward_substitutionI19rocblas_complex_numIfES1_PKS1_PS1_Lb0ELb1ELb1EEv18rocblas_operation_llT0_T1_lllT2_lllib ; -- Begin function _ZL39rocblas_trsm_block_forward_substitutionI19rocblas_complex_numIfES1_PKS1_PS1_Lb0ELb1ELb1EEv18rocblas_operation_llT0_T1_lllT2_lllib
	.p2align	8
	.type	_ZL39rocblas_trsm_block_forward_substitutionI19rocblas_complex_numIfES1_PKS1_PS1_Lb0ELb1ELb1EEv18rocblas_operation_llT0_T1_lllT2_lllib,@function
_ZL39rocblas_trsm_block_forward_substitutionI19rocblas_complex_numIfES1_PKS1_PS1_Lb0ELb1ELb1EEv18rocblas_operation_llT0_T1_lllT2_lllib: ; @_ZL39rocblas_trsm_block_forward_substitutionI19rocblas_complex_numIfES1_PKS1_PS1_Lb0ELb1ELb1EEv18rocblas_operation_llT0_T1_lllT2_lllib
; %bb.0:
	s_load_dwordx16 s[12:27], s[4:5], 0x20
	s_load_dwordx4 s[28:31], s[4:5], 0x8
	s_load_dwordx2 s[2:3], s[4:5], 0x18
	v_mov_b32_e32 v2, v1
	s_waitcnt lgkmcnt(0)
	s_mul_i32 s0, s19, s8
	s_mul_hi_u32 s1, s18, s8
	s_add_i32 s1, s1, s0
	s_mul_i32 s0, s18, s8
	s_lshl_b64 s[0:1], s[0:1], 3
	s_add_u32 s6, s12, s0
	s_addc_u32 s9, s13, s1
	s_lshl_b64 s[0:1], s[14:15], 3
	s_load_dword s14, s[4:5], 0x64
	s_load_dword s15, s[4:5], 0x74
	s_add_u32 s10, s6, s0
	s_addc_u32 s11, s9, s1
	s_add_u32 s12, s4, 0x68
	s_addc_u32 s13, s5, 0
	s_waitcnt lgkmcnt(0)
	s_lshr_b32 s6, s15, 16
	s_bitcmp0_b32 s14, 0
	s_cbranch_scc1 .LBB184_7
; %bb.1:
	v_cmp_lt_i64_e64 s[0:1], s[28:29], 1
	s_lshl_b32 s9, s6, 3
	s_add_i32 s14, s9, 0
	s_and_b64 vcc, exec, s[0:1]
	s_cbranch_vccnz .LBB184_6
; %bb.2:
	v_lshlrev_b32_e32 v4, 3, v0
	v_mov_b32_e32 v1, 0
	v_cmp_gt_u64_e64 s[0:1], s[28:29], v[0:1]
	v_mov_b32_e32 v5, s11
	v_add_co_u32_e32 v1, vcc, s10, v4
	v_add_u32_e32 v3, s14, v4
	v_addc_co_u32_e32 v4, vcc, 0, v5, vcc
	s_mov_b32 s9, 0
	s_branch .LBB184_4
.LBB184_3:                              ;   in Loop: Header=BB184_4 Depth=1
	s_or_b64 exec, exec, s[10:11]
	s_add_i32 s9, s9, s6
	s_ashr_i32 s10, s9, 31
	v_mov_b32_e32 v5, s9
	v_mov_b32_e32 v6, s10
	v_cmp_le_i64_e32 vcc, s[28:29], v[5:6]
	s_cbranch_vccnz .LBB184_6
.LBB184_4:                              ; =>This Inner Loop Header: Depth=1
	v_add_u32_e32 v5, s9, v2
	v_cmp_gt_i32_e32 vcc, v0, v5
	s_and_b64 s[18:19], s[0:1], vcc
	s_and_saveexec_b64 s[10:11], s[18:19]
	s_cbranch_execz .LBB184_3
; %bb.5:                                ;   in Loop: Header=BB184_4 Depth=1
	v_ashrrev_i32_e32 v8, 31, v5
	v_mul_lo_u32 v9, s17, v5
	v_mad_u64_u32 v[6:7], s[18:19], s16, v5, 0
	v_mul_lo_u32 v8, s16, v8
	s_load_dword s15, s[12:13], 0xc
	v_add3_u32 v7, v7, v8, v9
	v_lshlrev_b64 v[6:7], 3, v[6:7]
	s_waitcnt lgkmcnt(0)
	s_and_b32 s15, s15, 0xffff
	v_add_co_u32_e32 v6, vcc, v1, v6
	v_addc_co_u32_e32 v7, vcc, v4, v7, vcc
	global_load_dwordx2 v[6:7], v[6:7], off
	v_mul_lo_u32 v5, v5, s15
	v_lshl_add_u32 v5, v5, 3, v3
	s_waitcnt vmcnt(0)
	ds_write_b64 v5, v[6:7]
	s_branch .LBB184_3
.LBB184_6:
	s_mov_b64 s[0:1], src_shared_base
	s_load_dword s0, s[12:13], 0xc
	s_mov_b32 s15, s1
	s_mov_b32 s17, 0
	s_mov_b64 s[10:11], s[14:15]
	s_waitcnt lgkmcnt(0)
	s_and_b32 s16, s0, 0xffff
.LBB184_7:
	s_mul_i32 s7, s7, s6
	v_add_u32_e32 v3, s7, v2
	v_mov_b32_e32 v4, 0
	v_cmp_gt_i64_e32 vcc, s[30:31], v[3:4]
	s_and_saveexec_b64 s[0:1], vcc
	s_cbranch_execz .LBB184_21
; %bb.8:
	v_mov_b32_e32 v1, v4
	v_cmp_gt_i64_e32 vcc, s[28:29], v[0:1]
	s_and_b64 exec, exec, vcc
	s_cbranch_execz .LBB184_21
; %bb.9:
	s_mul_i32 s0, s27, s8
	s_mul_hi_u32 s1, s26, s8
	v_mad_u64_u32 v[5:6], s[6:7], s24, v0, 0
	s_add_i32 s1, s1, s0
	s_mul_i32 s0, s26, s8
	s_lshl_b64 s[0:1], s[0:1], 3
	s_add_u32 s6, s20, s0
	s_addc_u32 s7, s21, s1
	v_mad_u64_u32 v[6:7], s[0:1], s25, v0, v[6:7]
	s_lshl_b64 s[0:1], s[22:23], 3
	s_add_u32 s0, s6, s0
	v_lshlrev_b64 v[5:6], 3, v[5:6]
	s_addc_u32 s1, s7, s1
	v_mov_b32_e32 v7, s1
	v_add_co_u32_e32 v5, vcc, s0, v5
	v_lshlrev_b64 v[3:4], 3, v[3:4]
	v_addc_co_u32_e32 v6, vcc, v7, v6, vcc
	v_add_co_u32_e32 v3, vcc, v5, v3
	v_addc_co_u32_e32 v4, vcc, v6, v4, vcc
	global_load_dwordx2 v[7:8], v[3:4], off
	v_cmp_lt_u64_e64 s[0:1], s[28:29], 2
	s_and_b64 vcc, exec, s[0:1]
	s_waitcnt vmcnt(0)
	v_mul_f32_e32 v5, s3, v8
	v_mul_f32_e32 v6, s2, v8
	v_fma_f32 v5, s2, v7, -v5
	v_fmac_f32_e32 v6, s3, v7
	s_cbranch_vccnz .LBB184_20
; %bb.10:
	s_load_dword s0, s[4:5], 0x0
	v_lshlrev_b32_e32 v7, 3, v0
	v_mov_b32_e32 v8, s11
	v_add_co_u32_e32 v7, vcc, s10, v7
	s_waitcnt lgkmcnt(0)
	s_cmpk_lg_i32 s0, 0x71
	s_cselect_b64 s[0:1], -1, 0
	s_add_u32 s2, s28, -1
	v_addc_co_u32_e32 v8, vcc, 0, v8, vcc
	v_lshl_add_u32 v2, v2, 3, 0
	s_addc_u32 s3, s29, -1
	s_lshl_b64 s[4:5], s[16:17], 3
	s_mov_b64 s[6:7], 0
	s_branch .LBB184_13
.LBB184_11:                             ;   in Loop: Header=BB184_13 Depth=1
	ds_read_b64 v[11:12], v2
	s_waitcnt vmcnt(0) lgkmcnt(0)
	v_mul_f32_e32 v13, v10, v12
	v_mul_f32_e32 v12, v12, v9
	v_fma_f32 v9, v11, v9, -v13
	v_fmac_f32_e32 v12, v10, v11
	v_sub_f32_e32 v5, v5, v9
	v_sub_f32_e32 v6, v6, v12
.LBB184_12:                             ;   in Loop: Header=BB184_13 Depth=1
	s_or_b64 exec, exec, s[8:9]
	s_add_u32 s6, s6, 1
	s_addc_u32 s7, s7, 0
	v_mov_b32_e32 v9, s5
	v_add_co_u32_e32 v7, vcc, s4, v7
	s_cmp_eq_u64 s[2:3], s[6:7]
	v_addc_co_u32_e32 v8, vcc, v8, v9, vcc
	s_cbranch_scc1 .LBB184_20
.LBB184_13:                             ; =>This Inner Loop Header: Depth=1
	v_cmp_eq_u64_e32 vcc, s[6:7], v[0:1]
	s_barrier
	s_and_saveexec_b64 s[8:9], vcc
; %bb.14:                               ;   in Loop: Header=BB184_13 Depth=1
	ds_write_b64 v2, v[5:6]
; %bb.15:                               ;   in Loop: Header=BB184_13 Depth=1
	s_or_b64 exec, exec, s[8:9]
	v_cmp_lt_u64_e32 vcc, s[6:7], v[0:1]
	s_waitcnt lgkmcnt(0)
	s_barrier
	s_and_saveexec_b64 s[8:9], vcc
	s_cbranch_execz .LBB184_12
; %bb.16:                               ;   in Loop: Header=BB184_13 Depth=1
	s_mov_b64 s[10:11], -1
	s_and_b64 vcc, exec, s[0:1]
                                        ; implicit-def: $vgpr9
	s_cbranch_vccz .LBB184_18
; %bb.17:                               ;   in Loop: Header=BB184_13 Depth=1
	flat_load_dwordx2 v[9:10], v[7:8]
	s_mov_b64 s[10:11], 0
.LBB184_18:                             ;   in Loop: Header=BB184_13 Depth=1
	s_andn2_b64 vcc, exec, s[10:11]
	s_cbranch_vccnz .LBB184_11
; %bb.19:                               ;   in Loop: Header=BB184_13 Depth=1
	s_waitcnt vmcnt(0) lgkmcnt(0)
	flat_load_dwordx2 v[9:10], v[7:8]
	s_waitcnt vmcnt(0) lgkmcnt(0)
	v_xor_b32_e32 v10, 0x80000000, v10
	s_branch .LBB184_11
.LBB184_20:
	global_store_dwordx2 v[3:4], v[5:6], off
.LBB184_21:
	s_endpgm
	.section	.rodata,"a",@progbits
	.p2align	6, 0x0
	.amdhsa_kernel _ZL39rocblas_trsm_block_forward_substitutionI19rocblas_complex_numIfES1_PKS1_PS1_Lb0ELb1ELb1EEv18rocblas_operation_llT0_T1_lllT2_lllib
		.amdhsa_group_segment_fixed_size 0
		.amdhsa_private_segment_fixed_size 0
		.amdhsa_kernarg_size 360
		.amdhsa_user_sgpr_count 6
		.amdhsa_user_sgpr_private_segment_buffer 1
		.amdhsa_user_sgpr_dispatch_ptr 0
		.amdhsa_user_sgpr_queue_ptr 0
		.amdhsa_user_sgpr_kernarg_segment_ptr 1
		.amdhsa_user_sgpr_dispatch_id 0
		.amdhsa_user_sgpr_flat_scratch_init 0
		.amdhsa_user_sgpr_private_segment_size 0
		.amdhsa_uses_dynamic_stack 0
		.amdhsa_system_sgpr_private_segment_wavefront_offset 0
		.amdhsa_system_sgpr_workgroup_id_x 1
		.amdhsa_system_sgpr_workgroup_id_y 1
		.amdhsa_system_sgpr_workgroup_id_z 1
		.amdhsa_system_sgpr_workgroup_info 0
		.amdhsa_system_vgpr_workitem_id 1
		.amdhsa_next_free_vgpr 14
		.amdhsa_next_free_sgpr 32
		.amdhsa_reserve_vcc 1
		.amdhsa_reserve_flat_scratch 0
		.amdhsa_float_round_mode_32 0
		.amdhsa_float_round_mode_16_64 0
		.amdhsa_float_denorm_mode_32 3
		.amdhsa_float_denorm_mode_16_64 3
		.amdhsa_dx10_clamp 1
		.amdhsa_ieee_mode 1
		.amdhsa_fp16_overflow 0
		.amdhsa_exception_fp_ieee_invalid_op 0
		.amdhsa_exception_fp_denorm_src 0
		.amdhsa_exception_fp_ieee_div_zero 0
		.amdhsa_exception_fp_ieee_overflow 0
		.amdhsa_exception_fp_ieee_underflow 0
		.amdhsa_exception_fp_ieee_inexact 0
		.amdhsa_exception_int_div_zero 0
	.end_amdhsa_kernel
	.section	.text._ZL39rocblas_trsm_block_forward_substitutionI19rocblas_complex_numIfES1_PKS1_PS1_Lb0ELb1ELb1EEv18rocblas_operation_llT0_T1_lllT2_lllib,"axG",@progbits,_ZL39rocblas_trsm_block_forward_substitutionI19rocblas_complex_numIfES1_PKS1_PS1_Lb0ELb1ELb1EEv18rocblas_operation_llT0_T1_lllT2_lllib,comdat
.Lfunc_end184:
	.size	_ZL39rocblas_trsm_block_forward_substitutionI19rocblas_complex_numIfES1_PKS1_PS1_Lb0ELb1ELb1EEv18rocblas_operation_llT0_T1_lllT2_lllib, .Lfunc_end184-_ZL39rocblas_trsm_block_forward_substitutionI19rocblas_complex_numIfES1_PKS1_PS1_Lb0ELb1ELb1EEv18rocblas_operation_llT0_T1_lllT2_lllib
                                        ; -- End function
	.set _ZL39rocblas_trsm_block_forward_substitutionI19rocblas_complex_numIfES1_PKS1_PS1_Lb0ELb1ELb1EEv18rocblas_operation_llT0_T1_lllT2_lllib.num_vgpr, 14
	.set _ZL39rocblas_trsm_block_forward_substitutionI19rocblas_complex_numIfES1_PKS1_PS1_Lb0ELb1ELb1EEv18rocblas_operation_llT0_T1_lllT2_lllib.num_agpr, 0
	.set _ZL39rocblas_trsm_block_forward_substitutionI19rocblas_complex_numIfES1_PKS1_PS1_Lb0ELb1ELb1EEv18rocblas_operation_llT0_T1_lllT2_lllib.numbered_sgpr, 32
	.set _ZL39rocblas_trsm_block_forward_substitutionI19rocblas_complex_numIfES1_PKS1_PS1_Lb0ELb1ELb1EEv18rocblas_operation_llT0_T1_lllT2_lllib.num_named_barrier, 0
	.set _ZL39rocblas_trsm_block_forward_substitutionI19rocblas_complex_numIfES1_PKS1_PS1_Lb0ELb1ELb1EEv18rocblas_operation_llT0_T1_lllT2_lllib.private_seg_size, 0
	.set _ZL39rocblas_trsm_block_forward_substitutionI19rocblas_complex_numIfES1_PKS1_PS1_Lb0ELb1ELb1EEv18rocblas_operation_llT0_T1_lllT2_lllib.uses_vcc, 1
	.set _ZL39rocblas_trsm_block_forward_substitutionI19rocblas_complex_numIfES1_PKS1_PS1_Lb0ELb1ELb1EEv18rocblas_operation_llT0_T1_lllT2_lllib.uses_flat_scratch, 0
	.set _ZL39rocblas_trsm_block_forward_substitutionI19rocblas_complex_numIfES1_PKS1_PS1_Lb0ELb1ELb1EEv18rocblas_operation_llT0_T1_lllT2_lllib.has_dyn_sized_stack, 0
	.set _ZL39rocblas_trsm_block_forward_substitutionI19rocblas_complex_numIfES1_PKS1_PS1_Lb0ELb1ELb1EEv18rocblas_operation_llT0_T1_lllT2_lllib.has_recursion, 0
	.set _ZL39rocblas_trsm_block_forward_substitutionI19rocblas_complex_numIfES1_PKS1_PS1_Lb0ELb1ELb1EEv18rocblas_operation_llT0_T1_lllT2_lllib.has_indirect_call, 0
	.section	.AMDGPU.csdata,"",@progbits
; Kernel info:
; codeLenInByte = 808
; TotalNumSgprs: 36
; NumVgprs: 14
; ScratchSize: 0
; MemoryBound: 0
; FloatMode: 240
; IeeeMode: 1
; LDSByteSize: 0 bytes/workgroup (compile time only)
; SGPRBlocks: 4
; VGPRBlocks: 3
; NumSGPRsForWavesPerEU: 36
; NumVGPRsForWavesPerEU: 14
; Occupancy: 10
; WaveLimiterHint : 1
; COMPUTE_PGM_RSRC2:SCRATCH_EN: 0
; COMPUTE_PGM_RSRC2:USER_SGPR: 6
; COMPUTE_PGM_RSRC2:TRAP_HANDLER: 0
; COMPUTE_PGM_RSRC2:TGID_X_EN: 1
; COMPUTE_PGM_RSRC2:TGID_Y_EN: 1
; COMPUTE_PGM_RSRC2:TGID_Z_EN: 1
; COMPUTE_PGM_RSRC2:TIDIG_COMP_CNT: 1
	.section	.text._ZL40rocblas_trsm_block_backward_substitutionI19rocblas_complex_numIfES1_PKS1_PS1_Lb0ELb1ELb1EEv18rocblas_operation_llT0_T1_lllT2_lllib,"axG",@progbits,_ZL40rocblas_trsm_block_backward_substitutionI19rocblas_complex_numIfES1_PKS1_PS1_Lb0ELb1ELb1EEv18rocblas_operation_llT0_T1_lllT2_lllib,comdat
	.globl	_ZL40rocblas_trsm_block_backward_substitutionI19rocblas_complex_numIfES1_PKS1_PS1_Lb0ELb1ELb1EEv18rocblas_operation_llT0_T1_lllT2_lllib ; -- Begin function _ZL40rocblas_trsm_block_backward_substitutionI19rocblas_complex_numIfES1_PKS1_PS1_Lb0ELb1ELb1EEv18rocblas_operation_llT0_T1_lllT2_lllib
	.p2align	8
	.type	_ZL40rocblas_trsm_block_backward_substitutionI19rocblas_complex_numIfES1_PKS1_PS1_Lb0ELb1ELb1EEv18rocblas_operation_llT0_T1_lllT2_lllib,@function
_ZL40rocblas_trsm_block_backward_substitutionI19rocblas_complex_numIfES1_PKS1_PS1_Lb0ELb1ELb1EEv18rocblas_operation_llT0_T1_lllT2_lllib: ; @_ZL40rocblas_trsm_block_backward_substitutionI19rocblas_complex_numIfES1_PKS1_PS1_Lb0ELb1ELb1EEv18rocblas_operation_llT0_T1_lllT2_lllib
; %bb.0:
	s_load_dwordx16 s[12:27], s[4:5], 0x20
	s_load_dwordx4 s[28:31], s[4:5], 0x8
	s_load_dwordx2 s[10:11], s[4:5], 0x18
	s_load_dword s9, s[4:5], 0x64
	s_load_dword s6, s[4:5], 0x74
	v_mov_b32_e32 v2, v1
	s_waitcnt lgkmcnt(0)
	s_mul_i32 s0, s19, s8
	s_mul_hi_u32 s1, s18, s8
	s_add_i32 s1, s1, s0
	s_mul_i32 s0, s18, s8
	s_lshl_b64 s[0:1], s[0:1], 3
	s_add_u32 s2, s12, s0
	s_addc_u32 s3, s13, s1
	s_lshl_b64 s[0:1], s[14:15], 3
	s_add_u32 s2, s2, s0
	s_addc_u32 s3, s3, s1
	s_add_u32 s18, s4, 0x68
	s_addc_u32 s19, s5, 0
	s_lshr_b32 s6, s6, 16
	s_bitcmp0_b32 s9, 0
	s_mov_b64 s[14:15], 1
	s_cbranch_scc1 .LBB185_6
; %bb.1:
	s_lshl_b32 s0, s6, 3
	s_add_i32 s34, s0, 0
	v_cmp_lt_i64_e64 s[0:1], s[28:29], 1
	s_mov_b64 s[12:13], 1
	s_and_b64 vcc, exec, s[0:1]
	s_cbranch_vccnz .LBB185_7
; %bb.2:
	v_mad_u64_u32 v[3:4], s[0:1], s16, v0, 0
	v_lshl_add_u32 v5, v0, 3, s34
	s_mov_b32 s9, 0
	v_mov_b32_e32 v1, v4
	v_mad_u64_u32 v[6:7], s[0:1], s17, v0, v[1:2]
	v_mov_b32_e32 v1, 0
	v_mov_b32_e32 v7, s3
	;; [unrolled: 1-line block ×3, first 2 shown]
	v_lshlrev_b64 v[3:4], 3, v[3:4]
	v_cmp_gt_u64_e64 s[0:1], s[28:29], v[0:1]
	v_add_co_u32_e32 v1, vcc, s2, v3
	v_addc_co_u32_e32 v6, vcc, v7, v4, vcc
	s_branch .LBB185_4
.LBB185_3:                              ;   in Loop: Header=BB185_4 Depth=1
	s_or_b64 exec, exec, s[2:3]
	s_add_i32 s9, s9, s6
	s_ashr_i32 s2, s9, 31
	v_mov_b32_e32 v3, s9
	v_mov_b32_e32 v4, s2
	v_cmp_le_i64_e32 vcc, s[28:29], v[3:4]
	s_cbranch_vccnz .LBB185_7
.LBB185_4:                              ; =>This Inner Loop Header: Depth=1
	v_add_u32_e32 v3, s9, v2
	v_ashrrev_i32_e32 v4, 31, v3
	v_cmp_gt_i64_e32 vcc, s[28:29], v[3:4]
	v_cmp_lt_i32_e64 s[2:3], v0, v3
	s_and_b64 s[2:3], s[2:3], vcc
	s_and_b64 s[14:15], s[0:1], s[2:3]
	s_and_saveexec_b64 s[2:3], s[14:15]
	s_cbranch_execz .LBB185_3
; %bb.5:                                ;   in Loop: Header=BB185_4 Depth=1
	v_lshlrev_b64 v[7:8], 3, v[3:4]
	s_load_dword s14, s[18:19], 0xc
	v_add_co_u32_e32 v7, vcc, v1, v7
	v_addc_co_u32_e32 v8, vcc, v6, v8, vcc
	global_load_dwordx2 v[7:8], v[7:8], off
	s_waitcnt lgkmcnt(0)
	s_and_b32 s14, s14, 0xffff
	v_mul_lo_u32 v3, v3, s14
	v_lshl_add_u32 v3, v3, 3, v5
	s_waitcnt vmcnt(0)
	ds_write_b64 v3, v[7:8]
	s_branch .LBB185_3
.LBB185_6:
	s_mov_b64 s[12:13], s[16:17]
	s_branch .LBB185_8
.LBB185_7:
	s_mov_b64 s[0:1], src_shared_base
	s_load_dword s0, s[18:19], 0xc
	s_mov_b32 s35, s1
	s_mov_b64 s[2:3], s[34:35]
	s_waitcnt lgkmcnt(0)
	s_and_b32 s14, s0, 0xffff
.LBB185_8:
	s_mul_i32 s7, s7, s6
	v_add_u32_e32 v3, s7, v2
	v_mov_b32_e32 v4, 0
	v_cmp_gt_i64_e32 vcc, s[30:31], v[3:4]
	s_and_saveexec_b64 s[0:1], vcc
	s_cbranch_execz .LBB185_23
; %bb.9:
	v_mov_b32_e32 v1, v4
	v_cmp_gt_i64_e32 vcc, s[28:29], v[0:1]
	s_and_b64 exec, exec, vcc
	s_cbranch_execz .LBB185_23
; %bb.10:
	s_mul_i32 s0, s27, s8
	s_mul_hi_u32 s1, s26, s8
	v_mad_u64_u32 v[4:5], s[6:7], s24, v3, 0
	s_add_i32 s1, s1, s0
	s_mul_i32 s0, s26, s8
	s_lshl_b64 s[0:1], s[0:1], 3
	s_add_u32 s6, s20, s0
	s_addc_u32 s7, s21, s1
	v_mad_u64_u32 v[5:6], s[0:1], s25, v3, v[5:6]
	s_lshl_b64 s[0:1], s[22:23], 3
	s_add_u32 s0, s6, s0
	v_lshlrev_b64 v[3:4], 3, v[4:5]
	s_addc_u32 s1, s7, s1
	v_mov_b32_e32 v5, s1
	v_add_co_u32_e32 v3, vcc, s0, v3
	v_addc_co_u32_e32 v4, vcc, v5, v4, vcc
	v_lshlrev_b32_e32 v5, 3, v0
	v_add_co_u32_e32 v3, vcc, v3, v5
	v_addc_co_u32_e32 v4, vcc, 0, v4, vcc
	global_load_dwordx2 v[7:8], v[3:4], off
	v_cmp_lt_u64_e64 s[0:1], s[28:29], 2
	s_and_b64 vcc, exec, s[0:1]
	s_waitcnt vmcnt(0)
	v_mul_f32_e32 v5, s11, v8
	v_mul_f32_e32 v6, s10, v8
	v_fma_f32 v5, s10, v7, -v5
	v_fmac_f32_e32 v6, s11, v7
	s_cbranch_vccnz .LBB185_22
; %bb.11:
	s_load_dword s4, s[4:5], 0x0
	v_mad_u64_u32 v[7:8], s[0:1], s12, v0, 0
	v_lshl_add_u32 v2, v2, 3, 0
	v_mad_u64_u32 v[8:9], s[0:1], s13, v0, v[8:9]
	s_waitcnt lgkmcnt(0)
	s_cmpk_lg_i32 s4, 0x71
	s_cselect_b64 s[0:1], -1, 0
	s_add_u32 s4, s28, -1
	s_addc_u32 s5, s29, -1
	s_mul_i32 s6, s14, s5
	s_mul_hi_u32 s7, s14, s4
	s_add_i32 s7, s7, s6
	s_mul_i32 s6, s14, s4
	s_lshl_b64 s[6:7], s[6:7], 3
	v_lshlrev_b64 v[7:8], 3, v[7:8]
	s_add_u32 s2, s2, s6
	s_addc_u32 s3, s3, s7
	v_add_co_u32_e32 v7, vcc, s2, v7
	s_lshl_b32 s2, s14, 3
	v_mov_b32_e32 v9, s3
	s_sub_u32 s8, 0, s2
	v_addc_co_u32_e32 v8, vcc, v9, v8, vcc
	s_subb_u32 s9, 0, 0
.LBB185_12:                             ; =>This Inner Loop Header: Depth=1
	v_cmp_eq_u64_e32 vcc, s[4:5], v[0:1]
	s_barrier
	s_and_saveexec_b64 s[2:3], vcc
; %bb.13:                               ;   in Loop: Header=BB185_12 Depth=1
	ds_write_b64 v2, v[5:6]
; %bb.14:                               ;   in Loop: Header=BB185_12 Depth=1
	s_or_b64 exec, exec, s[2:3]
	v_cmp_gt_i64_e32 vcc, s[4:5], v[0:1]
	s_waitcnt lgkmcnt(0)
	s_barrier
	s_and_saveexec_b64 s[2:3], vcc
	s_cbranch_execz .LBB185_20
; %bb.15:                               ;   in Loop: Header=BB185_12 Depth=1
	s_mov_b64 s[6:7], -1
	s_and_b64 vcc, exec, s[0:1]
                                        ; implicit-def: $vgpr9
	s_cbranch_vccz .LBB185_17
; %bb.16:                               ;   in Loop: Header=BB185_12 Depth=1
	flat_load_dwordx2 v[9:10], v[7:8]
	s_mov_b64 s[6:7], 0
.LBB185_17:                             ;   in Loop: Header=BB185_12 Depth=1
	s_andn2_b64 vcc, exec, s[6:7]
	s_cbranch_vccnz .LBB185_19
; %bb.18:                               ;   in Loop: Header=BB185_12 Depth=1
	s_waitcnt vmcnt(0) lgkmcnt(0)
	flat_load_dwordx2 v[9:10], v[7:8]
	s_waitcnt vmcnt(0) lgkmcnt(0)
	v_xor_b32_e32 v10, 0x80000000, v10
.LBB185_19:                             ;   in Loop: Header=BB185_12 Depth=1
	ds_read_b64 v[11:12], v2
	s_waitcnt vmcnt(0) lgkmcnt(0)
	v_mul_f32_e32 v13, v10, v12
	v_mul_f32_e32 v12, v12, v9
	v_fma_f32 v9, v11, v9, -v13
	v_fmac_f32_e32 v12, v10, v11
	v_sub_f32_e32 v5, v5, v9
	v_sub_f32_e32 v6, v6, v12
.LBB185_20:                             ;   in Loop: Header=BB185_12 Depth=1
	s_or_b64 exec, exec, s[2:3]
	s_add_u32 s2, s4, -1
	s_addc_u32 s3, s5, -1
	s_add_u32 s4, s4, 1
	s_addc_u32 s5, s5, 0
	v_mov_b32_e32 v9, s9
	v_cmp_lt_u64_e64 s[4:5], s[4:5], 3
	v_add_co_u32_e32 v7, vcc, s8, v7
	v_addc_co_u32_e32 v8, vcc, v8, v9, vcc
	s_and_b64 vcc, exec, s[4:5]
	s_cbranch_vccnz .LBB185_22
; %bb.21:                               ;   in Loop: Header=BB185_12 Depth=1
	s_mov_b64 s[4:5], s[2:3]
	s_branch .LBB185_12
.LBB185_22:
	global_store_dwordx2 v[3:4], v[5:6], off
.LBB185_23:
	s_endpgm
	.section	.rodata,"a",@progbits
	.p2align	6, 0x0
	.amdhsa_kernel _ZL40rocblas_trsm_block_backward_substitutionI19rocblas_complex_numIfES1_PKS1_PS1_Lb0ELb1ELb1EEv18rocblas_operation_llT0_T1_lllT2_lllib
		.amdhsa_group_segment_fixed_size 0
		.amdhsa_private_segment_fixed_size 0
		.amdhsa_kernarg_size 360
		.amdhsa_user_sgpr_count 6
		.amdhsa_user_sgpr_private_segment_buffer 1
		.amdhsa_user_sgpr_dispatch_ptr 0
		.amdhsa_user_sgpr_queue_ptr 0
		.amdhsa_user_sgpr_kernarg_segment_ptr 1
		.amdhsa_user_sgpr_dispatch_id 0
		.amdhsa_user_sgpr_flat_scratch_init 0
		.amdhsa_user_sgpr_private_segment_size 0
		.amdhsa_uses_dynamic_stack 0
		.amdhsa_system_sgpr_private_segment_wavefront_offset 0
		.amdhsa_system_sgpr_workgroup_id_x 1
		.amdhsa_system_sgpr_workgroup_id_y 1
		.amdhsa_system_sgpr_workgroup_id_z 1
		.amdhsa_system_sgpr_workgroup_info 0
		.amdhsa_system_vgpr_workitem_id 1
		.amdhsa_next_free_vgpr 14
		.amdhsa_next_free_sgpr 36
		.amdhsa_reserve_vcc 1
		.amdhsa_reserve_flat_scratch 0
		.amdhsa_float_round_mode_32 0
		.amdhsa_float_round_mode_16_64 0
		.amdhsa_float_denorm_mode_32 3
		.amdhsa_float_denorm_mode_16_64 3
		.amdhsa_dx10_clamp 1
		.amdhsa_ieee_mode 1
		.amdhsa_fp16_overflow 0
		.amdhsa_exception_fp_ieee_invalid_op 0
		.amdhsa_exception_fp_denorm_src 0
		.amdhsa_exception_fp_ieee_div_zero 0
		.amdhsa_exception_fp_ieee_overflow 0
		.amdhsa_exception_fp_ieee_underflow 0
		.amdhsa_exception_fp_ieee_inexact 0
		.amdhsa_exception_int_div_zero 0
	.end_amdhsa_kernel
	.section	.text._ZL40rocblas_trsm_block_backward_substitutionI19rocblas_complex_numIfES1_PKS1_PS1_Lb0ELb1ELb1EEv18rocblas_operation_llT0_T1_lllT2_lllib,"axG",@progbits,_ZL40rocblas_trsm_block_backward_substitutionI19rocblas_complex_numIfES1_PKS1_PS1_Lb0ELb1ELb1EEv18rocblas_operation_llT0_T1_lllT2_lllib,comdat
.Lfunc_end185:
	.size	_ZL40rocblas_trsm_block_backward_substitutionI19rocblas_complex_numIfES1_PKS1_PS1_Lb0ELb1ELb1EEv18rocblas_operation_llT0_T1_lllT2_lllib, .Lfunc_end185-_ZL40rocblas_trsm_block_backward_substitutionI19rocblas_complex_numIfES1_PKS1_PS1_Lb0ELb1ELb1EEv18rocblas_operation_llT0_T1_lllT2_lllib
                                        ; -- End function
	.set _ZL40rocblas_trsm_block_backward_substitutionI19rocblas_complex_numIfES1_PKS1_PS1_Lb0ELb1ELb1EEv18rocblas_operation_llT0_T1_lllT2_lllib.num_vgpr, 14
	.set _ZL40rocblas_trsm_block_backward_substitutionI19rocblas_complex_numIfES1_PKS1_PS1_Lb0ELb1ELb1EEv18rocblas_operation_llT0_T1_lllT2_lllib.num_agpr, 0
	.set _ZL40rocblas_trsm_block_backward_substitutionI19rocblas_complex_numIfES1_PKS1_PS1_Lb0ELb1ELb1EEv18rocblas_operation_llT0_T1_lllT2_lllib.numbered_sgpr, 36
	.set _ZL40rocblas_trsm_block_backward_substitutionI19rocblas_complex_numIfES1_PKS1_PS1_Lb0ELb1ELb1EEv18rocblas_operation_llT0_T1_lllT2_lllib.num_named_barrier, 0
	.set _ZL40rocblas_trsm_block_backward_substitutionI19rocblas_complex_numIfES1_PKS1_PS1_Lb0ELb1ELb1EEv18rocblas_operation_llT0_T1_lllT2_lllib.private_seg_size, 0
	.set _ZL40rocblas_trsm_block_backward_substitutionI19rocblas_complex_numIfES1_PKS1_PS1_Lb0ELb1ELb1EEv18rocblas_operation_llT0_T1_lllT2_lllib.uses_vcc, 1
	.set _ZL40rocblas_trsm_block_backward_substitutionI19rocblas_complex_numIfES1_PKS1_PS1_Lb0ELb1ELb1EEv18rocblas_operation_llT0_T1_lllT2_lllib.uses_flat_scratch, 0
	.set _ZL40rocblas_trsm_block_backward_substitutionI19rocblas_complex_numIfES1_PKS1_PS1_Lb0ELb1ELb1EEv18rocblas_operation_llT0_T1_lllT2_lllib.has_dyn_sized_stack, 0
	.set _ZL40rocblas_trsm_block_backward_substitutionI19rocblas_complex_numIfES1_PKS1_PS1_Lb0ELb1ELb1EEv18rocblas_operation_llT0_T1_lllT2_lllib.has_recursion, 0
	.set _ZL40rocblas_trsm_block_backward_substitutionI19rocblas_complex_numIfES1_PKS1_PS1_Lb0ELb1ELb1EEv18rocblas_operation_llT0_T1_lllT2_lllib.has_indirect_call, 0
	.section	.AMDGPU.csdata,"",@progbits
; Kernel info:
; codeLenInByte = 892
; TotalNumSgprs: 40
; NumVgprs: 14
; ScratchSize: 0
; MemoryBound: 0
; FloatMode: 240
; IeeeMode: 1
; LDSByteSize: 0 bytes/workgroup (compile time only)
; SGPRBlocks: 4
; VGPRBlocks: 3
; NumSGPRsForWavesPerEU: 40
; NumVGPRsForWavesPerEU: 14
; Occupancy: 10
; WaveLimiterHint : 1
; COMPUTE_PGM_RSRC2:SCRATCH_EN: 0
; COMPUTE_PGM_RSRC2:USER_SGPR: 6
; COMPUTE_PGM_RSRC2:TRAP_HANDLER: 0
; COMPUTE_PGM_RSRC2:TGID_X_EN: 1
; COMPUTE_PGM_RSRC2:TGID_Y_EN: 1
; COMPUTE_PGM_RSRC2:TGID_Z_EN: 1
; COMPUTE_PGM_RSRC2:TIDIG_COMP_CNT: 1
	.section	.text._ZL39rocblas_trsm_block_forward_substitutionI19rocblas_complex_numIfES1_PKS1_PS1_Lb1ELb1ELb0EEv18rocblas_operation_llT0_T1_lllT2_lllib,"axG",@progbits,_ZL39rocblas_trsm_block_forward_substitutionI19rocblas_complex_numIfES1_PKS1_PS1_Lb1ELb1ELb0EEv18rocblas_operation_llT0_T1_lllT2_lllib,comdat
	.globl	_ZL39rocblas_trsm_block_forward_substitutionI19rocblas_complex_numIfES1_PKS1_PS1_Lb1ELb1ELb0EEv18rocblas_operation_llT0_T1_lllT2_lllib ; -- Begin function _ZL39rocblas_trsm_block_forward_substitutionI19rocblas_complex_numIfES1_PKS1_PS1_Lb1ELb1ELb0EEv18rocblas_operation_llT0_T1_lllT2_lllib
	.p2align	8
	.type	_ZL39rocblas_trsm_block_forward_substitutionI19rocblas_complex_numIfES1_PKS1_PS1_Lb1ELb1ELb0EEv18rocblas_operation_llT0_T1_lllT2_lllib,@function
_ZL39rocblas_trsm_block_forward_substitutionI19rocblas_complex_numIfES1_PKS1_PS1_Lb1ELb1ELb0EEv18rocblas_operation_llT0_T1_lllT2_lllib: ; @_ZL39rocblas_trsm_block_forward_substitutionI19rocblas_complex_numIfES1_PKS1_PS1_Lb1ELb1ELb0EEv18rocblas_operation_llT0_T1_lllT2_lllib
; %bb.0:
	s_load_dword s0, s[4:5], 0x64
	s_load_dwordx4 s[28:31], s[4:5], 0x8
	s_load_dwordx2 s[34:35], s[4:5], 0x18
	s_load_dwordx16 s[12:27], s[4:5], 0x20
	s_load_dword s6, s[4:5], 0x74
	s_waitcnt lgkmcnt(0)
	s_bitcmp1_b32 s0, 0
	s_cselect_b64 s[0:1], -1, 0
	s_xor_b64 s[2:3], s[0:1], -1
	s_mul_i32 s0, s19, s8
	s_mul_hi_u32 s1, s18, s8
	s_add_i32 s1, s1, s0
	s_mul_i32 s0, s18, s8
	s_lshl_b64 s[0:1], s[0:1], 3
	s_add_u32 s9, s12, s0
	s_addc_u32 s10, s13, s1
	s_lshl_b64 s[0:1], s[14:15], 3
	s_add_u32 s0, s9, s0
	s_addc_u32 s1, s10, s1
	s_add_u32 s14, s4, 0x68
	v_mov_b32_e32 v2, v1
	s_addc_u32 s15, s5, 0
	s_lshr_b32 s6, s6, 16
	s_mov_b64 s[12:13], 1
	s_and_b64 vcc, exec, s[2:3]
	s_cbranch_vccnz .LBB186_14
; %bb.1:
	v_cmp_lt_i64_e64 s[12:13], s[28:29], 1
	s_lshl_b32 s9, s6, 3
	s_add_i32 s18, s9, 0
	s_mov_b64 s[10:11], 1
	s_and_b64 vcc, exec, s[12:13]
	s_cbranch_vccnz .LBB186_15
; %bb.2:
	v_mad_u64_u32 v[3:4], s[12:13], s16, v0, 0
	v_lshlrev_b32_e32 v6, 3, v0
	v_add_u32_e32 v10, s18, v6
	v_mov_b32_e32 v1, v4
	v_mad_u64_u32 v[4:5], s[12:13], s17, v0, v[1:2]
	v_mov_b32_e32 v1, 0
	v_cmp_le_u64_e32 vcc, s[28:29], v[0:1]
	v_lshlrev_b64 v[3:4], 3, v[3:4]
	v_mov_b32_e32 v5, s1
	v_add_co_u32_e64 v1, s[0:1], s0, v3
	v_addc_co_u32_e64 v11, s[0:1], v5, v4, s[0:1]
	v_add_co_u32_e64 v3, s[0:1], v1, v6
	v_addc_co_u32_e64 v4, s[0:1], 0, v11, s[0:1]
	s_xor_b64 s[0:1], vcc, -1
	s_mov_b32 s9, s6
	v_mov_b32_e32 v5, v2
	s_branch .LBB186_6
.LBB186_3:                              ;   in Loop: Header=BB186_6 Depth=1
	s_or_b64 exec, exec, s[36:37]
	s_load_dword s19, s[14:15], 0xc
	s_waitcnt lgkmcnt(0)
	s_and_b32 s19, s19, 0xffff
	v_mul_u32_u24_e32 v6, s19, v0
	v_lshl_add_u32 v6, v6, 3, v10
	ds_write_b64 v6, v[8:9]
.LBB186_4:                              ;   in Loop: Header=BB186_6 Depth=1
	s_or_b64 exec, exec, s[16:17]
.LBB186_5:                              ;   in Loop: Header=BB186_6 Depth=1
	s_or_b64 exec, exec, s[12:13]
	s_ashr_i32 s12, s9, 31
	v_mov_b32_e32 v6, s9
	v_mov_b32_e32 v7, s12
	v_cmp_le_i64_e32 vcc, s[28:29], v[6:7]
	v_add_u32_e32 v5, s6, v5
	s_add_i32 s9, s9, s6
	s_cbranch_vccnz .LBB186_15
.LBB186_6:                              ; =>This Inner Loop Header: Depth=1
	v_cmp_gt_i32_e32 vcc, v0, v5
	s_and_b64 s[12:13], s[0:1], vcc
	s_and_saveexec_b64 s[16:17], s[12:13]
	s_xor_b64 s[12:13], exec, s[16:17]
	s_cbranch_execz .LBB186_8
; %bb.7:                                ;   in Loop: Header=BB186_6 Depth=1
	v_ashrrev_i32_e32 v6, 31, v5
	v_lshlrev_b64 v[6:7], 3, v[5:6]
	s_load_dword s16, s[14:15], 0xc
	v_add_co_u32_e32 v6, vcc, v1, v6
	v_addc_co_u32_e32 v7, vcc, v11, v7, vcc
	global_load_dwordx2 v[6:7], v[6:7], off
	s_waitcnt lgkmcnt(0)
	s_and_b32 s16, s16, 0xffff
	v_mul_lo_u32 v8, v5, s16
	v_lshl_add_u32 v8, v8, 3, v10
	s_waitcnt vmcnt(0)
	ds_write_b64 v8, v[6:7]
.LBB186_8:                              ;   in Loop: Header=BB186_6 Depth=1
	s_andn2_saveexec_b64 s[12:13], s[12:13]
	s_cbranch_execz .LBB186_5
; %bb.9:                                ;   in Loop: Header=BB186_6 Depth=1
	v_cmp_eq_u32_e32 vcc, v0, v5
	s_and_b64 s[36:37], s[0:1], vcc
	s_and_saveexec_b64 s[16:17], s[36:37]
	s_cbranch_execz .LBB186_4
; %bb.10:                               ;   in Loop: Header=BB186_6 Depth=1
	global_load_dwordx2 v[6:7], v[3:4], off
                                        ; implicit-def: $vgpr8
	s_waitcnt vmcnt(0)
	v_cmp_ngt_f32_e64 s[36:37], |v6|, |v7|
	s_and_saveexec_b64 s[38:39], s[36:37]
	s_xor_b64 s[36:37], exec, s[38:39]
	s_cbranch_execz .LBB186_12
; %bb.11:                               ;   in Loop: Header=BB186_6 Depth=1
	v_div_scale_f32 v8, s[38:39], v7, v7, v6
	v_div_scale_f32 v9, vcc, v6, v7, v6
	v_rcp_f32_e32 v12, v8
	v_fma_f32 v13, -v8, v12, 1.0
	v_fmac_f32_e32 v12, v13, v12
	v_mul_f32_e32 v13, v9, v12
	v_fma_f32 v14, -v8, v13, v9
	v_fmac_f32_e32 v13, v14, v12
	v_fma_f32 v8, -v8, v13, v9
	v_div_fmas_f32 v8, v8, v12, v13
	v_div_fixup_f32 v8, v8, v7, v6
	v_fmac_f32_e32 v7, v6, v8
	v_div_scale_f32 v6, s[38:39], v7, v7, 1.0
	v_div_scale_f32 v9, vcc, 1.0, v7, 1.0
	v_rcp_f32_e32 v12, v6
	v_fma_f32 v13, -v6, v12, 1.0
	v_fmac_f32_e32 v12, v13, v12
	v_mul_f32_e32 v13, v9, v12
	v_fma_f32 v14, -v6, v13, v9
	v_fmac_f32_e32 v13, v14, v12
	v_fma_f32 v6, -v6, v13, v9
	v_div_fmas_f32 v6, v6, v12, v13
	v_div_fixup_f32 v6, v6, v7, 1.0
	v_mul_f32_e32 v8, v8, v6
	v_xor_b32_e32 v9, 0x80000000, v6
                                        ; implicit-def: $vgpr6_vgpr7
.LBB186_12:                             ;   in Loop: Header=BB186_6 Depth=1
	s_andn2_saveexec_b64 s[36:37], s[36:37]
	s_cbranch_execz .LBB186_3
; %bb.13:                               ;   in Loop: Header=BB186_6 Depth=1
	v_div_scale_f32 v8, s[38:39], v6, v6, v7
	v_div_scale_f32 v9, vcc, v7, v6, v7
	v_rcp_f32_e32 v12, v8
	v_fma_f32 v13, -v8, v12, 1.0
	v_fmac_f32_e32 v12, v13, v12
	v_mul_f32_e32 v13, v9, v12
	v_fma_f32 v14, -v8, v13, v9
	v_fmac_f32_e32 v13, v14, v12
	v_fma_f32 v8, -v8, v13, v9
	v_div_fmas_f32 v8, v8, v12, v13
	v_div_fixup_f32 v9, v8, v6, v7
	v_fmac_f32_e32 v6, v7, v9
	v_div_scale_f32 v7, s[38:39], v6, v6, 1.0
	v_div_scale_f32 v8, vcc, 1.0, v6, 1.0
	v_rcp_f32_e32 v12, v7
	v_fma_f32 v13, -v7, v12, 1.0
	v_fmac_f32_e32 v12, v13, v12
	v_mul_f32_e32 v13, v8, v12
	v_fma_f32 v14, -v7, v13, v8
	v_fmac_f32_e32 v13, v14, v12
	v_fma_f32 v7, -v7, v13, v8
	v_div_fmas_f32 v7, v7, v12, v13
	v_div_fixup_f32 v8, v7, v6, 1.0
	v_mul_f32_e64 v9, v9, -v8
	s_branch .LBB186_3
.LBB186_14:
	s_mov_b64 s[10:11], s[16:17]
	s_branch .LBB186_16
.LBB186_15:
	s_mov_b64 s[0:1], src_shared_base
	s_load_dword s0, s[14:15], 0xc
	s_mov_b32 s19, s1
	s_mov_b32 s13, 0
	s_waitcnt lgkmcnt(0)
	s_and_b32 s12, s0, 0xffff
	s_mov_b64 s[0:1], s[18:19]
.LBB186_16:
	s_mul_i32 s7, s7, s6
	v_add_u32_e32 v3, s7, v2
	v_mov_b32_e32 v4, 0
	v_cmp_gt_i64_e32 vcc, s[30:31], v[3:4]
	s_and_saveexec_b64 s[6:7], vcc
	s_cbranch_execz .LBB186_44
; %bb.17:
	v_mov_b32_e32 v1, v4
	v_cmp_gt_i64_e32 vcc, s[28:29], v[0:1]
	s_and_b64 exec, exec, vcc
	s_cbranch_execz .LBB186_44
; %bb.18:
	s_mul_i32 s6, s27, s8
	s_mul_hi_u32 s7, s26, s8
	s_add_i32 s7, s7, s6
	s_mul_i32 s6, s26, s8
	v_mad_u64_u32 v[5:6], s[8:9], s24, v0, 0
	s_lshl_b64 s[6:7], s[6:7], 3
	s_add_u32 s8, s20, s6
	s_addc_u32 s9, s21, s7
	v_mad_u64_u32 v[6:7], s[6:7], s25, v0, v[6:7]
	s_lshl_b64 s[6:7], s[22:23], 3
	s_add_u32 s6, s8, s6
	v_lshlrev_b64 v[5:6], 3, v[5:6]
	s_addc_u32 s7, s9, s7
	v_mov_b32_e32 v7, s7
	v_add_co_u32_e32 v5, vcc, s6, v5
	v_lshlrev_b64 v[3:4], 3, v[3:4]
	v_addc_co_u32_e32 v6, vcc, v7, v6, vcc
	v_add_co_u32_e32 v3, vcc, v5, v3
	v_addc_co_u32_e32 v4, vcc, v6, v4, vcc
	global_load_dwordx2 v[7:8], v[3:4], off
	v_cmp_lt_u64_e64 s[8:9], s[28:29], 2
	s_add_u32 s6, s28, -1
	s_addc_u32 s7, s29, -1
	s_and_b64 vcc, exec, s[8:9]
	s_waitcnt vmcnt(0)
	v_mul_f32_e32 v5, s35, v8
	v_mul_f32_e32 v6, s34, v8
	v_fma_f32 v5, s34, v7, -v5
	v_fmac_f32_e32 v6, s35, v7
	s_cbranch_vccnz .LBB186_35
; %bb.19:
	s_load_dword s4, s[4:5], 0x0
	v_mov_b32_e32 v14, s1
	v_lshl_add_u32 v2, v2, 3, 0
	s_waitcnt lgkmcnt(0)
	s_cmpk_lg_i32 s4, 0x71
	s_cselect_b64 s[4:5], -1, 0
	s_add_u32 s8, s12, s10
	v_mad_u64_u32 v[7:8], s[8:9], s8, v0, 0
	v_mad_u64_u32 v[9:10], s[8:9], s10, v0, 0
	s_addc_u32 s8, s13, s11
	s_lshl_b32 s18, s12, 3
	v_mad_u64_u32 v[11:12], s[8:9], s8, v0, v[8:9]
	v_mov_b32_e32 v8, v10
	v_mad_u64_u32 v[12:13], s[8:9], s11, v0, v[8:9]
	v_mov_b32_e32 v8, v11
	v_lshlrev_b64 v[7:8], 3, v[7:8]
	v_mov_b32_e32 v10, v12
	v_add_co_u32_e32 v7, vcc, s0, v7
	v_lshlrev_b64 v[9:10], 3, v[9:10]
	v_addc_co_u32_e32 v8, vcc, v14, v8, vcc
	v_add_co_u32_e32 v9, vcc, s0, v9
	v_addc_co_u32_e32 v10, vcc, v14, v10, vcc
	s_mov_b64 s[8:9], 0
	s_branch .LBB186_22
.LBB186_20:                             ;   in Loop: Header=BB186_22 Depth=1
	ds_read_b64 v[13:14], v2
	s_waitcnt vmcnt(0) lgkmcnt(0)
	v_mul_f32_e32 v15, v12, v14
	v_mul_f32_e32 v14, v14, v11
	v_fma_f32 v11, v13, v11, -v15
	v_fmac_f32_e32 v14, v12, v13
	v_sub_f32_e32 v5, v5, v11
	v_sub_f32_e32 v6, v6, v14
.LBB186_21:                             ;   in Loop: Header=BB186_22 Depth=1
	s_or_b64 exec, exec, s[14:15]
	s_add_u32 s8, s8, 1
	s_addc_u32 s9, s9, 0
	v_add_co_u32_e32 v9, vcc, s18, v9
	s_cmp_eq_u64 s[6:7], s[8:9]
	v_addc_co_u32_e32 v10, vcc, 0, v10, vcc
	s_cbranch_scc1 .LBB186_35
.LBB186_22:                             ; =>This Inner Loop Header: Depth=1
	v_cmp_eq_u64_e32 vcc, s[8:9], v[0:1]
	s_barrier
	s_and_saveexec_b64 s[14:15], vcc
	s_cbranch_execz .LBB186_30
; %bb.23:                               ;   in Loop: Header=BB186_22 Depth=1
	flat_load_dwordx2 v[11:12], v[7:8]
	s_andn2_b64 vcc, exec, s[2:3]
	s_cbranch_vccnz .LBB186_29
; %bb.24:                               ;   in Loop: Header=BB186_22 Depth=1
	s_waitcnt vmcnt(0) lgkmcnt(0)
	v_cmp_ngt_f32_e64 s[16:17], |v11|, |v12|
	s_and_saveexec_b64 s[20:21], s[16:17]
	s_xor_b64 s[16:17], exec, s[20:21]
	s_cbranch_execz .LBB186_26
; %bb.25:                               ;   in Loop: Header=BB186_22 Depth=1
	v_div_scale_f32 v13, s[20:21], v12, v12, v11
	v_div_scale_f32 v14, vcc, v11, v12, v11
	v_rcp_f32_e32 v15, v13
	v_fma_f32 v16, -v13, v15, 1.0
	v_fmac_f32_e32 v15, v16, v15
	v_mul_f32_e32 v16, v14, v15
	v_fma_f32 v17, -v13, v16, v14
	v_fmac_f32_e32 v16, v17, v15
	v_fma_f32 v13, -v13, v16, v14
	v_div_fmas_f32 v13, v13, v15, v16
	v_div_fixup_f32 v13, v13, v12, v11
	v_fmac_f32_e32 v12, v11, v13
	v_div_scale_f32 v11, s[20:21], v12, v12, 1.0
	v_div_scale_f32 v14, vcc, 1.0, v12, 1.0
	v_rcp_f32_e32 v15, v11
	v_fma_f32 v16, -v11, v15, 1.0
	v_fmac_f32_e32 v15, v16, v15
	v_mul_f32_e32 v16, v14, v15
	v_fma_f32 v17, -v11, v16, v14
	v_fmac_f32_e32 v16, v17, v15
	v_fma_f32 v11, -v11, v16, v14
	v_div_fmas_f32 v11, v11, v15, v16
	v_div_fixup_f32 v12, v11, v12, 1.0
	v_mul_f32_e32 v11, v13, v12
	v_xor_b32_e32 v12, 0x80000000, v12
.LBB186_26:                             ;   in Loop: Header=BB186_22 Depth=1
	s_andn2_saveexec_b64 s[16:17], s[16:17]
	s_cbranch_execz .LBB186_28
; %bb.27:                               ;   in Loop: Header=BB186_22 Depth=1
	v_div_scale_f32 v13, s[20:21], v11, v11, v12
	v_div_scale_f32 v14, vcc, v12, v11, v12
	v_rcp_f32_e32 v15, v13
	v_fma_f32 v16, -v13, v15, 1.0
	v_fmac_f32_e32 v15, v16, v15
	v_mul_f32_e32 v16, v14, v15
	v_fma_f32 v17, -v13, v16, v14
	v_fmac_f32_e32 v16, v17, v15
	v_fma_f32 v13, -v13, v16, v14
	v_div_fmas_f32 v13, v13, v15, v16
	v_div_fixup_f32 v13, v13, v11, v12
	v_fmac_f32_e32 v11, v12, v13
	v_div_scale_f32 v12, s[20:21], v11, v11, 1.0
	v_div_scale_f32 v14, vcc, 1.0, v11, 1.0
	v_rcp_f32_e32 v15, v12
	v_fma_f32 v16, -v12, v15, 1.0
	v_fmac_f32_e32 v15, v16, v15
	v_mul_f32_e32 v16, v14, v15
	v_fma_f32 v17, -v12, v16, v14
	v_fmac_f32_e32 v16, v17, v15
	v_fma_f32 v12, -v12, v16, v14
	v_div_fmas_f32 v12, v12, v15, v16
	v_div_fixup_f32 v11, v12, v11, 1.0
	v_mul_f32_e64 v12, v13, -v11
.LBB186_28:                             ;   in Loop: Header=BB186_22 Depth=1
	s_or_b64 exec, exec, s[16:17]
.LBB186_29:                             ;   in Loop: Header=BB186_22 Depth=1
	s_waitcnt vmcnt(0) lgkmcnt(0)
	v_mul_f32_e32 v13, v6, v12
	v_mul_f32_e32 v14, v5, v12
	v_fma_f32 v13, v5, v11, -v13
	v_fmac_f32_e32 v14, v6, v11
	v_mov_b32_e32 v6, v14
	v_mov_b32_e32 v5, v13
	ds_write_b64 v2, v[13:14]
.LBB186_30:                             ;   in Loop: Header=BB186_22 Depth=1
	s_or_b64 exec, exec, s[14:15]
	v_cmp_lt_u64_e32 vcc, s[8:9], v[0:1]
	s_waitcnt lgkmcnt(0)
	s_barrier
	s_and_saveexec_b64 s[14:15], vcc
	s_cbranch_execz .LBB186_21
; %bb.31:                               ;   in Loop: Header=BB186_22 Depth=1
	s_mov_b64 s[16:17], -1
	s_and_b64 vcc, exec, s[4:5]
                                        ; implicit-def: $vgpr11
	s_cbranch_vccz .LBB186_33
; %bb.32:                               ;   in Loop: Header=BB186_22 Depth=1
	flat_load_dwordx2 v[11:12], v[9:10]
	s_mov_b64 s[16:17], 0
.LBB186_33:                             ;   in Loop: Header=BB186_22 Depth=1
	s_andn2_b64 vcc, exec, s[16:17]
	s_cbranch_vccnz .LBB186_20
; %bb.34:                               ;   in Loop: Header=BB186_22 Depth=1
	s_waitcnt vmcnt(0) lgkmcnt(0)
	flat_load_dwordx2 v[11:12], v[9:10]
	s_waitcnt vmcnt(0) lgkmcnt(0)
	v_xor_b32_e32 v12, 0x80000000, v12
	s_branch .LBB186_20
.LBB186_35:
	v_cmp_eq_u64_e32 vcc, s[6:7], v[0:1]
	s_and_saveexec_b64 s[4:5], vcc
	s_cbranch_execz .LBB186_43
; %bb.36:
	s_add_u32 s6, s12, s10
	v_mad_u64_u32 v[1:2], s[6:7], s6, v0, 0
	s_addc_u32 s6, s13, s11
	v_mad_u64_u32 v[7:8], s[6:7], s6, v0, v[2:3]
	v_mov_b32_e32 v8, s1
	v_mov_b32_e32 v2, v7
	v_lshlrev_b64 v[0:1], 3, v[1:2]
	v_add_co_u32_e32 v0, vcc, s0, v0
	v_addc_co_u32_e32 v1, vcc, v8, v1, vcc
	flat_load_dwordx2 v[0:1], v[0:1]
	s_andn2_b64 vcc, exec, s[2:3]
	s_cbranch_vccnz .LBB186_42
; %bb.37:
	s_waitcnt vmcnt(0) lgkmcnt(0)
	v_cmp_ngt_f32_e64 s[0:1], |v0|, |v1|
	s_and_saveexec_b64 s[2:3], s[0:1]
	s_xor_b64 s[0:1], exec, s[2:3]
	s_cbranch_execz .LBB186_39
; %bb.38:
	v_div_scale_f32 v2, s[2:3], v1, v1, v0
	v_div_scale_f32 v7, vcc, v0, v1, v0
	v_rcp_f32_e32 v8, v2
	v_fma_f32 v9, -v2, v8, 1.0
	v_fmac_f32_e32 v8, v9, v8
	v_mul_f32_e32 v9, v7, v8
	v_fma_f32 v10, -v2, v9, v7
	v_fmac_f32_e32 v9, v10, v8
	v_fma_f32 v2, -v2, v9, v7
	v_div_fmas_f32 v2, v2, v8, v9
	v_div_fixup_f32 v2, v2, v1, v0
	v_fmac_f32_e32 v1, v0, v2
	v_div_scale_f32 v0, s[2:3], v1, v1, 1.0
	v_div_scale_f32 v7, vcc, 1.0, v1, 1.0
	v_rcp_f32_e32 v8, v0
	v_fma_f32 v9, -v0, v8, 1.0
	v_fmac_f32_e32 v8, v9, v8
	v_mul_f32_e32 v9, v7, v8
	v_fma_f32 v10, -v0, v9, v7
	v_fmac_f32_e32 v9, v10, v8
	v_fma_f32 v0, -v0, v9, v7
	v_div_fmas_f32 v0, v0, v8, v9
	v_div_fixup_f32 v1, v0, v1, 1.0
	v_mul_f32_e32 v0, v2, v1
	v_xor_b32_e32 v1, 0x80000000, v1
.LBB186_39:
	s_andn2_saveexec_b64 s[0:1], s[0:1]
	s_cbranch_execz .LBB186_41
; %bb.40:
	v_div_scale_f32 v2, s[2:3], v0, v0, v1
	v_div_scale_f32 v7, vcc, v1, v0, v1
	v_rcp_f32_e32 v8, v2
	v_fma_f32 v9, -v2, v8, 1.0
	v_fmac_f32_e32 v8, v9, v8
	v_mul_f32_e32 v9, v7, v8
	v_fma_f32 v10, -v2, v9, v7
	v_fmac_f32_e32 v9, v10, v8
	v_fma_f32 v2, -v2, v9, v7
	v_div_fmas_f32 v2, v2, v8, v9
	v_div_fixup_f32 v2, v2, v0, v1
	v_fmac_f32_e32 v0, v1, v2
	v_div_scale_f32 v1, s[2:3], v0, v0, 1.0
	v_div_scale_f32 v7, vcc, 1.0, v0, 1.0
	v_rcp_f32_e32 v8, v1
	v_fma_f32 v9, -v1, v8, 1.0
	v_fmac_f32_e32 v8, v9, v8
	v_mul_f32_e32 v9, v7, v8
	v_fma_f32 v10, -v1, v9, v7
	v_fmac_f32_e32 v9, v10, v8
	v_fma_f32 v1, -v1, v9, v7
	v_div_fmas_f32 v1, v1, v8, v9
	v_div_fixup_f32 v0, v1, v0, 1.0
	v_mul_f32_e64 v1, v2, -v0
.LBB186_41:
	s_or_b64 exec, exec, s[0:1]
.LBB186_42:
	s_waitcnt vmcnt(0) lgkmcnt(0)
	v_mul_f32_e32 v2, v6, v1
	v_fma_f32 v2, v5, v0, -v2
	v_mul_f32_e32 v6, v6, v0
	v_fmac_f32_e32 v6, v5, v1
	v_mov_b32_e32 v5, v2
.LBB186_43:
	s_or_b64 exec, exec, s[4:5]
	global_store_dwordx2 v[3:4], v[5:6], off
.LBB186_44:
	s_endpgm
	.section	.rodata,"a",@progbits
	.p2align	6, 0x0
	.amdhsa_kernel _ZL39rocblas_trsm_block_forward_substitutionI19rocblas_complex_numIfES1_PKS1_PS1_Lb1ELb1ELb0EEv18rocblas_operation_llT0_T1_lllT2_lllib
		.amdhsa_group_segment_fixed_size 0
		.amdhsa_private_segment_fixed_size 0
		.amdhsa_kernarg_size 360
		.amdhsa_user_sgpr_count 6
		.amdhsa_user_sgpr_private_segment_buffer 1
		.amdhsa_user_sgpr_dispatch_ptr 0
		.amdhsa_user_sgpr_queue_ptr 0
		.amdhsa_user_sgpr_kernarg_segment_ptr 1
		.amdhsa_user_sgpr_dispatch_id 0
		.amdhsa_user_sgpr_flat_scratch_init 0
		.amdhsa_user_sgpr_private_segment_size 0
		.amdhsa_uses_dynamic_stack 0
		.amdhsa_system_sgpr_private_segment_wavefront_offset 0
		.amdhsa_system_sgpr_workgroup_id_x 1
		.amdhsa_system_sgpr_workgroup_id_y 1
		.amdhsa_system_sgpr_workgroup_id_z 1
		.amdhsa_system_sgpr_workgroup_info 0
		.amdhsa_system_vgpr_workitem_id 1
		.amdhsa_next_free_vgpr 18
		.amdhsa_next_free_sgpr 40
		.amdhsa_reserve_vcc 1
		.amdhsa_reserve_flat_scratch 0
		.amdhsa_float_round_mode_32 0
		.amdhsa_float_round_mode_16_64 0
		.amdhsa_float_denorm_mode_32 3
		.amdhsa_float_denorm_mode_16_64 3
		.amdhsa_dx10_clamp 1
		.amdhsa_ieee_mode 1
		.amdhsa_fp16_overflow 0
		.amdhsa_exception_fp_ieee_invalid_op 0
		.amdhsa_exception_fp_denorm_src 0
		.amdhsa_exception_fp_ieee_div_zero 0
		.amdhsa_exception_fp_ieee_overflow 0
		.amdhsa_exception_fp_ieee_underflow 0
		.amdhsa_exception_fp_ieee_inexact 0
		.amdhsa_exception_int_div_zero 0
	.end_amdhsa_kernel
	.section	.text._ZL39rocblas_trsm_block_forward_substitutionI19rocblas_complex_numIfES1_PKS1_PS1_Lb1ELb1ELb0EEv18rocblas_operation_llT0_T1_lllT2_lllib,"axG",@progbits,_ZL39rocblas_trsm_block_forward_substitutionI19rocblas_complex_numIfES1_PKS1_PS1_Lb1ELb1ELb0EEv18rocblas_operation_llT0_T1_lllT2_lllib,comdat
.Lfunc_end186:
	.size	_ZL39rocblas_trsm_block_forward_substitutionI19rocblas_complex_numIfES1_PKS1_PS1_Lb1ELb1ELb0EEv18rocblas_operation_llT0_T1_lllT2_lllib, .Lfunc_end186-_ZL39rocblas_trsm_block_forward_substitutionI19rocblas_complex_numIfES1_PKS1_PS1_Lb1ELb1ELb0EEv18rocblas_operation_llT0_T1_lllT2_lllib
                                        ; -- End function
	.set _ZL39rocblas_trsm_block_forward_substitutionI19rocblas_complex_numIfES1_PKS1_PS1_Lb1ELb1ELb0EEv18rocblas_operation_llT0_T1_lllT2_lllib.num_vgpr, 18
	.set _ZL39rocblas_trsm_block_forward_substitutionI19rocblas_complex_numIfES1_PKS1_PS1_Lb1ELb1ELb0EEv18rocblas_operation_llT0_T1_lllT2_lllib.num_agpr, 0
	.set _ZL39rocblas_trsm_block_forward_substitutionI19rocblas_complex_numIfES1_PKS1_PS1_Lb1ELb1ELb0EEv18rocblas_operation_llT0_T1_lllT2_lllib.numbered_sgpr, 40
	.set _ZL39rocblas_trsm_block_forward_substitutionI19rocblas_complex_numIfES1_PKS1_PS1_Lb1ELb1ELb0EEv18rocblas_operation_llT0_T1_lllT2_lllib.num_named_barrier, 0
	.set _ZL39rocblas_trsm_block_forward_substitutionI19rocblas_complex_numIfES1_PKS1_PS1_Lb1ELb1ELb0EEv18rocblas_operation_llT0_T1_lllT2_lllib.private_seg_size, 0
	.set _ZL39rocblas_trsm_block_forward_substitutionI19rocblas_complex_numIfES1_PKS1_PS1_Lb1ELb1ELb0EEv18rocblas_operation_llT0_T1_lllT2_lllib.uses_vcc, 1
	.set _ZL39rocblas_trsm_block_forward_substitutionI19rocblas_complex_numIfES1_PKS1_PS1_Lb1ELb1ELb0EEv18rocblas_operation_llT0_T1_lllT2_lllib.uses_flat_scratch, 0
	.set _ZL39rocblas_trsm_block_forward_substitutionI19rocblas_complex_numIfES1_PKS1_PS1_Lb1ELb1ELb0EEv18rocblas_operation_llT0_T1_lllT2_lllib.has_dyn_sized_stack, 0
	.set _ZL39rocblas_trsm_block_forward_substitutionI19rocblas_complex_numIfES1_PKS1_PS1_Lb1ELb1ELb0EEv18rocblas_operation_llT0_T1_lllT2_lllib.has_recursion, 0
	.set _ZL39rocblas_trsm_block_forward_substitutionI19rocblas_complex_numIfES1_PKS1_PS1_Lb1ELb1ELb0EEv18rocblas_operation_llT0_T1_lllT2_lllib.has_indirect_call, 0
	.section	.AMDGPU.csdata,"",@progbits
; Kernel info:
; codeLenInByte = 2220
; TotalNumSgprs: 44
; NumVgprs: 18
; ScratchSize: 0
; MemoryBound: 0
; FloatMode: 240
; IeeeMode: 1
; LDSByteSize: 0 bytes/workgroup (compile time only)
; SGPRBlocks: 5
; VGPRBlocks: 4
; NumSGPRsForWavesPerEU: 44
; NumVGPRsForWavesPerEU: 18
; Occupancy: 10
; WaveLimiterHint : 1
; COMPUTE_PGM_RSRC2:SCRATCH_EN: 0
; COMPUTE_PGM_RSRC2:USER_SGPR: 6
; COMPUTE_PGM_RSRC2:TRAP_HANDLER: 0
; COMPUTE_PGM_RSRC2:TGID_X_EN: 1
; COMPUTE_PGM_RSRC2:TGID_Y_EN: 1
; COMPUTE_PGM_RSRC2:TGID_Z_EN: 1
; COMPUTE_PGM_RSRC2:TIDIG_COMP_CNT: 1
	.section	.text._ZL40rocblas_trsm_block_backward_substitutionI19rocblas_complex_numIfES1_PKS1_PS1_Lb1ELb1ELb0EEv18rocblas_operation_llT0_T1_lllT2_lllib,"axG",@progbits,_ZL40rocblas_trsm_block_backward_substitutionI19rocblas_complex_numIfES1_PKS1_PS1_Lb1ELb1ELb0EEv18rocblas_operation_llT0_T1_lllT2_lllib,comdat
	.globl	_ZL40rocblas_trsm_block_backward_substitutionI19rocblas_complex_numIfES1_PKS1_PS1_Lb1ELb1ELb0EEv18rocblas_operation_llT0_T1_lllT2_lllib ; -- Begin function _ZL40rocblas_trsm_block_backward_substitutionI19rocblas_complex_numIfES1_PKS1_PS1_Lb1ELb1ELb0EEv18rocblas_operation_llT0_T1_lllT2_lllib
	.p2align	8
	.type	_ZL40rocblas_trsm_block_backward_substitutionI19rocblas_complex_numIfES1_PKS1_PS1_Lb1ELb1ELb0EEv18rocblas_operation_llT0_T1_lllT2_lllib,@function
_ZL40rocblas_trsm_block_backward_substitutionI19rocblas_complex_numIfES1_PKS1_PS1_Lb1ELb1ELb0EEv18rocblas_operation_llT0_T1_lllT2_lllib: ; @_ZL40rocblas_trsm_block_backward_substitutionI19rocblas_complex_numIfES1_PKS1_PS1_Lb1ELb1ELb0EEv18rocblas_operation_llT0_T1_lllT2_lllib
; %bb.0:
	s_load_dword s0, s[4:5], 0x64
	s_load_dwordx4 s[28:31], s[4:5], 0x8
	s_load_dwordx2 s[34:35], s[4:5], 0x18
	s_load_dwordx16 s[12:27], s[4:5], 0x20
	s_load_dword s6, s[4:5], 0x74
	s_waitcnt lgkmcnt(0)
	s_bitcmp1_b32 s0, 0
	s_cselect_b64 s[0:1], -1, 0
	s_xor_b64 s[10:11], s[0:1], -1
	s_mul_i32 s0, s19, s8
	s_mul_hi_u32 s1, s18, s8
	s_add_i32 s1, s1, s0
	s_mul_i32 s0, s18, s8
	s_lshl_b64 s[0:1], s[0:1], 3
	s_add_u32 s2, s12, s0
	s_addc_u32 s3, s13, s1
	s_lshl_b64 s[0:1], s[14:15], 3
	s_add_u32 s2, s2, s0
	s_addc_u32 s3, s3, s1
	s_add_u32 s12, s4, 0x68
	v_mov_b32_e32 v2, v1
	s_addc_u32 s13, s5, 0
	s_lshr_b32 s6, s6, 16
	s_and_b64 vcc, exec, s[10:11]
	s_cbranch_vccnz .LBB187_16
; %bb.1:
	v_cmp_lt_i64_e64 s[0:1], s[28:29], 1
	s_lshl_b32 s9, s6, 3
	s_add_i32 s14, s9, 0
	s_and_b64 vcc, exec, s[0:1]
	s_cbranch_vccnz .LBB187_15
; %bb.2:
	v_mad_u64_u32 v[3:4], s[0:1], s16, v0, 0
	v_mov_b32_e32 v1, 0
	v_cmp_le_u64_e64 s[18:19], s[28:29], v[0:1]
	v_cmp_gt_u64_e64 s[0:1], s[28:29], v[0:1]
	v_mov_b32_e32 v1, v4
	v_mad_u64_u32 v[4:5], s[36:37], s17, v0, v[1:2]
	v_lshlrev_b32_e32 v6, 3, v0
	v_mov_b32_e32 v7, s3
	v_add_co_u32_e32 v1, vcc, s2, v6
	v_lshlrev_b64 v[3:4], 3, v[3:4]
	v_addc_co_u32_e32 v11, vcc, 0, v7, vcc
	v_add_co_u32_e32 v3, vcc, v1, v3
	v_add_u32_e32 v10, s14, v6
	v_addc_co_u32_e32 v4, vcc, v11, v4, vcc
	s_xor_b64 s[36:37], s[18:19], -1
	s_mov_b32 s9, s6
	v_mov_b32_e32 v5, v2
	s_branch .LBB187_5
.LBB187_3:                              ;   in Loop: Header=BB187_5 Depth=1
	s_or_b64 exec, exec, s[38:39]
	s_load_dword s15, s[12:13], 0xc
	s_waitcnt lgkmcnt(0)
	s_and_b32 s15, s15, 0xffff
	v_mul_u32_u24_e32 v6, s15, v0
	v_lshl_add_u32 v6, v6, 3, v10
	ds_write_b64 v6, v[8:9]
.LBB187_4:                              ;   in Loop: Header=BB187_5 Depth=1
	s_or_b64 exec, exec, s[2:3]
	s_ashr_i32 s2, s9, 31
	v_mov_b32_e32 v6, s9
	v_mov_b32_e32 v7, s2
	v_cmp_le_i64_e32 vcc, s[28:29], v[6:7]
	v_add_u32_e32 v5, s6, v5
	s_add_i32 s9, s9, s6
	s_cbranch_vccnz .LBB187_15
.LBB187_5:                              ; =>This Inner Loop Header: Depth=1
	s_mov_b64 s[40:41], s[18:19]
	s_and_saveexec_b64 s[38:39], s[0:1]
	s_cbranch_execz .LBB187_9
; %bb.6:                                ;   in Loop: Header=BB187_5 Depth=1
	v_ashrrev_i32_e32 v6, 31, v5
	v_cmp_gt_i64_e32 vcc, s[28:29], v[5:6]
	v_cmp_lt_i32_e64 s[2:3], v0, v5
	s_and_b64 s[42:43], s[2:3], vcc
	s_mov_b64 s[40:41], -1
	s_and_saveexec_b64 s[2:3], s[42:43]
	s_cbranch_execz .LBB187_8
; %bb.7:                                ;   in Loop: Header=BB187_5 Depth=1
	v_mul_lo_u32 v8, s17, v5
	v_mul_lo_u32 v9, s16, v6
	v_mad_u64_u32 v[6:7], s[40:41], s16, v5, 0
	s_load_dword s15, s[12:13], 0xc
	s_xor_b64 s[40:41], exec, -1
	v_add3_u32 v7, v7, v9, v8
	v_lshlrev_b64 v[6:7], 3, v[6:7]
	v_add_co_u32_e32 v6, vcc, v1, v6
	v_addc_co_u32_e32 v7, vcc, v11, v7, vcc
	global_load_dwordx2 v[6:7], v[6:7], off
	s_waitcnt lgkmcnt(0)
	s_and_b32 s15, s15, 0xffff
	v_mul_lo_u32 v8, v5, s15
	v_lshl_add_u32 v8, v8, 3, v10
	s_waitcnt vmcnt(0)
	ds_write_b64 v8, v[6:7]
.LBB187_8:                              ;   in Loop: Header=BB187_5 Depth=1
	s_or_b64 exec, exec, s[2:3]
	s_andn2_b64 s[2:3], s[18:19], exec
	s_and_b64 s[40:41], s[40:41], exec
	s_or_b64 s[40:41], s[2:3], s[40:41]
.LBB187_9:                              ;   in Loop: Header=BB187_5 Depth=1
	s_or_b64 exec, exec, s[38:39]
	s_and_saveexec_b64 s[2:3], s[40:41]
	s_cbranch_execz .LBB187_4
; %bb.10:                               ;   in Loop: Header=BB187_5 Depth=1
	v_cmp_eq_u32_e32 vcc, v0, v5
	s_and_b64 s[38:39], s[36:37], vcc
	s_and_b64 exec, exec, s[38:39]
	s_cbranch_execz .LBB187_4
; %bb.11:                               ;   in Loop: Header=BB187_5 Depth=1
	global_load_dwordx2 v[6:7], v[3:4], off
                                        ; implicit-def: $vgpr8
	s_waitcnt vmcnt(0)
	v_cmp_ngt_f32_e64 s[38:39], |v6|, |v7|
	s_and_saveexec_b64 s[40:41], s[38:39]
	s_xor_b64 s[38:39], exec, s[40:41]
	s_cbranch_execz .LBB187_13
; %bb.12:                               ;   in Loop: Header=BB187_5 Depth=1
	v_div_scale_f32 v8, s[40:41], v7, v7, v6
	v_div_scale_f32 v9, vcc, v6, v7, v6
	v_rcp_f32_e32 v12, v8
	v_fma_f32 v13, -v8, v12, 1.0
	v_fmac_f32_e32 v12, v13, v12
	v_mul_f32_e32 v13, v9, v12
	v_fma_f32 v14, -v8, v13, v9
	v_fmac_f32_e32 v13, v14, v12
	v_fma_f32 v8, -v8, v13, v9
	v_div_fmas_f32 v8, v8, v12, v13
	v_div_fixup_f32 v8, v8, v7, v6
	v_fmac_f32_e32 v7, v6, v8
	v_div_scale_f32 v6, s[40:41], v7, v7, 1.0
	v_div_scale_f32 v9, vcc, 1.0, v7, 1.0
	v_rcp_f32_e32 v12, v6
	v_fma_f32 v13, -v6, v12, 1.0
	v_fmac_f32_e32 v12, v13, v12
	v_mul_f32_e32 v13, v9, v12
	v_fma_f32 v14, -v6, v13, v9
	v_fmac_f32_e32 v13, v14, v12
	v_fma_f32 v6, -v6, v13, v9
	v_div_fmas_f32 v6, v6, v12, v13
	v_div_fixup_f32 v6, v6, v7, 1.0
	v_mul_f32_e32 v8, v8, v6
	v_xor_b32_e32 v9, 0x80000000, v6
                                        ; implicit-def: $vgpr6_vgpr7
.LBB187_13:                             ;   in Loop: Header=BB187_5 Depth=1
	s_andn2_saveexec_b64 s[38:39], s[38:39]
	s_cbranch_execz .LBB187_3
; %bb.14:                               ;   in Loop: Header=BB187_5 Depth=1
	v_div_scale_f32 v8, s[40:41], v6, v6, v7
	v_div_scale_f32 v9, vcc, v7, v6, v7
	v_rcp_f32_e32 v12, v8
	v_fma_f32 v13, -v8, v12, 1.0
	v_fmac_f32_e32 v12, v13, v12
	v_mul_f32_e32 v13, v9, v12
	v_fma_f32 v14, -v8, v13, v9
	v_fmac_f32_e32 v13, v14, v12
	v_fma_f32 v8, -v8, v13, v9
	v_div_fmas_f32 v8, v8, v12, v13
	v_div_fixup_f32 v9, v8, v6, v7
	v_fmac_f32_e32 v6, v7, v9
	v_div_scale_f32 v7, s[40:41], v6, v6, 1.0
	v_div_scale_f32 v8, vcc, 1.0, v6, 1.0
	v_rcp_f32_e32 v12, v7
	v_fma_f32 v13, -v7, v12, 1.0
	v_fmac_f32_e32 v12, v13, v12
	v_mul_f32_e32 v13, v8, v12
	v_fma_f32 v14, -v7, v13, v8
	v_fmac_f32_e32 v13, v14, v12
	v_fma_f32 v7, -v7, v13, v8
	v_div_fmas_f32 v7, v7, v12, v13
	v_div_fixup_f32 v8, v7, v6, 1.0
	v_mul_f32_e64 v9, v9, -v8
	s_branch .LBB187_3
.LBB187_15:
	s_mov_b64 s[0:1], src_shared_base
	s_load_dword s0, s[12:13], 0xc
	s_mov_b32 s15, s1
	s_mov_b32 s17, 0
	s_mov_b64 s[2:3], s[14:15]
	s_waitcnt lgkmcnt(0)
	s_and_b32 s16, s0, 0xffff
.LBB187_16:
	s_mul_i32 s7, s7, s6
	v_add_u32_e32 v3, s7, v2
	v_mov_b32_e32 v4, 0
	v_cmp_gt_i64_e32 vcc, s[30:31], v[3:4]
	s_and_saveexec_b64 s[0:1], vcc
	s_cbranch_execz .LBB187_45
; %bb.17:
	v_mov_b32_e32 v1, v4
	v_cmp_gt_i64_e32 vcc, s[28:29], v[0:1]
	s_and_b64 exec, exec, vcc
	s_cbranch_execz .LBB187_45
; %bb.18:
	s_mul_i32 s0, s27, s8
	s_mul_hi_u32 s1, s26, s8
	v_mad_u64_u32 v[4:5], s[6:7], s24, v3, 0
	s_add_i32 s1, s1, s0
	s_mul_i32 s0, s26, s8
	s_lshl_b64 s[0:1], s[0:1], 3
	s_add_u32 s6, s20, s0
	s_addc_u32 s7, s21, s1
	v_mad_u64_u32 v[5:6], s[0:1], s25, v3, v[5:6]
	s_lshl_b64 s[0:1], s[22:23], 3
	s_add_u32 s0, s6, s0
	v_lshlrev_b64 v[3:4], 3, v[4:5]
	s_addc_u32 s1, s7, s1
	v_mov_b32_e32 v5, s1
	v_add_co_u32_e32 v3, vcc, s0, v3
	v_addc_co_u32_e32 v4, vcc, v5, v4, vcc
	v_lshlrev_b32_e32 v9, 3, v0
	v_add_co_u32_e32 v3, vcc, v3, v9
	v_addc_co_u32_e32 v4, vcc, 0, v4, vcc
	global_load_dwordx2 v[7:8], v[3:4], off
	v_cmp_lt_u64_e64 s[0:1], s[28:29], 2
	s_and_b64 vcc, exec, s[0:1]
	s_waitcnt vmcnt(0)
	v_mul_f32_e32 v5, s35, v8
	v_mul_f32_e32 v6, s34, v8
	v_fma_f32 v5, s34, v7, -v5
	v_fmac_f32_e32 v6, s35, v7
	s_cbranch_vccnz .LBB187_36
; %bb.19:
	s_load_dword s4, s[4:5], 0x0
	v_mad_u64_u32 v[7:8], s[0:1], v0, s16, v[0:1]
	v_lshl_add_u32 v2, v2, 3, 0
	v_mad_u64_u32 v[10:11], s[0:1], v0, s17, v[8:9]
	s_waitcnt lgkmcnt(0)
	s_cmpk_lg_i32 s4, 0x71
	s_cselect_b64 s[0:1], -1, 0
	s_add_u32 s4, s28, -1
	s_addc_u32 s5, s29, -1
	s_mul_i32 s6, s16, s5
	s_mul_hi_u32 s7, s16, s4
	v_mov_b32_e32 v8, v10
	s_add_i32 s6, s7, s6
	s_mul_i32 s7, s17, s4
	v_lshlrev_b64 v[7:8], 3, v[7:8]
	s_add_i32 s7, s6, s7
	s_mul_i32 s6, s16, s4
	s_lshl_b64 s[6:7], s[6:7], 3
	v_mov_b32_e32 v11, s3
	v_add_co_u32_e32 v7, vcc, s2, v7
	s_add_u32 s6, s2, s6
	v_addc_co_u32_e32 v8, vcc, v11, v8, vcc
	s_addc_u32 s7, s3, s7
	v_mov_b32_e32 v10, s7
	v_add_co_u32_e32 v9, vcc, s6, v9
	s_lshl_b64 s[6:7], s[16:17], 3
	s_sub_u32 s12, 0, s6
	v_addc_co_u32_e32 v10, vcc, 0, v10, vcc
	s_subb_u32 s13, 0, s7
.LBB187_20:                             ; =>This Inner Loop Header: Depth=1
	v_cmp_eq_u64_e32 vcc, s[4:5], v[0:1]
	s_barrier
	s_and_saveexec_b64 s[6:7], vcc
	s_cbranch_execz .LBB187_28
; %bb.21:                               ;   in Loop: Header=BB187_20 Depth=1
	flat_load_dwordx2 v[11:12], v[7:8]
	s_andn2_b64 vcc, exec, s[10:11]
	s_cbranch_vccnz .LBB187_27
; %bb.22:                               ;   in Loop: Header=BB187_20 Depth=1
	s_waitcnt vmcnt(0) lgkmcnt(0)
	v_cmp_ngt_f32_e64 s[8:9], |v11|, |v12|
	s_and_saveexec_b64 s[14:15], s[8:9]
	s_xor_b64 s[8:9], exec, s[14:15]
	s_cbranch_execz .LBB187_24
; %bb.23:                               ;   in Loop: Header=BB187_20 Depth=1
	v_div_scale_f32 v13, s[14:15], v12, v12, v11
	v_div_scale_f32 v14, vcc, v11, v12, v11
	v_rcp_f32_e32 v15, v13
	v_fma_f32 v16, -v13, v15, 1.0
	v_fmac_f32_e32 v15, v16, v15
	v_mul_f32_e32 v16, v14, v15
	v_fma_f32 v17, -v13, v16, v14
	v_fmac_f32_e32 v16, v17, v15
	v_fma_f32 v13, -v13, v16, v14
	v_div_fmas_f32 v13, v13, v15, v16
	v_div_fixup_f32 v13, v13, v12, v11
	v_fmac_f32_e32 v12, v11, v13
	v_div_scale_f32 v11, s[14:15], v12, v12, 1.0
	v_div_scale_f32 v14, vcc, 1.0, v12, 1.0
	v_rcp_f32_e32 v15, v11
	v_fma_f32 v16, -v11, v15, 1.0
	v_fmac_f32_e32 v15, v16, v15
	v_mul_f32_e32 v16, v14, v15
	v_fma_f32 v17, -v11, v16, v14
	v_fmac_f32_e32 v16, v17, v15
	v_fma_f32 v11, -v11, v16, v14
	v_div_fmas_f32 v11, v11, v15, v16
	v_div_fixup_f32 v12, v11, v12, 1.0
	v_mul_f32_e32 v11, v13, v12
	v_xor_b32_e32 v12, 0x80000000, v12
.LBB187_24:                             ;   in Loop: Header=BB187_20 Depth=1
	s_andn2_saveexec_b64 s[8:9], s[8:9]
	s_cbranch_execz .LBB187_26
; %bb.25:                               ;   in Loop: Header=BB187_20 Depth=1
	v_div_scale_f32 v13, s[14:15], v11, v11, v12
	v_div_scale_f32 v14, vcc, v12, v11, v12
	v_rcp_f32_e32 v15, v13
	v_fma_f32 v16, -v13, v15, 1.0
	v_fmac_f32_e32 v15, v16, v15
	v_mul_f32_e32 v16, v14, v15
	v_fma_f32 v17, -v13, v16, v14
	v_fmac_f32_e32 v16, v17, v15
	v_fma_f32 v13, -v13, v16, v14
	v_div_fmas_f32 v13, v13, v15, v16
	v_div_fixup_f32 v13, v13, v11, v12
	v_fmac_f32_e32 v11, v12, v13
	v_div_scale_f32 v12, s[14:15], v11, v11, 1.0
	v_div_scale_f32 v14, vcc, 1.0, v11, 1.0
	v_rcp_f32_e32 v15, v12
	v_fma_f32 v16, -v12, v15, 1.0
	v_fmac_f32_e32 v15, v16, v15
	v_mul_f32_e32 v16, v14, v15
	v_fma_f32 v17, -v12, v16, v14
	v_fmac_f32_e32 v16, v17, v15
	v_fma_f32 v12, -v12, v16, v14
	v_div_fmas_f32 v12, v12, v15, v16
	v_div_fixup_f32 v11, v12, v11, 1.0
	v_mul_f32_e64 v12, v13, -v11
.LBB187_26:                             ;   in Loop: Header=BB187_20 Depth=1
	s_or_b64 exec, exec, s[8:9]
.LBB187_27:                             ;   in Loop: Header=BB187_20 Depth=1
	s_waitcnt vmcnt(0) lgkmcnt(0)
	v_mul_f32_e32 v13, v6, v12
	v_mul_f32_e32 v14, v5, v12
	v_fma_f32 v13, v5, v11, -v13
	v_fmac_f32_e32 v14, v6, v11
	v_mov_b32_e32 v6, v14
	v_mov_b32_e32 v5, v13
	ds_write_b64 v2, v[13:14]
.LBB187_28:                             ;   in Loop: Header=BB187_20 Depth=1
	s_or_b64 exec, exec, s[6:7]
	v_cmp_gt_i64_e32 vcc, s[4:5], v[0:1]
	s_waitcnt lgkmcnt(0)
	s_barrier
	s_and_saveexec_b64 s[6:7], vcc
	s_cbranch_execz .LBB187_34
; %bb.29:                               ;   in Loop: Header=BB187_20 Depth=1
	s_mov_b64 s[8:9], -1
	s_and_b64 vcc, exec, s[0:1]
                                        ; implicit-def: $vgpr11
	s_cbranch_vccz .LBB187_31
; %bb.30:                               ;   in Loop: Header=BB187_20 Depth=1
	flat_load_dwordx2 v[11:12], v[9:10]
	s_mov_b64 s[8:9], 0
.LBB187_31:                             ;   in Loop: Header=BB187_20 Depth=1
	s_andn2_b64 vcc, exec, s[8:9]
	s_cbranch_vccnz .LBB187_33
; %bb.32:                               ;   in Loop: Header=BB187_20 Depth=1
	s_waitcnt vmcnt(0) lgkmcnt(0)
	flat_load_dwordx2 v[11:12], v[9:10]
	s_waitcnt vmcnt(0) lgkmcnt(0)
	v_xor_b32_e32 v12, 0x80000000, v12
.LBB187_33:                             ;   in Loop: Header=BB187_20 Depth=1
	ds_read_b64 v[13:14], v2
	s_waitcnt vmcnt(0) lgkmcnt(0)
	v_mul_f32_e32 v15, v12, v14
	v_mul_f32_e32 v14, v14, v11
	v_fma_f32 v11, v13, v11, -v15
	v_fmac_f32_e32 v14, v12, v13
	v_sub_f32_e32 v5, v5, v11
	v_sub_f32_e32 v6, v6, v14
.LBB187_34:                             ;   in Loop: Header=BB187_20 Depth=1
	s_or_b64 exec, exec, s[6:7]
	s_add_u32 s6, s4, -1
	s_addc_u32 s7, s5, -1
	s_add_u32 s4, s4, 1
	s_addc_u32 s5, s5, 0
	v_mov_b32_e32 v11, s13
	v_cmp_lt_u64_e64 s[4:5], s[4:5], 3
	v_add_co_u32_e32 v9, vcc, s12, v9
	v_addc_co_u32_e32 v10, vcc, v10, v11, vcc
	s_and_b64 vcc, exec, s[4:5]
	s_cbranch_vccnz .LBB187_36
; %bb.35:                               ;   in Loop: Header=BB187_20 Depth=1
	s_mov_b64 s[4:5], s[6:7]
	s_branch .LBB187_20
.LBB187_36:
	v_cmp_eq_u32_e32 vcc, 0, v0
	s_and_saveexec_b64 s[0:1], vcc
	s_cbranch_execz .LBB187_44
; %bb.37:
	v_mad_u64_u32 v[1:2], s[4:5], v0, s16, v[0:1]
	v_mad_u64_u32 v[7:8], s[4:5], v0, s17, v[2:3]
	v_mov_b32_e32 v8, s3
	v_mov_b32_e32 v2, v7
	v_lshlrev_b64 v[0:1], 3, v[1:2]
	v_add_co_u32_e32 v0, vcc, s2, v0
	v_addc_co_u32_e32 v1, vcc, v8, v1, vcc
	flat_load_dwordx2 v[0:1], v[0:1]
	s_andn2_b64 vcc, exec, s[10:11]
	s_cbranch_vccnz .LBB187_43
; %bb.38:
	s_waitcnt vmcnt(0) lgkmcnt(0)
	v_cmp_ngt_f32_e64 s[2:3], |v0|, |v1|
	s_and_saveexec_b64 s[4:5], s[2:3]
	s_xor_b64 s[2:3], exec, s[4:5]
	s_cbranch_execz .LBB187_40
; %bb.39:
	v_div_scale_f32 v2, s[4:5], v1, v1, v0
	v_div_scale_f32 v7, vcc, v0, v1, v0
	v_rcp_f32_e32 v8, v2
	v_fma_f32 v9, -v2, v8, 1.0
	v_fmac_f32_e32 v8, v9, v8
	v_mul_f32_e32 v9, v7, v8
	v_fma_f32 v10, -v2, v9, v7
	v_fmac_f32_e32 v9, v10, v8
	v_fma_f32 v2, -v2, v9, v7
	v_div_fmas_f32 v2, v2, v8, v9
	v_div_fixup_f32 v2, v2, v1, v0
	v_fmac_f32_e32 v1, v0, v2
	v_div_scale_f32 v0, s[4:5], v1, v1, 1.0
	v_div_scale_f32 v7, vcc, 1.0, v1, 1.0
	v_rcp_f32_e32 v8, v0
	v_fma_f32 v9, -v0, v8, 1.0
	v_fmac_f32_e32 v8, v9, v8
	v_mul_f32_e32 v9, v7, v8
	v_fma_f32 v10, -v0, v9, v7
	v_fmac_f32_e32 v9, v10, v8
	v_fma_f32 v0, -v0, v9, v7
	v_div_fmas_f32 v0, v0, v8, v9
	v_div_fixup_f32 v1, v0, v1, 1.0
	v_mul_f32_e32 v0, v2, v1
	v_xor_b32_e32 v1, 0x80000000, v1
.LBB187_40:
	s_andn2_saveexec_b64 s[2:3], s[2:3]
	s_cbranch_execz .LBB187_42
; %bb.41:
	v_div_scale_f32 v2, s[4:5], v0, v0, v1
	v_div_scale_f32 v7, vcc, v1, v0, v1
	v_rcp_f32_e32 v8, v2
	v_fma_f32 v9, -v2, v8, 1.0
	v_fmac_f32_e32 v8, v9, v8
	v_mul_f32_e32 v9, v7, v8
	v_fma_f32 v10, -v2, v9, v7
	v_fmac_f32_e32 v9, v10, v8
	v_fma_f32 v2, -v2, v9, v7
	v_div_fmas_f32 v2, v2, v8, v9
	v_div_fixup_f32 v2, v2, v0, v1
	v_fmac_f32_e32 v0, v1, v2
	v_div_scale_f32 v1, s[4:5], v0, v0, 1.0
	v_div_scale_f32 v7, vcc, 1.0, v0, 1.0
	v_rcp_f32_e32 v8, v1
	v_fma_f32 v9, -v1, v8, 1.0
	v_fmac_f32_e32 v8, v9, v8
	v_mul_f32_e32 v9, v7, v8
	v_fma_f32 v10, -v1, v9, v7
	v_fmac_f32_e32 v9, v10, v8
	v_fma_f32 v1, -v1, v9, v7
	v_div_fmas_f32 v1, v1, v8, v9
	v_div_fixup_f32 v0, v1, v0, 1.0
	v_mul_f32_e64 v1, v2, -v0
.LBB187_42:
	s_or_b64 exec, exec, s[2:3]
.LBB187_43:
	s_waitcnt vmcnt(0) lgkmcnt(0)
	v_mul_f32_e32 v2, v6, v1
	v_fma_f32 v2, v5, v0, -v2
	v_mul_f32_e32 v6, v6, v0
	v_fmac_f32_e32 v6, v5, v1
	v_mov_b32_e32 v5, v2
.LBB187_44:
	s_or_b64 exec, exec, s[0:1]
	global_store_dwordx2 v[3:4], v[5:6], off
.LBB187_45:
	s_endpgm
	.section	.rodata,"a",@progbits
	.p2align	6, 0x0
	.amdhsa_kernel _ZL40rocblas_trsm_block_backward_substitutionI19rocblas_complex_numIfES1_PKS1_PS1_Lb1ELb1ELb0EEv18rocblas_operation_llT0_T1_lllT2_lllib
		.amdhsa_group_segment_fixed_size 0
		.amdhsa_private_segment_fixed_size 0
		.amdhsa_kernarg_size 360
		.amdhsa_user_sgpr_count 6
		.amdhsa_user_sgpr_private_segment_buffer 1
		.amdhsa_user_sgpr_dispatch_ptr 0
		.amdhsa_user_sgpr_queue_ptr 0
		.amdhsa_user_sgpr_kernarg_segment_ptr 1
		.amdhsa_user_sgpr_dispatch_id 0
		.amdhsa_user_sgpr_flat_scratch_init 0
		.amdhsa_user_sgpr_private_segment_size 0
		.amdhsa_uses_dynamic_stack 0
		.amdhsa_system_sgpr_private_segment_wavefront_offset 0
		.amdhsa_system_sgpr_workgroup_id_x 1
		.amdhsa_system_sgpr_workgroup_id_y 1
		.amdhsa_system_sgpr_workgroup_id_z 1
		.amdhsa_system_sgpr_workgroup_info 0
		.amdhsa_system_vgpr_workitem_id 1
		.amdhsa_next_free_vgpr 18
		.amdhsa_next_free_sgpr 44
		.amdhsa_reserve_vcc 1
		.amdhsa_reserve_flat_scratch 0
		.amdhsa_float_round_mode_32 0
		.amdhsa_float_round_mode_16_64 0
		.amdhsa_float_denorm_mode_32 3
		.amdhsa_float_denorm_mode_16_64 3
		.amdhsa_dx10_clamp 1
		.amdhsa_ieee_mode 1
		.amdhsa_fp16_overflow 0
		.amdhsa_exception_fp_ieee_invalid_op 0
		.amdhsa_exception_fp_denorm_src 0
		.amdhsa_exception_fp_ieee_div_zero 0
		.amdhsa_exception_fp_ieee_overflow 0
		.amdhsa_exception_fp_ieee_underflow 0
		.amdhsa_exception_fp_ieee_inexact 0
		.amdhsa_exception_int_div_zero 0
	.end_amdhsa_kernel
	.section	.text._ZL40rocblas_trsm_block_backward_substitutionI19rocblas_complex_numIfES1_PKS1_PS1_Lb1ELb1ELb0EEv18rocblas_operation_llT0_T1_lllT2_lllib,"axG",@progbits,_ZL40rocblas_trsm_block_backward_substitutionI19rocblas_complex_numIfES1_PKS1_PS1_Lb1ELb1ELb0EEv18rocblas_operation_llT0_T1_lllT2_lllib,comdat
.Lfunc_end187:
	.size	_ZL40rocblas_trsm_block_backward_substitutionI19rocblas_complex_numIfES1_PKS1_PS1_Lb1ELb1ELb0EEv18rocblas_operation_llT0_T1_lllT2_lllib, .Lfunc_end187-_ZL40rocblas_trsm_block_backward_substitutionI19rocblas_complex_numIfES1_PKS1_PS1_Lb1ELb1ELb0EEv18rocblas_operation_llT0_T1_lllT2_lllib
                                        ; -- End function
	.set _ZL40rocblas_trsm_block_backward_substitutionI19rocblas_complex_numIfES1_PKS1_PS1_Lb1ELb1ELb0EEv18rocblas_operation_llT0_T1_lllT2_lllib.num_vgpr, 18
	.set _ZL40rocblas_trsm_block_backward_substitutionI19rocblas_complex_numIfES1_PKS1_PS1_Lb1ELb1ELb0EEv18rocblas_operation_llT0_T1_lllT2_lllib.num_agpr, 0
	.set _ZL40rocblas_trsm_block_backward_substitutionI19rocblas_complex_numIfES1_PKS1_PS1_Lb1ELb1ELb0EEv18rocblas_operation_llT0_T1_lllT2_lllib.numbered_sgpr, 44
	.set _ZL40rocblas_trsm_block_backward_substitutionI19rocblas_complex_numIfES1_PKS1_PS1_Lb1ELb1ELb0EEv18rocblas_operation_llT0_T1_lllT2_lllib.num_named_barrier, 0
	.set _ZL40rocblas_trsm_block_backward_substitutionI19rocblas_complex_numIfES1_PKS1_PS1_Lb1ELb1ELb0EEv18rocblas_operation_llT0_T1_lllT2_lllib.private_seg_size, 0
	.set _ZL40rocblas_trsm_block_backward_substitutionI19rocblas_complex_numIfES1_PKS1_PS1_Lb1ELb1ELb0EEv18rocblas_operation_llT0_T1_lllT2_lllib.uses_vcc, 1
	.set _ZL40rocblas_trsm_block_backward_substitutionI19rocblas_complex_numIfES1_PKS1_PS1_Lb1ELb1ELb0EEv18rocblas_operation_llT0_T1_lllT2_lllib.uses_flat_scratch, 0
	.set _ZL40rocblas_trsm_block_backward_substitutionI19rocblas_complex_numIfES1_PKS1_PS1_Lb1ELb1ELb0EEv18rocblas_operation_llT0_T1_lllT2_lllib.has_dyn_sized_stack, 0
	.set _ZL40rocblas_trsm_block_backward_substitutionI19rocblas_complex_numIfES1_PKS1_PS1_Lb1ELb1ELb0EEv18rocblas_operation_llT0_T1_lllT2_lllib.has_recursion, 0
	.set _ZL40rocblas_trsm_block_backward_substitutionI19rocblas_complex_numIfES1_PKS1_PS1_Lb1ELb1ELb0EEv18rocblas_operation_llT0_T1_lllT2_lllib.has_indirect_call, 0
	.section	.AMDGPU.csdata,"",@progbits
; Kernel info:
; codeLenInByte = 2284
; TotalNumSgprs: 48
; NumVgprs: 18
; ScratchSize: 0
; MemoryBound: 0
; FloatMode: 240
; IeeeMode: 1
; LDSByteSize: 0 bytes/workgroup (compile time only)
; SGPRBlocks: 5
; VGPRBlocks: 4
; NumSGPRsForWavesPerEU: 48
; NumVGPRsForWavesPerEU: 18
; Occupancy: 10
; WaveLimiterHint : 1
; COMPUTE_PGM_RSRC2:SCRATCH_EN: 0
; COMPUTE_PGM_RSRC2:USER_SGPR: 6
; COMPUTE_PGM_RSRC2:TRAP_HANDLER: 0
; COMPUTE_PGM_RSRC2:TGID_X_EN: 1
; COMPUTE_PGM_RSRC2:TGID_Y_EN: 1
; COMPUTE_PGM_RSRC2:TGID_Z_EN: 1
; COMPUTE_PGM_RSRC2:TIDIG_COMP_CNT: 1
	.section	.text._ZL39rocblas_trsm_block_forward_substitutionI19rocblas_complex_numIfES1_PKS1_PS1_Lb1ELb1ELb1EEv18rocblas_operation_llT0_T1_lllT2_lllib,"axG",@progbits,_ZL39rocblas_trsm_block_forward_substitutionI19rocblas_complex_numIfES1_PKS1_PS1_Lb1ELb1ELb1EEv18rocblas_operation_llT0_T1_lllT2_lllib,comdat
	.globl	_ZL39rocblas_trsm_block_forward_substitutionI19rocblas_complex_numIfES1_PKS1_PS1_Lb1ELb1ELb1EEv18rocblas_operation_llT0_T1_lllT2_lllib ; -- Begin function _ZL39rocblas_trsm_block_forward_substitutionI19rocblas_complex_numIfES1_PKS1_PS1_Lb1ELb1ELb1EEv18rocblas_operation_llT0_T1_lllT2_lllib
	.p2align	8
	.type	_ZL39rocblas_trsm_block_forward_substitutionI19rocblas_complex_numIfES1_PKS1_PS1_Lb1ELb1ELb1EEv18rocblas_operation_llT0_T1_lllT2_lllib,@function
_ZL39rocblas_trsm_block_forward_substitutionI19rocblas_complex_numIfES1_PKS1_PS1_Lb1ELb1ELb1EEv18rocblas_operation_llT0_T1_lllT2_lllib: ; @_ZL39rocblas_trsm_block_forward_substitutionI19rocblas_complex_numIfES1_PKS1_PS1_Lb1ELb1ELb1EEv18rocblas_operation_llT0_T1_lllT2_lllib
; %bb.0:
	s_load_dwordx16 s[12:27], s[4:5], 0x20
	s_load_dwordx4 s[28:31], s[4:5], 0x8
	s_load_dwordx2 s[2:3], s[4:5], 0x18
	s_load_dword s10, s[4:5], 0x64
	s_load_dword s11, s[4:5], 0x74
	v_mov_b32_e32 v2, v1
	s_waitcnt lgkmcnt(0)
	s_mul_i32 s0, s19, s8
	s_mul_hi_u32 s1, s18, s8
	s_add_i32 s1, s1, s0
	s_mul_i32 s0, s18, s8
	s_lshl_b64 s[0:1], s[0:1], 3
	s_add_u32 s6, s12, s0
	s_addc_u32 s9, s13, s1
	s_lshl_b64 s[0:1], s[14:15], 3
	s_add_u32 s12, s6, s0
	s_addc_u32 s13, s9, s1
	s_add_u32 s18, s4, 0x68
	s_addc_u32 s19, s5, 0
	s_lshr_b32 s6, s11, 16
	s_bitcmp0_b32 s10, 0
	s_mov_b64 s[14:15], 1
	s_cbranch_scc1 .LBB188_6
; %bb.1:
	s_lshl_b32 s0, s6, 3
	s_add_i32 s34, s0, 0
	v_cmp_lt_i64_e64 s[0:1], s[28:29], 1
	s_mov_b64 s[10:11], 1
	s_and_b64 vcc, exec, s[0:1]
	s_cbranch_vccnz .LBB188_7
; %bb.2:
	v_mad_u64_u32 v[3:4], s[0:1], s16, v0, 0
	v_lshl_add_u32 v5, v0, 3, s34
	s_mov_b32 s9, 0
	v_mov_b32_e32 v1, v4
	v_mad_u64_u32 v[6:7], s[0:1], s17, v0, v[1:2]
	v_mov_b32_e32 v1, 0
	v_mov_b32_e32 v7, s13
	;; [unrolled: 1-line block ×3, first 2 shown]
	v_lshlrev_b64 v[3:4], 3, v[3:4]
	v_cmp_gt_u64_e64 s[0:1], s[28:29], v[0:1]
	v_add_co_u32_e32 v1, vcc, s12, v3
	v_addc_co_u32_e32 v6, vcc, v7, v4, vcc
	s_branch .LBB188_4
.LBB188_3:                              ;   in Loop: Header=BB188_4 Depth=1
	s_or_b64 exec, exec, s[12:13]
	s_add_i32 s9, s9, s6
	s_ashr_i32 s12, s9, 31
	v_mov_b32_e32 v3, s9
	v_mov_b32_e32 v4, s12
	v_cmp_le_i64_e32 vcc, s[28:29], v[3:4]
	s_cbranch_vccnz .LBB188_7
.LBB188_4:                              ; =>This Inner Loop Header: Depth=1
	v_add_u32_e32 v3, s9, v2
	v_cmp_gt_i32_e32 vcc, v0, v3
	s_and_b64 s[14:15], s[0:1], vcc
	s_and_saveexec_b64 s[12:13], s[14:15]
	s_cbranch_execz .LBB188_3
; %bb.5:                                ;   in Loop: Header=BB188_4 Depth=1
	v_ashrrev_i32_e32 v4, 31, v3
	v_lshlrev_b64 v[7:8], 3, v[3:4]
	s_load_dword s14, s[18:19], 0xc
	v_add_co_u32_e32 v7, vcc, v1, v7
	v_addc_co_u32_e32 v8, vcc, v6, v8, vcc
	global_load_dwordx2 v[7:8], v[7:8], off
	s_waitcnt lgkmcnt(0)
	s_and_b32 s14, s14, 0xffff
	v_mul_lo_u32 v3, v3, s14
	v_lshl_add_u32 v3, v3, 3, v5
	s_waitcnt vmcnt(0)
	ds_write_b64 v3, v[7:8]
	s_branch .LBB188_3
.LBB188_6:
	s_mov_b64 s[10:11], s[16:17]
	s_branch .LBB188_8
.LBB188_7:
	s_mov_b64 s[0:1], src_shared_base
	s_load_dword s0, s[18:19], 0xc
	s_mov_b32 s35, s1
	s_mov_b64 s[12:13], s[34:35]
	s_waitcnt lgkmcnt(0)
	s_and_b32 s14, s0, 0xffff
.LBB188_8:
	s_mul_i32 s7, s7, s6
	v_add_u32_e32 v3, s7, v2
	v_mov_b32_e32 v4, 0
	v_cmp_gt_i64_e32 vcc, s[30:31], v[3:4]
	s_and_saveexec_b64 s[0:1], vcc
	s_cbranch_execz .LBB188_22
; %bb.9:
	v_mov_b32_e32 v1, v4
	v_cmp_gt_i64_e32 vcc, s[28:29], v[0:1]
	s_and_b64 exec, exec, vcc
	s_cbranch_execz .LBB188_22
; %bb.10:
	s_mul_i32 s0, s27, s8
	s_mul_hi_u32 s1, s26, s8
	v_mad_u64_u32 v[5:6], s[6:7], s24, v0, 0
	s_add_i32 s1, s1, s0
	s_mul_i32 s0, s26, s8
	s_lshl_b64 s[0:1], s[0:1], 3
	s_add_u32 s6, s20, s0
	s_addc_u32 s7, s21, s1
	v_mad_u64_u32 v[6:7], s[0:1], s25, v0, v[6:7]
	s_lshl_b64 s[0:1], s[22:23], 3
	s_add_u32 s0, s6, s0
	v_lshlrev_b64 v[5:6], 3, v[5:6]
	s_addc_u32 s1, s7, s1
	v_mov_b32_e32 v7, s1
	v_add_co_u32_e32 v5, vcc, s0, v5
	v_lshlrev_b64 v[3:4], 3, v[3:4]
	v_addc_co_u32_e32 v6, vcc, v7, v6, vcc
	v_add_co_u32_e32 v3, vcc, v5, v3
	v_addc_co_u32_e32 v4, vcc, v6, v4, vcc
	global_load_dwordx2 v[7:8], v[3:4], off
	v_cmp_lt_u64_e64 s[0:1], s[28:29], 2
	s_and_b64 vcc, exec, s[0:1]
	s_waitcnt vmcnt(0)
	v_mul_f32_e32 v5, s3, v8
	v_mul_f32_e32 v6, s2, v8
	v_fma_f32 v5, s2, v7, -v5
	v_fmac_f32_e32 v6, s3, v7
	s_cbranch_vccnz .LBB188_21
; %bb.11:
	v_mad_u64_u32 v[7:8], s[0:1], s10, v0, 0
	s_load_dword s2, s[4:5], 0x0
	v_lshl_add_u32 v2, v2, 3, 0
	v_mad_u64_u32 v[8:9], s[0:1], s11, v0, v[8:9]
	v_mov_b32_e32 v9, s13
	s_waitcnt lgkmcnt(0)
	s_cmpk_lg_i32 s2, 0x71
	v_lshlrev_b64 v[7:8], 3, v[7:8]
	s_cselect_b64 s[0:1], -1, 0
	v_add_co_u32_e32 v7, vcc, s12, v7
	s_add_u32 s2, s28, -1
	v_addc_co_u32_e32 v8, vcc, v9, v8, vcc
	s_addc_u32 s3, s29, -1
	s_lshl_b32 s10, s14, 3
	s_mov_b64 s[4:5], 0
	s_branch .LBB188_14
.LBB188_12:                             ;   in Loop: Header=BB188_14 Depth=1
	ds_read_b64 v[11:12], v2
	s_waitcnt vmcnt(0) lgkmcnt(0)
	v_mul_f32_e32 v13, v10, v12
	v_mul_f32_e32 v12, v12, v9
	v_fma_f32 v9, v11, v9, -v13
	v_fmac_f32_e32 v12, v10, v11
	v_sub_f32_e32 v5, v5, v9
	v_sub_f32_e32 v6, v6, v12
.LBB188_13:                             ;   in Loop: Header=BB188_14 Depth=1
	s_or_b64 exec, exec, s[6:7]
	s_add_u32 s4, s4, 1
	s_addc_u32 s5, s5, 0
	v_add_co_u32_e32 v7, vcc, s10, v7
	s_cmp_eq_u64 s[2:3], s[4:5]
	v_addc_co_u32_e32 v8, vcc, 0, v8, vcc
	s_cbranch_scc1 .LBB188_21
.LBB188_14:                             ; =>This Inner Loop Header: Depth=1
	v_cmp_eq_u64_e32 vcc, s[4:5], v[0:1]
	s_barrier
	s_and_saveexec_b64 s[6:7], vcc
; %bb.15:                               ;   in Loop: Header=BB188_14 Depth=1
	ds_write_b64 v2, v[5:6]
; %bb.16:                               ;   in Loop: Header=BB188_14 Depth=1
	s_or_b64 exec, exec, s[6:7]
	v_cmp_lt_u64_e32 vcc, s[4:5], v[0:1]
	s_waitcnt lgkmcnt(0)
	s_barrier
	s_and_saveexec_b64 s[6:7], vcc
	s_cbranch_execz .LBB188_13
; %bb.17:                               ;   in Loop: Header=BB188_14 Depth=1
	s_mov_b64 s[8:9], -1
	s_and_b64 vcc, exec, s[0:1]
                                        ; implicit-def: $vgpr9
	s_cbranch_vccz .LBB188_19
; %bb.18:                               ;   in Loop: Header=BB188_14 Depth=1
	flat_load_dwordx2 v[9:10], v[7:8]
	s_mov_b64 s[8:9], 0
.LBB188_19:                             ;   in Loop: Header=BB188_14 Depth=1
	s_andn2_b64 vcc, exec, s[8:9]
	s_cbranch_vccnz .LBB188_12
; %bb.20:                               ;   in Loop: Header=BB188_14 Depth=1
	s_waitcnt vmcnt(0) lgkmcnt(0)
	flat_load_dwordx2 v[9:10], v[7:8]
	s_waitcnt vmcnt(0) lgkmcnt(0)
	v_xor_b32_e32 v10, 0x80000000, v10
	s_branch .LBB188_12
.LBB188_21:
	global_store_dwordx2 v[3:4], v[5:6], off
.LBB188_22:
	s_endpgm
	.section	.rodata,"a",@progbits
	.p2align	6, 0x0
	.amdhsa_kernel _ZL39rocblas_trsm_block_forward_substitutionI19rocblas_complex_numIfES1_PKS1_PS1_Lb1ELb1ELb1EEv18rocblas_operation_llT0_T1_lllT2_lllib
		.amdhsa_group_segment_fixed_size 0
		.amdhsa_private_segment_fixed_size 0
		.amdhsa_kernarg_size 360
		.amdhsa_user_sgpr_count 6
		.amdhsa_user_sgpr_private_segment_buffer 1
		.amdhsa_user_sgpr_dispatch_ptr 0
		.amdhsa_user_sgpr_queue_ptr 0
		.amdhsa_user_sgpr_kernarg_segment_ptr 1
		.amdhsa_user_sgpr_dispatch_id 0
		.amdhsa_user_sgpr_flat_scratch_init 0
		.amdhsa_user_sgpr_private_segment_size 0
		.amdhsa_uses_dynamic_stack 0
		.amdhsa_system_sgpr_private_segment_wavefront_offset 0
		.amdhsa_system_sgpr_workgroup_id_x 1
		.amdhsa_system_sgpr_workgroup_id_y 1
		.amdhsa_system_sgpr_workgroup_id_z 1
		.amdhsa_system_sgpr_workgroup_info 0
		.amdhsa_system_vgpr_workitem_id 1
		.amdhsa_next_free_vgpr 14
		.amdhsa_next_free_sgpr 36
		.amdhsa_reserve_vcc 1
		.amdhsa_reserve_flat_scratch 0
		.amdhsa_float_round_mode_32 0
		.amdhsa_float_round_mode_16_64 0
		.amdhsa_float_denorm_mode_32 3
		.amdhsa_float_denorm_mode_16_64 3
		.amdhsa_dx10_clamp 1
		.amdhsa_ieee_mode 1
		.amdhsa_fp16_overflow 0
		.amdhsa_exception_fp_ieee_invalid_op 0
		.amdhsa_exception_fp_denorm_src 0
		.amdhsa_exception_fp_ieee_div_zero 0
		.amdhsa_exception_fp_ieee_overflow 0
		.amdhsa_exception_fp_ieee_underflow 0
		.amdhsa_exception_fp_ieee_inexact 0
		.amdhsa_exception_int_div_zero 0
	.end_amdhsa_kernel
	.section	.text._ZL39rocblas_trsm_block_forward_substitutionI19rocblas_complex_numIfES1_PKS1_PS1_Lb1ELb1ELb1EEv18rocblas_operation_llT0_T1_lllT2_lllib,"axG",@progbits,_ZL39rocblas_trsm_block_forward_substitutionI19rocblas_complex_numIfES1_PKS1_PS1_Lb1ELb1ELb1EEv18rocblas_operation_llT0_T1_lllT2_lllib,comdat
.Lfunc_end188:
	.size	_ZL39rocblas_trsm_block_forward_substitutionI19rocblas_complex_numIfES1_PKS1_PS1_Lb1ELb1ELb1EEv18rocblas_operation_llT0_T1_lllT2_lllib, .Lfunc_end188-_ZL39rocblas_trsm_block_forward_substitutionI19rocblas_complex_numIfES1_PKS1_PS1_Lb1ELb1ELb1EEv18rocblas_operation_llT0_T1_lllT2_lllib
                                        ; -- End function
	.set _ZL39rocblas_trsm_block_forward_substitutionI19rocblas_complex_numIfES1_PKS1_PS1_Lb1ELb1ELb1EEv18rocblas_operation_llT0_T1_lllT2_lllib.num_vgpr, 14
	.set _ZL39rocblas_trsm_block_forward_substitutionI19rocblas_complex_numIfES1_PKS1_PS1_Lb1ELb1ELb1EEv18rocblas_operation_llT0_T1_lllT2_lllib.num_agpr, 0
	.set _ZL39rocblas_trsm_block_forward_substitutionI19rocblas_complex_numIfES1_PKS1_PS1_Lb1ELb1ELb1EEv18rocblas_operation_llT0_T1_lllT2_lllib.numbered_sgpr, 36
	.set _ZL39rocblas_trsm_block_forward_substitutionI19rocblas_complex_numIfES1_PKS1_PS1_Lb1ELb1ELb1EEv18rocblas_operation_llT0_T1_lllT2_lllib.num_named_barrier, 0
	.set _ZL39rocblas_trsm_block_forward_substitutionI19rocblas_complex_numIfES1_PKS1_PS1_Lb1ELb1ELb1EEv18rocblas_operation_llT0_T1_lllT2_lllib.private_seg_size, 0
	.set _ZL39rocblas_trsm_block_forward_substitutionI19rocblas_complex_numIfES1_PKS1_PS1_Lb1ELb1ELb1EEv18rocblas_operation_llT0_T1_lllT2_lllib.uses_vcc, 1
	.set _ZL39rocblas_trsm_block_forward_substitutionI19rocblas_complex_numIfES1_PKS1_PS1_Lb1ELb1ELb1EEv18rocblas_operation_llT0_T1_lllT2_lllib.uses_flat_scratch, 0
	.set _ZL39rocblas_trsm_block_forward_substitutionI19rocblas_complex_numIfES1_PKS1_PS1_Lb1ELb1ELb1EEv18rocblas_operation_llT0_T1_lllT2_lllib.has_dyn_sized_stack, 0
	.set _ZL39rocblas_trsm_block_forward_substitutionI19rocblas_complex_numIfES1_PKS1_PS1_Lb1ELb1ELb1EEv18rocblas_operation_llT0_T1_lllT2_lllib.has_recursion, 0
	.set _ZL39rocblas_trsm_block_forward_substitutionI19rocblas_complex_numIfES1_PKS1_PS1_Lb1ELb1ELb1EEv18rocblas_operation_llT0_T1_lllT2_lllib.has_indirect_call, 0
	.section	.AMDGPU.csdata,"",@progbits
; Kernel info:
; codeLenInByte = 832
; TotalNumSgprs: 40
; NumVgprs: 14
; ScratchSize: 0
; MemoryBound: 0
; FloatMode: 240
; IeeeMode: 1
; LDSByteSize: 0 bytes/workgroup (compile time only)
; SGPRBlocks: 4
; VGPRBlocks: 3
; NumSGPRsForWavesPerEU: 40
; NumVGPRsForWavesPerEU: 14
; Occupancy: 10
; WaveLimiterHint : 1
; COMPUTE_PGM_RSRC2:SCRATCH_EN: 0
; COMPUTE_PGM_RSRC2:USER_SGPR: 6
; COMPUTE_PGM_RSRC2:TRAP_HANDLER: 0
; COMPUTE_PGM_RSRC2:TGID_X_EN: 1
; COMPUTE_PGM_RSRC2:TGID_Y_EN: 1
; COMPUTE_PGM_RSRC2:TGID_Z_EN: 1
; COMPUTE_PGM_RSRC2:TIDIG_COMP_CNT: 1
	.section	.text._ZL40rocblas_trsm_block_backward_substitutionI19rocblas_complex_numIfES1_PKS1_PS1_Lb1ELb1ELb1EEv18rocblas_operation_llT0_T1_lllT2_lllib,"axG",@progbits,_ZL40rocblas_trsm_block_backward_substitutionI19rocblas_complex_numIfES1_PKS1_PS1_Lb1ELb1ELb1EEv18rocblas_operation_llT0_T1_lllT2_lllib,comdat
	.globl	_ZL40rocblas_trsm_block_backward_substitutionI19rocblas_complex_numIfES1_PKS1_PS1_Lb1ELb1ELb1EEv18rocblas_operation_llT0_T1_lllT2_lllib ; -- Begin function _ZL40rocblas_trsm_block_backward_substitutionI19rocblas_complex_numIfES1_PKS1_PS1_Lb1ELb1ELb1EEv18rocblas_operation_llT0_T1_lllT2_lllib
	.p2align	8
	.type	_ZL40rocblas_trsm_block_backward_substitutionI19rocblas_complex_numIfES1_PKS1_PS1_Lb1ELb1ELb1EEv18rocblas_operation_llT0_T1_lllT2_lllib,@function
_ZL40rocblas_trsm_block_backward_substitutionI19rocblas_complex_numIfES1_PKS1_PS1_Lb1ELb1ELb1EEv18rocblas_operation_llT0_T1_lllT2_lllib: ; @_ZL40rocblas_trsm_block_backward_substitutionI19rocblas_complex_numIfES1_PKS1_PS1_Lb1ELb1ELb1EEv18rocblas_operation_llT0_T1_lllT2_lllib
; %bb.0:
	s_load_dwordx16 s[12:27], s[4:5], 0x20
	s_load_dwordx4 s[28:31], s[4:5], 0x8
	s_load_dwordx2 s[10:11], s[4:5], 0x18
	s_load_dword s9, s[4:5], 0x64
	s_load_dword s6, s[4:5], 0x74
	v_mov_b32_e32 v2, v1
	s_waitcnt lgkmcnt(0)
	s_mul_i32 s0, s19, s8
	s_mul_hi_u32 s1, s18, s8
	s_add_i32 s1, s1, s0
	s_mul_i32 s0, s18, s8
	s_lshl_b64 s[0:1], s[0:1], 3
	s_add_u32 s2, s12, s0
	s_addc_u32 s3, s13, s1
	s_lshl_b64 s[0:1], s[14:15], 3
	s_add_u32 s2, s2, s0
	s_addc_u32 s3, s3, s1
	s_add_u32 s12, s4, 0x68
	s_addc_u32 s13, s5, 0
	s_lshr_b32 s6, s6, 16
	s_bitcmp0_b32 s9, 0
	s_cbranch_scc1 .LBB189_7
; %bb.1:
	v_cmp_lt_i64_e64 s[0:1], s[28:29], 1
	s_lshl_b32 s9, s6, 3
	s_add_i32 s14, s9, 0
	s_and_b64 vcc, exec, s[0:1]
	s_cbranch_vccnz .LBB189_6
; %bb.2:
	v_lshlrev_b32_e32 v3, 3, v0
	v_mov_b32_e32 v1, 0
	v_cmp_gt_u64_e64 s[0:1], s[28:29], v[0:1]
	v_mov_b32_e32 v4, s3
	v_add_co_u32_e32 v1, vcc, s2, v3
	v_add_u32_e32 v5, s14, v3
	v_addc_co_u32_e32 v6, vcc, 0, v4, vcc
	s_mov_b32 s9, 0
	s_branch .LBB189_4
.LBB189_3:                              ;   in Loop: Header=BB189_4 Depth=1
	s_or_b64 exec, exec, s[2:3]
	s_add_i32 s9, s9, s6
	s_ashr_i32 s2, s9, 31
	v_mov_b32_e32 v3, s9
	v_mov_b32_e32 v4, s2
	v_cmp_le_i64_e32 vcc, s[28:29], v[3:4]
	s_cbranch_vccnz .LBB189_6
.LBB189_4:                              ; =>This Inner Loop Header: Depth=1
	v_add_u32_e32 v3, s9, v2
	v_ashrrev_i32_e32 v4, 31, v3
	v_cmp_gt_i64_e32 vcc, s[28:29], v[3:4]
	v_cmp_lt_i32_e64 s[2:3], v0, v3
	s_and_b64 s[2:3], s[2:3], vcc
	s_and_b64 s[18:19], s[0:1], s[2:3]
	s_and_saveexec_b64 s[2:3], s[18:19]
	s_cbranch_execz .LBB189_3
; %bb.5:                                ;   in Loop: Header=BB189_4 Depth=1
	v_mul_lo_u32 v9, s17, v3
	v_mul_lo_u32 v4, s16, v4
	v_mad_u64_u32 v[7:8], s[18:19], s16, v3, 0
	s_load_dword s15, s[12:13], 0xc
	v_add3_u32 v8, v8, v4, v9
	v_lshlrev_b64 v[7:8], 3, v[7:8]
	v_add_co_u32_e32 v7, vcc, v1, v7
	v_addc_co_u32_e32 v8, vcc, v6, v8, vcc
	global_load_dwordx2 v[7:8], v[7:8], off
	s_waitcnt lgkmcnt(0)
	s_and_b32 s15, s15, 0xffff
	v_mul_lo_u32 v3, v3, s15
	v_lshl_add_u32 v3, v3, 3, v5
	s_waitcnt vmcnt(0)
	ds_write_b64 v3, v[7:8]
	s_branch .LBB189_3
.LBB189_6:
	s_mov_b64 s[0:1], src_shared_base
	s_load_dword s0, s[12:13], 0xc
	s_mov_b32 s15, s1
	s_mov_b32 s17, 0
	s_mov_b64 s[2:3], s[14:15]
	s_waitcnt lgkmcnt(0)
	s_and_b32 s16, s0, 0xffff
.LBB189_7:
	s_mul_i32 s7, s7, s6
	v_add_u32_e32 v3, s7, v2
	v_mov_b32_e32 v4, 0
	v_cmp_gt_i64_e32 vcc, s[30:31], v[3:4]
	s_and_saveexec_b64 s[0:1], vcc
	s_cbranch_execz .LBB189_22
; %bb.8:
	v_mov_b32_e32 v1, v4
	v_cmp_gt_i64_e32 vcc, s[28:29], v[0:1]
	s_and_b64 exec, exec, vcc
	s_cbranch_execz .LBB189_22
; %bb.9:
	s_mul_i32 s0, s27, s8
	s_mul_hi_u32 s1, s26, s8
	v_mad_u64_u32 v[4:5], s[6:7], s24, v3, 0
	s_add_i32 s1, s1, s0
	s_mul_i32 s0, s26, s8
	s_lshl_b64 s[0:1], s[0:1], 3
	s_add_u32 s6, s20, s0
	s_addc_u32 s7, s21, s1
	v_mad_u64_u32 v[5:6], s[0:1], s25, v3, v[5:6]
	s_lshl_b64 s[0:1], s[22:23], 3
	s_add_u32 s0, s6, s0
	v_lshlrev_b64 v[3:4], 3, v[4:5]
	s_addc_u32 s1, s7, s1
	v_mov_b32_e32 v5, s1
	v_add_co_u32_e32 v3, vcc, s0, v3
	v_addc_co_u32_e32 v4, vcc, v5, v4, vcc
	v_lshlrev_b32_e32 v7, 3, v0
	v_add_co_u32_e32 v3, vcc, v3, v7
	v_addc_co_u32_e32 v4, vcc, 0, v4, vcc
	global_load_dwordx2 v[8:9], v[3:4], off
	v_cmp_lt_u64_e64 s[0:1], s[28:29], 2
	s_and_b64 vcc, exec, s[0:1]
	s_waitcnt vmcnt(0)
	v_mul_f32_e32 v5, s11, v9
	v_mul_f32_e32 v6, s10, v9
	v_fma_f32 v5, s10, v8, -v5
	v_fmac_f32_e32 v6, s11, v8
	s_cbranch_vccnz .LBB189_21
; %bb.10:
	s_load_dword s0, s[4:5], 0x0
	v_lshl_add_u32 v2, v2, 3, 0
	s_waitcnt lgkmcnt(0)
	s_cmpk_lg_i32 s0, 0x71
	s_cselect_b64 s[0:1], -1, 0
	s_add_u32 s4, s28, -1
	s_addc_u32 s5, s29, -1
	s_mul_hi_u32 s6, s16, s4
	s_mul_i32 s8, s16, s5
	s_mul_i32 s7, s17, s4
	s_add_i32 s6, s6, s8
	s_add_i32 s7, s6, s7
	s_mul_i32 s6, s16, s4
	s_lshl_b64 s[6:7], s[6:7], 3
	s_add_u32 s2, s2, s6
	s_addc_u32 s3, s3, s7
	v_mov_b32_e32 v8, s3
	v_add_co_u32_e32 v7, vcc, s2, v7
	s_lshl_b64 s[2:3], s[16:17], 3
	s_sub_u32 s8, 0, s2
	v_addc_co_u32_e32 v8, vcc, 0, v8, vcc
	s_subb_u32 s9, 0, s3
.LBB189_11:                             ; =>This Inner Loop Header: Depth=1
	v_cmp_eq_u64_e32 vcc, s[4:5], v[0:1]
	s_barrier
	s_and_saveexec_b64 s[2:3], vcc
; %bb.12:                               ;   in Loop: Header=BB189_11 Depth=1
	ds_write_b64 v2, v[5:6]
; %bb.13:                               ;   in Loop: Header=BB189_11 Depth=1
	s_or_b64 exec, exec, s[2:3]
	v_cmp_gt_i64_e32 vcc, s[4:5], v[0:1]
	s_waitcnt lgkmcnt(0)
	s_barrier
	s_and_saveexec_b64 s[2:3], vcc
	s_cbranch_execz .LBB189_19
; %bb.14:                               ;   in Loop: Header=BB189_11 Depth=1
	s_mov_b64 s[6:7], -1
	s_and_b64 vcc, exec, s[0:1]
                                        ; implicit-def: $vgpr9
	s_cbranch_vccz .LBB189_16
; %bb.15:                               ;   in Loop: Header=BB189_11 Depth=1
	flat_load_dwordx2 v[9:10], v[7:8]
	s_mov_b64 s[6:7], 0
.LBB189_16:                             ;   in Loop: Header=BB189_11 Depth=1
	s_andn2_b64 vcc, exec, s[6:7]
	s_cbranch_vccnz .LBB189_18
; %bb.17:                               ;   in Loop: Header=BB189_11 Depth=1
	s_waitcnt vmcnt(0) lgkmcnt(0)
	flat_load_dwordx2 v[9:10], v[7:8]
	s_waitcnt vmcnt(0) lgkmcnt(0)
	v_xor_b32_e32 v10, 0x80000000, v10
.LBB189_18:                             ;   in Loop: Header=BB189_11 Depth=1
	ds_read_b64 v[11:12], v2
	s_waitcnt vmcnt(0) lgkmcnt(0)
	v_mul_f32_e32 v13, v10, v12
	v_mul_f32_e32 v12, v12, v9
	v_fma_f32 v9, v11, v9, -v13
	v_fmac_f32_e32 v12, v10, v11
	v_sub_f32_e32 v5, v5, v9
	v_sub_f32_e32 v6, v6, v12
.LBB189_19:                             ;   in Loop: Header=BB189_11 Depth=1
	s_or_b64 exec, exec, s[2:3]
	s_add_u32 s2, s4, -1
	s_addc_u32 s3, s5, -1
	s_add_u32 s4, s4, 1
	s_addc_u32 s5, s5, 0
	v_mov_b32_e32 v9, s9
	v_cmp_lt_u64_e64 s[4:5], s[4:5], 3
	v_add_co_u32_e32 v7, vcc, s8, v7
	v_addc_co_u32_e32 v8, vcc, v8, v9, vcc
	s_and_b64 vcc, exec, s[4:5]
	s_cbranch_vccnz .LBB189_21
; %bb.20:                               ;   in Loop: Header=BB189_11 Depth=1
	s_mov_b64 s[4:5], s[2:3]
	s_branch .LBB189_11
.LBB189_21:
	global_store_dwordx2 v[3:4], v[5:6], off
.LBB189_22:
	s_endpgm
	.section	.rodata,"a",@progbits
	.p2align	6, 0x0
	.amdhsa_kernel _ZL40rocblas_trsm_block_backward_substitutionI19rocblas_complex_numIfES1_PKS1_PS1_Lb1ELb1ELb1EEv18rocblas_operation_llT0_T1_lllT2_lllib
		.amdhsa_group_segment_fixed_size 0
		.amdhsa_private_segment_fixed_size 0
		.amdhsa_kernarg_size 360
		.amdhsa_user_sgpr_count 6
		.amdhsa_user_sgpr_private_segment_buffer 1
		.amdhsa_user_sgpr_dispatch_ptr 0
		.amdhsa_user_sgpr_queue_ptr 0
		.amdhsa_user_sgpr_kernarg_segment_ptr 1
		.amdhsa_user_sgpr_dispatch_id 0
		.amdhsa_user_sgpr_flat_scratch_init 0
		.amdhsa_user_sgpr_private_segment_size 0
		.amdhsa_uses_dynamic_stack 0
		.amdhsa_system_sgpr_private_segment_wavefront_offset 0
		.amdhsa_system_sgpr_workgroup_id_x 1
		.amdhsa_system_sgpr_workgroup_id_y 1
		.amdhsa_system_sgpr_workgroup_id_z 1
		.amdhsa_system_sgpr_workgroup_info 0
		.amdhsa_system_vgpr_workitem_id 1
		.amdhsa_next_free_vgpr 14
		.amdhsa_next_free_sgpr 32
		.amdhsa_reserve_vcc 1
		.amdhsa_reserve_flat_scratch 0
		.amdhsa_float_round_mode_32 0
		.amdhsa_float_round_mode_16_64 0
		.amdhsa_float_denorm_mode_32 3
		.amdhsa_float_denorm_mode_16_64 3
		.amdhsa_dx10_clamp 1
		.amdhsa_ieee_mode 1
		.amdhsa_fp16_overflow 0
		.amdhsa_exception_fp_ieee_invalid_op 0
		.amdhsa_exception_fp_denorm_src 0
		.amdhsa_exception_fp_ieee_div_zero 0
		.amdhsa_exception_fp_ieee_overflow 0
		.amdhsa_exception_fp_ieee_underflow 0
		.amdhsa_exception_fp_ieee_inexact 0
		.amdhsa_exception_int_div_zero 0
	.end_amdhsa_kernel
	.section	.text._ZL40rocblas_trsm_block_backward_substitutionI19rocblas_complex_numIfES1_PKS1_PS1_Lb1ELb1ELb1EEv18rocblas_operation_llT0_T1_lllT2_lllib,"axG",@progbits,_ZL40rocblas_trsm_block_backward_substitutionI19rocblas_complex_numIfES1_PKS1_PS1_Lb1ELb1ELb1EEv18rocblas_operation_llT0_T1_lllT2_lllib,comdat
.Lfunc_end189:
	.size	_ZL40rocblas_trsm_block_backward_substitutionI19rocblas_complex_numIfES1_PKS1_PS1_Lb1ELb1ELb1EEv18rocblas_operation_llT0_T1_lllT2_lllib, .Lfunc_end189-_ZL40rocblas_trsm_block_backward_substitutionI19rocblas_complex_numIfES1_PKS1_PS1_Lb1ELb1ELb1EEv18rocblas_operation_llT0_T1_lllT2_lllib
                                        ; -- End function
	.set _ZL40rocblas_trsm_block_backward_substitutionI19rocblas_complex_numIfES1_PKS1_PS1_Lb1ELb1ELb1EEv18rocblas_operation_llT0_T1_lllT2_lllib.num_vgpr, 14
	.set _ZL40rocblas_trsm_block_backward_substitutionI19rocblas_complex_numIfES1_PKS1_PS1_Lb1ELb1ELb1EEv18rocblas_operation_llT0_T1_lllT2_lllib.num_agpr, 0
	.set _ZL40rocblas_trsm_block_backward_substitutionI19rocblas_complex_numIfES1_PKS1_PS1_Lb1ELb1ELb1EEv18rocblas_operation_llT0_T1_lllT2_lllib.numbered_sgpr, 32
	.set _ZL40rocblas_trsm_block_backward_substitutionI19rocblas_complex_numIfES1_PKS1_PS1_Lb1ELb1ELb1EEv18rocblas_operation_llT0_T1_lllT2_lllib.num_named_barrier, 0
	.set _ZL40rocblas_trsm_block_backward_substitutionI19rocblas_complex_numIfES1_PKS1_PS1_Lb1ELb1ELb1EEv18rocblas_operation_llT0_T1_lllT2_lllib.private_seg_size, 0
	.set _ZL40rocblas_trsm_block_backward_substitutionI19rocblas_complex_numIfES1_PKS1_PS1_Lb1ELb1ELb1EEv18rocblas_operation_llT0_T1_lllT2_lllib.uses_vcc, 1
	.set _ZL40rocblas_trsm_block_backward_substitutionI19rocblas_complex_numIfES1_PKS1_PS1_Lb1ELb1ELb1EEv18rocblas_operation_llT0_T1_lllT2_lllib.uses_flat_scratch, 0
	.set _ZL40rocblas_trsm_block_backward_substitutionI19rocblas_complex_numIfES1_PKS1_PS1_Lb1ELb1ELb1EEv18rocblas_operation_llT0_T1_lllT2_lllib.has_dyn_sized_stack, 0
	.set _ZL40rocblas_trsm_block_backward_substitutionI19rocblas_complex_numIfES1_PKS1_PS1_Lb1ELb1ELb1EEv18rocblas_operation_llT0_T1_lllT2_lllib.has_recursion, 0
	.set _ZL40rocblas_trsm_block_backward_substitutionI19rocblas_complex_numIfES1_PKS1_PS1_Lb1ELb1ELb1EEv18rocblas_operation_llT0_T1_lllT2_lllib.has_indirect_call, 0
	.section	.AMDGPU.csdata,"",@progbits
; Kernel info:
; codeLenInByte = 864
; TotalNumSgprs: 36
; NumVgprs: 14
; ScratchSize: 0
; MemoryBound: 0
; FloatMode: 240
; IeeeMode: 1
; LDSByteSize: 0 bytes/workgroup (compile time only)
; SGPRBlocks: 4
; VGPRBlocks: 3
; NumSGPRsForWavesPerEU: 36
; NumVGPRsForWavesPerEU: 14
; Occupancy: 10
; WaveLimiterHint : 1
; COMPUTE_PGM_RSRC2:SCRATCH_EN: 0
; COMPUTE_PGM_RSRC2:USER_SGPR: 6
; COMPUTE_PGM_RSRC2:TRAP_HANDLER: 0
; COMPUTE_PGM_RSRC2:TGID_X_EN: 1
; COMPUTE_PGM_RSRC2:TGID_Y_EN: 1
; COMPUTE_PGM_RSRC2:TGID_Z_EN: 1
; COMPUTE_PGM_RSRC2:TIDIG_COMP_CNT: 1
	.section	.text._ZL39rocblas_trsm_block_forward_substitutionI19rocblas_complex_numIfES1_PKS1_PS1_Lb1ELb0ELb0EEv18rocblas_operation_llT0_T1_lllT2_lllib,"axG",@progbits,_ZL39rocblas_trsm_block_forward_substitutionI19rocblas_complex_numIfES1_PKS1_PS1_Lb1ELb0ELb0EEv18rocblas_operation_llT0_T1_lllT2_lllib,comdat
	.globl	_ZL39rocblas_trsm_block_forward_substitutionI19rocblas_complex_numIfES1_PKS1_PS1_Lb1ELb0ELb0EEv18rocblas_operation_llT0_T1_lllT2_lllib ; -- Begin function _ZL39rocblas_trsm_block_forward_substitutionI19rocblas_complex_numIfES1_PKS1_PS1_Lb1ELb0ELb0EEv18rocblas_operation_llT0_T1_lllT2_lllib
	.p2align	8
	.type	_ZL39rocblas_trsm_block_forward_substitutionI19rocblas_complex_numIfES1_PKS1_PS1_Lb1ELb0ELb0EEv18rocblas_operation_llT0_T1_lllT2_lllib,@function
_ZL39rocblas_trsm_block_forward_substitutionI19rocblas_complex_numIfES1_PKS1_PS1_Lb1ELb0ELb0EEv18rocblas_operation_llT0_T1_lllT2_lllib: ; @_ZL39rocblas_trsm_block_forward_substitutionI19rocblas_complex_numIfES1_PKS1_PS1_Lb1ELb0ELb0EEv18rocblas_operation_llT0_T1_lllT2_lllib
; %bb.0:
	s_load_dword s0, s[4:5], 0x64
	s_load_dwordx4 s[28:31], s[4:5], 0x8
	s_load_dwordx2 s[34:35], s[4:5], 0x18
	s_load_dwordx16 s[12:27], s[4:5], 0x20
	s_load_dword s6, s[4:5], 0x74
	s_waitcnt lgkmcnt(0)
	s_bitcmp1_b32 s0, 0
	s_cselect_b64 s[0:1], -1, 0
	s_xor_b64 s[2:3], s[0:1], -1
	s_mul_i32 s0, s19, s8
	s_mul_hi_u32 s1, s18, s8
	s_add_i32 s1, s1, s0
	s_mul_i32 s0, s18, s8
	s_lshl_b64 s[0:1], s[0:1], 3
	s_add_u32 s9, s12, s0
	s_addc_u32 s10, s13, s1
	s_lshl_b64 s[0:1], s[14:15], 3
	s_add_u32 s0, s9, s0
	s_addc_u32 s1, s10, s1
	s_add_u32 s14, s4, 0x68
	v_mov_b32_e32 v2, v1
	s_addc_u32 s15, s5, 0
	s_lshr_b32 s6, s6, 16
	s_mov_b64 s[12:13], 1
	s_and_b64 vcc, exec, s[2:3]
	s_cbranch_vccnz .LBB190_14
; %bb.1:
	v_cmp_lt_i64_e64 s[12:13], s[28:29], 1
	s_lshl_b32 s9, s6, 3
	s_add_i32 s18, s9, 0
	s_mov_b64 s[10:11], 1
	s_and_b64 vcc, exec, s[12:13]
	s_cbranch_vccnz .LBB190_15
; %bb.2:
	v_mad_u64_u32 v[3:4], s[12:13], s16, v0, 0
	v_lshlrev_b32_e32 v6, 3, v0
	v_add_u32_e32 v10, s18, v6
	v_mov_b32_e32 v1, v4
	v_mad_u64_u32 v[4:5], s[12:13], s17, v0, v[1:2]
	v_mov_b32_e32 v1, 0
	v_cmp_le_u64_e32 vcc, s[28:29], v[0:1]
	v_lshlrev_b64 v[3:4], 3, v[3:4]
	v_mov_b32_e32 v5, s1
	v_add_co_u32_e64 v1, s[0:1], s0, v3
	v_addc_co_u32_e64 v11, s[0:1], v5, v4, s[0:1]
	v_add_co_u32_e64 v3, s[0:1], v1, v6
	v_addc_co_u32_e64 v4, s[0:1], 0, v11, s[0:1]
	s_xor_b64 s[0:1], vcc, -1
	s_mov_b32 s9, s6
	v_mov_b32_e32 v5, v2
	s_branch .LBB190_6
.LBB190_3:                              ;   in Loop: Header=BB190_6 Depth=1
	s_or_b64 exec, exec, s[36:37]
	s_load_dword s19, s[14:15], 0xc
	s_waitcnt lgkmcnt(0)
	s_and_b32 s19, s19, 0xffff
	v_mul_u32_u24_e32 v6, s19, v0
	v_lshl_add_u32 v6, v6, 3, v10
	ds_write_b64 v6, v[8:9]
.LBB190_4:                              ;   in Loop: Header=BB190_6 Depth=1
	s_or_b64 exec, exec, s[16:17]
.LBB190_5:                              ;   in Loop: Header=BB190_6 Depth=1
	s_or_b64 exec, exec, s[12:13]
	s_ashr_i32 s12, s9, 31
	v_mov_b32_e32 v6, s9
	v_mov_b32_e32 v7, s12
	v_cmp_le_i64_e32 vcc, s[28:29], v[6:7]
	v_add_u32_e32 v5, s6, v5
	s_add_i32 s9, s9, s6
	s_cbranch_vccnz .LBB190_15
.LBB190_6:                              ; =>This Inner Loop Header: Depth=1
	v_cmp_gt_i32_e32 vcc, v0, v5
	s_and_b64 s[12:13], s[0:1], vcc
	s_and_saveexec_b64 s[16:17], s[12:13]
	s_xor_b64 s[12:13], exec, s[16:17]
	s_cbranch_execz .LBB190_8
; %bb.7:                                ;   in Loop: Header=BB190_6 Depth=1
	v_ashrrev_i32_e32 v6, 31, v5
	v_lshlrev_b64 v[6:7], 3, v[5:6]
	s_load_dword s16, s[14:15], 0xc
	v_add_co_u32_e32 v6, vcc, v1, v6
	v_addc_co_u32_e32 v7, vcc, v11, v7, vcc
	global_load_dwordx2 v[6:7], v[6:7], off
	s_waitcnt lgkmcnt(0)
	s_and_b32 s16, s16, 0xffff
	v_mul_lo_u32 v8, v5, s16
	v_lshl_add_u32 v8, v8, 3, v10
	s_waitcnt vmcnt(0)
	ds_write_b64 v8, v[6:7]
.LBB190_8:                              ;   in Loop: Header=BB190_6 Depth=1
	s_andn2_saveexec_b64 s[12:13], s[12:13]
	s_cbranch_execz .LBB190_5
; %bb.9:                                ;   in Loop: Header=BB190_6 Depth=1
	v_cmp_eq_u32_e32 vcc, v0, v5
	s_and_b64 s[36:37], s[0:1], vcc
	s_and_saveexec_b64 s[16:17], s[36:37]
	s_cbranch_execz .LBB190_4
; %bb.10:                               ;   in Loop: Header=BB190_6 Depth=1
	global_load_dwordx2 v[6:7], v[3:4], off
                                        ; implicit-def: $vgpr8
	s_waitcnt vmcnt(0)
	v_cmp_ngt_f32_e64 s[36:37], |v6|, |v7|
	s_and_saveexec_b64 s[38:39], s[36:37]
	s_xor_b64 s[36:37], exec, s[38:39]
	s_cbranch_execz .LBB190_12
; %bb.11:                               ;   in Loop: Header=BB190_6 Depth=1
	v_div_scale_f32 v8, s[38:39], v7, v7, v6
	v_div_scale_f32 v9, vcc, v6, v7, v6
	v_rcp_f32_e32 v12, v8
	v_fma_f32 v13, -v8, v12, 1.0
	v_fmac_f32_e32 v12, v13, v12
	v_mul_f32_e32 v13, v9, v12
	v_fma_f32 v14, -v8, v13, v9
	v_fmac_f32_e32 v13, v14, v12
	v_fma_f32 v8, -v8, v13, v9
	v_div_fmas_f32 v8, v8, v12, v13
	v_div_fixup_f32 v8, v8, v7, v6
	v_fmac_f32_e32 v7, v6, v8
	v_div_scale_f32 v6, s[38:39], v7, v7, 1.0
	v_div_scale_f32 v9, vcc, 1.0, v7, 1.0
	v_rcp_f32_e32 v12, v6
	v_fma_f32 v13, -v6, v12, 1.0
	v_fmac_f32_e32 v12, v13, v12
	v_mul_f32_e32 v13, v9, v12
	v_fma_f32 v14, -v6, v13, v9
	v_fmac_f32_e32 v13, v14, v12
	v_fma_f32 v6, -v6, v13, v9
	v_div_fmas_f32 v6, v6, v12, v13
	v_div_fixup_f32 v6, v6, v7, 1.0
	v_mul_f32_e32 v8, v8, v6
	v_xor_b32_e32 v9, 0x80000000, v6
                                        ; implicit-def: $vgpr6_vgpr7
.LBB190_12:                             ;   in Loop: Header=BB190_6 Depth=1
	s_andn2_saveexec_b64 s[36:37], s[36:37]
	s_cbranch_execz .LBB190_3
; %bb.13:                               ;   in Loop: Header=BB190_6 Depth=1
	v_div_scale_f32 v8, s[38:39], v6, v6, v7
	v_div_scale_f32 v9, vcc, v7, v6, v7
	v_rcp_f32_e32 v12, v8
	v_fma_f32 v13, -v8, v12, 1.0
	v_fmac_f32_e32 v12, v13, v12
	v_mul_f32_e32 v13, v9, v12
	v_fma_f32 v14, -v8, v13, v9
	v_fmac_f32_e32 v13, v14, v12
	v_fma_f32 v8, -v8, v13, v9
	v_div_fmas_f32 v8, v8, v12, v13
	v_div_fixup_f32 v9, v8, v6, v7
	v_fmac_f32_e32 v6, v7, v9
	v_div_scale_f32 v7, s[38:39], v6, v6, 1.0
	v_div_scale_f32 v8, vcc, 1.0, v6, 1.0
	v_rcp_f32_e32 v12, v7
	v_fma_f32 v13, -v7, v12, 1.0
	v_fmac_f32_e32 v12, v13, v12
	v_mul_f32_e32 v13, v8, v12
	v_fma_f32 v14, -v7, v13, v8
	v_fmac_f32_e32 v13, v14, v12
	v_fma_f32 v7, -v7, v13, v8
	v_div_fmas_f32 v7, v7, v12, v13
	v_div_fixup_f32 v8, v7, v6, 1.0
	v_mul_f32_e64 v9, v9, -v8
	s_branch .LBB190_3
.LBB190_14:
	s_mov_b64 s[10:11], s[16:17]
	s_branch .LBB190_16
.LBB190_15:
	s_mov_b64 s[0:1], src_shared_base
	s_load_dword s0, s[14:15], 0xc
	s_mov_b32 s19, s1
	s_mov_b32 s13, 0
	s_waitcnt lgkmcnt(0)
	s_and_b32 s12, s0, 0xffff
	s_mov_b64 s[0:1], s[18:19]
.LBB190_16:
	s_mul_i32 s7, s7, s6
	v_add_u32_e32 v3, s7, v2
	v_mov_b32_e32 v4, 0
	v_cmp_gt_i64_e32 vcc, s[30:31], v[3:4]
	s_and_saveexec_b64 s[6:7], vcc
	s_cbranch_execz .LBB190_44
; %bb.17:
	v_mov_b32_e32 v1, v4
	v_cmp_gt_i64_e32 vcc, s[28:29], v[0:1]
	s_and_b64 exec, exec, vcc
	s_cbranch_execz .LBB190_44
; %bb.18:
	s_mul_i32 s6, s27, s8
	s_mul_hi_u32 s7, s26, s8
	s_add_i32 s7, s7, s6
	s_mul_i32 s6, s26, s8
	v_mad_u64_u32 v[4:5], s[8:9], s24, v3, 0
	s_lshl_b64 s[6:7], s[6:7], 3
	s_add_u32 s8, s20, s6
	s_addc_u32 s9, s21, s7
	v_mad_u64_u32 v[5:6], s[6:7], s25, v3, v[5:6]
	s_lshl_b64 s[6:7], s[22:23], 3
	s_add_u32 s6, s8, s6
	v_lshlrev_b64 v[3:4], 3, v[4:5]
	s_addc_u32 s7, s9, s7
	v_mov_b32_e32 v5, s7
	v_add_co_u32_e32 v3, vcc, s6, v3
	v_addc_co_u32_e32 v4, vcc, v5, v4, vcc
	v_lshlrev_b32_e32 v5, 3, v0
	v_add_co_u32_e32 v3, vcc, v3, v5
	v_addc_co_u32_e32 v4, vcc, 0, v4, vcc
	global_load_dwordx2 v[7:8], v[3:4], off
	v_cmp_lt_u64_e64 s[8:9], s[28:29], 2
	s_add_u32 s6, s28, -1
	s_addc_u32 s7, s29, -1
	s_and_b64 vcc, exec, s[8:9]
	s_waitcnt vmcnt(0)
	v_mul_f32_e32 v5, s35, v8
	v_mul_f32_e32 v6, s34, v8
	v_fma_f32 v5, s34, v7, -v5
	v_fmac_f32_e32 v6, s35, v7
	s_cbranch_vccnz .LBB190_35
; %bb.19:
	s_load_dword s4, s[4:5], 0x0
	v_mov_b32_e32 v14, s1
	v_lshl_add_u32 v2, v2, 3, 0
	s_waitcnt lgkmcnt(0)
	s_cmpk_lg_i32 s4, 0x71
	s_cselect_b64 s[4:5], -1, 0
	s_add_u32 s8, s12, s10
	v_mad_u64_u32 v[7:8], s[8:9], s8, v0, 0
	v_mad_u64_u32 v[9:10], s[8:9], s10, v0, 0
	s_addc_u32 s8, s13, s11
	s_lshl_b32 s18, s12, 3
	v_mad_u64_u32 v[11:12], s[8:9], s8, v0, v[8:9]
	v_mov_b32_e32 v8, v10
	v_mad_u64_u32 v[12:13], s[8:9], s11, v0, v[8:9]
	v_mov_b32_e32 v8, v11
	v_lshlrev_b64 v[7:8], 3, v[7:8]
	v_mov_b32_e32 v10, v12
	v_add_co_u32_e32 v7, vcc, s0, v7
	v_lshlrev_b64 v[9:10], 3, v[9:10]
	v_addc_co_u32_e32 v8, vcc, v14, v8, vcc
	v_add_co_u32_e32 v9, vcc, s0, v9
	v_addc_co_u32_e32 v10, vcc, v14, v10, vcc
	s_mov_b64 s[8:9], 0
	s_branch .LBB190_22
.LBB190_20:                             ;   in Loop: Header=BB190_22 Depth=1
	ds_read_b64 v[13:14], v2
	s_waitcnt vmcnt(0) lgkmcnt(0)
	v_mul_f32_e32 v15, v12, v14
	v_mul_f32_e32 v14, v14, v11
	v_fma_f32 v11, v13, v11, -v15
	v_fmac_f32_e32 v14, v12, v13
	v_sub_f32_e32 v5, v5, v11
	v_sub_f32_e32 v6, v6, v14
.LBB190_21:                             ;   in Loop: Header=BB190_22 Depth=1
	s_or_b64 exec, exec, s[14:15]
	s_add_u32 s8, s8, 1
	s_addc_u32 s9, s9, 0
	v_add_co_u32_e32 v9, vcc, s18, v9
	s_cmp_eq_u64 s[6:7], s[8:9]
	v_addc_co_u32_e32 v10, vcc, 0, v10, vcc
	s_cbranch_scc1 .LBB190_35
.LBB190_22:                             ; =>This Inner Loop Header: Depth=1
	v_cmp_eq_u64_e32 vcc, s[8:9], v[0:1]
	s_barrier
	s_and_saveexec_b64 s[14:15], vcc
	s_cbranch_execz .LBB190_30
; %bb.23:                               ;   in Loop: Header=BB190_22 Depth=1
	flat_load_dwordx2 v[11:12], v[7:8]
	s_andn2_b64 vcc, exec, s[2:3]
	s_cbranch_vccnz .LBB190_29
; %bb.24:                               ;   in Loop: Header=BB190_22 Depth=1
	s_waitcnt vmcnt(0) lgkmcnt(0)
	v_cmp_ngt_f32_e64 s[16:17], |v11|, |v12|
	s_and_saveexec_b64 s[20:21], s[16:17]
	s_xor_b64 s[16:17], exec, s[20:21]
	s_cbranch_execz .LBB190_26
; %bb.25:                               ;   in Loop: Header=BB190_22 Depth=1
	v_div_scale_f32 v13, s[20:21], v12, v12, v11
	v_div_scale_f32 v14, vcc, v11, v12, v11
	v_rcp_f32_e32 v15, v13
	v_fma_f32 v16, -v13, v15, 1.0
	v_fmac_f32_e32 v15, v16, v15
	v_mul_f32_e32 v16, v14, v15
	v_fma_f32 v17, -v13, v16, v14
	v_fmac_f32_e32 v16, v17, v15
	v_fma_f32 v13, -v13, v16, v14
	v_div_fmas_f32 v13, v13, v15, v16
	v_div_fixup_f32 v13, v13, v12, v11
	v_fmac_f32_e32 v12, v11, v13
	v_div_scale_f32 v11, s[20:21], v12, v12, 1.0
	v_div_scale_f32 v14, vcc, 1.0, v12, 1.0
	v_rcp_f32_e32 v15, v11
	v_fma_f32 v16, -v11, v15, 1.0
	v_fmac_f32_e32 v15, v16, v15
	v_mul_f32_e32 v16, v14, v15
	v_fma_f32 v17, -v11, v16, v14
	v_fmac_f32_e32 v16, v17, v15
	v_fma_f32 v11, -v11, v16, v14
	v_div_fmas_f32 v11, v11, v15, v16
	v_div_fixup_f32 v12, v11, v12, 1.0
	v_mul_f32_e32 v11, v13, v12
	v_xor_b32_e32 v12, 0x80000000, v12
.LBB190_26:                             ;   in Loop: Header=BB190_22 Depth=1
	s_andn2_saveexec_b64 s[16:17], s[16:17]
	s_cbranch_execz .LBB190_28
; %bb.27:                               ;   in Loop: Header=BB190_22 Depth=1
	v_div_scale_f32 v13, s[20:21], v11, v11, v12
	v_div_scale_f32 v14, vcc, v12, v11, v12
	v_rcp_f32_e32 v15, v13
	v_fma_f32 v16, -v13, v15, 1.0
	v_fmac_f32_e32 v15, v16, v15
	v_mul_f32_e32 v16, v14, v15
	v_fma_f32 v17, -v13, v16, v14
	v_fmac_f32_e32 v16, v17, v15
	v_fma_f32 v13, -v13, v16, v14
	v_div_fmas_f32 v13, v13, v15, v16
	v_div_fixup_f32 v13, v13, v11, v12
	v_fmac_f32_e32 v11, v12, v13
	v_div_scale_f32 v12, s[20:21], v11, v11, 1.0
	v_div_scale_f32 v14, vcc, 1.0, v11, 1.0
	v_rcp_f32_e32 v15, v12
	v_fma_f32 v16, -v12, v15, 1.0
	v_fmac_f32_e32 v15, v16, v15
	v_mul_f32_e32 v16, v14, v15
	v_fma_f32 v17, -v12, v16, v14
	v_fmac_f32_e32 v16, v17, v15
	v_fma_f32 v12, -v12, v16, v14
	v_div_fmas_f32 v12, v12, v15, v16
	v_div_fixup_f32 v11, v12, v11, 1.0
	v_mul_f32_e64 v12, v13, -v11
.LBB190_28:                             ;   in Loop: Header=BB190_22 Depth=1
	s_or_b64 exec, exec, s[16:17]
.LBB190_29:                             ;   in Loop: Header=BB190_22 Depth=1
	s_waitcnt vmcnt(0) lgkmcnt(0)
	v_mul_f32_e32 v13, v6, v12
	v_mul_f32_e32 v14, v5, v12
	v_fma_f32 v13, v5, v11, -v13
	v_fmac_f32_e32 v14, v6, v11
	v_mov_b32_e32 v6, v14
	v_mov_b32_e32 v5, v13
	ds_write_b64 v2, v[13:14]
.LBB190_30:                             ;   in Loop: Header=BB190_22 Depth=1
	s_or_b64 exec, exec, s[14:15]
	v_cmp_lt_u64_e32 vcc, s[8:9], v[0:1]
	s_waitcnt lgkmcnt(0)
	s_barrier
	s_and_saveexec_b64 s[14:15], vcc
	s_cbranch_execz .LBB190_21
; %bb.31:                               ;   in Loop: Header=BB190_22 Depth=1
	s_mov_b64 s[16:17], -1
	s_and_b64 vcc, exec, s[4:5]
                                        ; implicit-def: $vgpr11
	s_cbranch_vccz .LBB190_33
; %bb.32:                               ;   in Loop: Header=BB190_22 Depth=1
	flat_load_dwordx2 v[11:12], v[9:10]
	s_mov_b64 s[16:17], 0
.LBB190_33:                             ;   in Loop: Header=BB190_22 Depth=1
	s_andn2_b64 vcc, exec, s[16:17]
	s_cbranch_vccnz .LBB190_20
; %bb.34:                               ;   in Loop: Header=BB190_22 Depth=1
	s_waitcnt vmcnt(0) lgkmcnt(0)
	flat_load_dwordx2 v[11:12], v[9:10]
	s_waitcnt vmcnt(0) lgkmcnt(0)
	v_xor_b32_e32 v12, 0x80000000, v12
	s_branch .LBB190_20
.LBB190_35:
	v_cmp_eq_u64_e32 vcc, s[6:7], v[0:1]
	s_and_saveexec_b64 s[4:5], vcc
	s_cbranch_execz .LBB190_43
; %bb.36:
	s_add_u32 s6, s12, s10
	v_mad_u64_u32 v[1:2], s[6:7], s6, v0, 0
	s_addc_u32 s6, s13, s11
	v_mad_u64_u32 v[7:8], s[6:7], s6, v0, v[2:3]
	v_mov_b32_e32 v8, s1
	v_mov_b32_e32 v2, v7
	v_lshlrev_b64 v[0:1], 3, v[1:2]
	v_add_co_u32_e32 v0, vcc, s0, v0
	v_addc_co_u32_e32 v1, vcc, v8, v1, vcc
	flat_load_dwordx2 v[0:1], v[0:1]
	s_andn2_b64 vcc, exec, s[2:3]
	s_cbranch_vccnz .LBB190_42
; %bb.37:
	s_waitcnt vmcnt(0) lgkmcnt(0)
	v_cmp_ngt_f32_e64 s[0:1], |v0|, |v1|
	s_and_saveexec_b64 s[2:3], s[0:1]
	s_xor_b64 s[0:1], exec, s[2:3]
	s_cbranch_execz .LBB190_39
; %bb.38:
	v_div_scale_f32 v2, s[2:3], v1, v1, v0
	v_div_scale_f32 v7, vcc, v0, v1, v0
	v_rcp_f32_e32 v8, v2
	v_fma_f32 v9, -v2, v8, 1.0
	v_fmac_f32_e32 v8, v9, v8
	v_mul_f32_e32 v9, v7, v8
	v_fma_f32 v10, -v2, v9, v7
	v_fmac_f32_e32 v9, v10, v8
	v_fma_f32 v2, -v2, v9, v7
	v_div_fmas_f32 v2, v2, v8, v9
	v_div_fixup_f32 v2, v2, v1, v0
	v_fmac_f32_e32 v1, v0, v2
	v_div_scale_f32 v0, s[2:3], v1, v1, 1.0
	v_div_scale_f32 v7, vcc, 1.0, v1, 1.0
	v_rcp_f32_e32 v8, v0
	v_fma_f32 v9, -v0, v8, 1.0
	v_fmac_f32_e32 v8, v9, v8
	v_mul_f32_e32 v9, v7, v8
	v_fma_f32 v10, -v0, v9, v7
	v_fmac_f32_e32 v9, v10, v8
	v_fma_f32 v0, -v0, v9, v7
	v_div_fmas_f32 v0, v0, v8, v9
	v_div_fixup_f32 v1, v0, v1, 1.0
	v_mul_f32_e32 v0, v2, v1
	v_xor_b32_e32 v1, 0x80000000, v1
.LBB190_39:
	s_andn2_saveexec_b64 s[0:1], s[0:1]
	s_cbranch_execz .LBB190_41
; %bb.40:
	v_div_scale_f32 v2, s[2:3], v0, v0, v1
	v_div_scale_f32 v7, vcc, v1, v0, v1
	v_rcp_f32_e32 v8, v2
	v_fma_f32 v9, -v2, v8, 1.0
	v_fmac_f32_e32 v8, v9, v8
	v_mul_f32_e32 v9, v7, v8
	v_fma_f32 v10, -v2, v9, v7
	v_fmac_f32_e32 v9, v10, v8
	v_fma_f32 v2, -v2, v9, v7
	v_div_fmas_f32 v2, v2, v8, v9
	v_div_fixup_f32 v2, v2, v0, v1
	v_fmac_f32_e32 v0, v1, v2
	v_div_scale_f32 v1, s[2:3], v0, v0, 1.0
	v_div_scale_f32 v7, vcc, 1.0, v0, 1.0
	v_rcp_f32_e32 v8, v1
	v_fma_f32 v9, -v1, v8, 1.0
	v_fmac_f32_e32 v8, v9, v8
	v_mul_f32_e32 v9, v7, v8
	v_fma_f32 v10, -v1, v9, v7
	v_fmac_f32_e32 v9, v10, v8
	v_fma_f32 v1, -v1, v9, v7
	v_div_fmas_f32 v1, v1, v8, v9
	v_div_fixup_f32 v0, v1, v0, 1.0
	v_mul_f32_e64 v1, v2, -v0
.LBB190_41:
	s_or_b64 exec, exec, s[0:1]
.LBB190_42:
	s_waitcnt vmcnt(0) lgkmcnt(0)
	v_mul_f32_e32 v2, v6, v1
	v_fma_f32 v2, v5, v0, -v2
	v_mul_f32_e32 v6, v6, v0
	v_fmac_f32_e32 v6, v5, v1
	v_mov_b32_e32 v5, v2
.LBB190_43:
	s_or_b64 exec, exec, s[4:5]
	global_store_dwordx2 v[3:4], v[5:6], off
.LBB190_44:
	s_endpgm
	.section	.rodata,"a",@progbits
	.p2align	6, 0x0
	.amdhsa_kernel _ZL39rocblas_trsm_block_forward_substitutionI19rocblas_complex_numIfES1_PKS1_PS1_Lb1ELb0ELb0EEv18rocblas_operation_llT0_T1_lllT2_lllib
		.amdhsa_group_segment_fixed_size 0
		.amdhsa_private_segment_fixed_size 0
		.amdhsa_kernarg_size 360
		.amdhsa_user_sgpr_count 6
		.amdhsa_user_sgpr_private_segment_buffer 1
		.amdhsa_user_sgpr_dispatch_ptr 0
		.amdhsa_user_sgpr_queue_ptr 0
		.amdhsa_user_sgpr_kernarg_segment_ptr 1
		.amdhsa_user_sgpr_dispatch_id 0
		.amdhsa_user_sgpr_flat_scratch_init 0
		.amdhsa_user_sgpr_private_segment_size 0
		.amdhsa_uses_dynamic_stack 0
		.amdhsa_system_sgpr_private_segment_wavefront_offset 0
		.amdhsa_system_sgpr_workgroup_id_x 1
		.amdhsa_system_sgpr_workgroup_id_y 1
		.amdhsa_system_sgpr_workgroup_id_z 1
		.amdhsa_system_sgpr_workgroup_info 0
		.amdhsa_system_vgpr_workitem_id 1
		.amdhsa_next_free_vgpr 18
		.amdhsa_next_free_sgpr 40
		.amdhsa_reserve_vcc 1
		.amdhsa_reserve_flat_scratch 0
		.amdhsa_float_round_mode_32 0
		.amdhsa_float_round_mode_16_64 0
		.amdhsa_float_denorm_mode_32 3
		.amdhsa_float_denorm_mode_16_64 3
		.amdhsa_dx10_clamp 1
		.amdhsa_ieee_mode 1
		.amdhsa_fp16_overflow 0
		.amdhsa_exception_fp_ieee_invalid_op 0
		.amdhsa_exception_fp_denorm_src 0
		.amdhsa_exception_fp_ieee_div_zero 0
		.amdhsa_exception_fp_ieee_overflow 0
		.amdhsa_exception_fp_ieee_underflow 0
		.amdhsa_exception_fp_ieee_inexact 0
		.amdhsa_exception_int_div_zero 0
	.end_amdhsa_kernel
	.section	.text._ZL39rocblas_trsm_block_forward_substitutionI19rocblas_complex_numIfES1_PKS1_PS1_Lb1ELb0ELb0EEv18rocblas_operation_llT0_T1_lllT2_lllib,"axG",@progbits,_ZL39rocblas_trsm_block_forward_substitutionI19rocblas_complex_numIfES1_PKS1_PS1_Lb1ELb0ELb0EEv18rocblas_operation_llT0_T1_lllT2_lllib,comdat
.Lfunc_end190:
	.size	_ZL39rocblas_trsm_block_forward_substitutionI19rocblas_complex_numIfES1_PKS1_PS1_Lb1ELb0ELb0EEv18rocblas_operation_llT0_T1_lllT2_lllib, .Lfunc_end190-_ZL39rocblas_trsm_block_forward_substitutionI19rocblas_complex_numIfES1_PKS1_PS1_Lb1ELb0ELb0EEv18rocblas_operation_llT0_T1_lllT2_lllib
                                        ; -- End function
	.set _ZL39rocblas_trsm_block_forward_substitutionI19rocblas_complex_numIfES1_PKS1_PS1_Lb1ELb0ELb0EEv18rocblas_operation_llT0_T1_lllT2_lllib.num_vgpr, 18
	.set _ZL39rocblas_trsm_block_forward_substitutionI19rocblas_complex_numIfES1_PKS1_PS1_Lb1ELb0ELb0EEv18rocblas_operation_llT0_T1_lllT2_lllib.num_agpr, 0
	.set _ZL39rocblas_trsm_block_forward_substitutionI19rocblas_complex_numIfES1_PKS1_PS1_Lb1ELb0ELb0EEv18rocblas_operation_llT0_T1_lllT2_lllib.numbered_sgpr, 40
	.set _ZL39rocblas_trsm_block_forward_substitutionI19rocblas_complex_numIfES1_PKS1_PS1_Lb1ELb0ELb0EEv18rocblas_operation_llT0_T1_lllT2_lllib.num_named_barrier, 0
	.set _ZL39rocblas_trsm_block_forward_substitutionI19rocblas_complex_numIfES1_PKS1_PS1_Lb1ELb0ELb0EEv18rocblas_operation_llT0_T1_lllT2_lllib.private_seg_size, 0
	.set _ZL39rocblas_trsm_block_forward_substitutionI19rocblas_complex_numIfES1_PKS1_PS1_Lb1ELb0ELb0EEv18rocblas_operation_llT0_T1_lllT2_lllib.uses_vcc, 1
	.set _ZL39rocblas_trsm_block_forward_substitutionI19rocblas_complex_numIfES1_PKS1_PS1_Lb1ELb0ELb0EEv18rocblas_operation_llT0_T1_lllT2_lllib.uses_flat_scratch, 0
	.set _ZL39rocblas_trsm_block_forward_substitutionI19rocblas_complex_numIfES1_PKS1_PS1_Lb1ELb0ELb0EEv18rocblas_operation_llT0_T1_lllT2_lllib.has_dyn_sized_stack, 0
	.set _ZL39rocblas_trsm_block_forward_substitutionI19rocblas_complex_numIfES1_PKS1_PS1_Lb1ELb0ELb0EEv18rocblas_operation_llT0_T1_lllT2_lllib.has_recursion, 0
	.set _ZL39rocblas_trsm_block_forward_substitutionI19rocblas_complex_numIfES1_PKS1_PS1_Lb1ELb0ELb0EEv18rocblas_operation_llT0_T1_lllT2_lllib.has_indirect_call, 0
	.section	.AMDGPU.csdata,"",@progbits
; Kernel info:
; codeLenInByte = 2216
; TotalNumSgprs: 44
; NumVgprs: 18
; ScratchSize: 0
; MemoryBound: 0
; FloatMode: 240
; IeeeMode: 1
; LDSByteSize: 0 bytes/workgroup (compile time only)
; SGPRBlocks: 5
; VGPRBlocks: 4
; NumSGPRsForWavesPerEU: 44
; NumVGPRsForWavesPerEU: 18
; Occupancy: 10
; WaveLimiterHint : 1
; COMPUTE_PGM_RSRC2:SCRATCH_EN: 0
; COMPUTE_PGM_RSRC2:USER_SGPR: 6
; COMPUTE_PGM_RSRC2:TRAP_HANDLER: 0
; COMPUTE_PGM_RSRC2:TGID_X_EN: 1
; COMPUTE_PGM_RSRC2:TGID_Y_EN: 1
; COMPUTE_PGM_RSRC2:TGID_Z_EN: 1
; COMPUTE_PGM_RSRC2:TIDIG_COMP_CNT: 1
	.section	.text._ZL40rocblas_trsm_block_backward_substitutionI19rocblas_complex_numIfES1_PKS1_PS1_Lb1ELb0ELb0EEv18rocblas_operation_llT0_T1_lllT2_lllib,"axG",@progbits,_ZL40rocblas_trsm_block_backward_substitutionI19rocblas_complex_numIfES1_PKS1_PS1_Lb1ELb0ELb0EEv18rocblas_operation_llT0_T1_lllT2_lllib,comdat
	.globl	_ZL40rocblas_trsm_block_backward_substitutionI19rocblas_complex_numIfES1_PKS1_PS1_Lb1ELb0ELb0EEv18rocblas_operation_llT0_T1_lllT2_lllib ; -- Begin function _ZL40rocblas_trsm_block_backward_substitutionI19rocblas_complex_numIfES1_PKS1_PS1_Lb1ELb0ELb0EEv18rocblas_operation_llT0_T1_lllT2_lllib
	.p2align	8
	.type	_ZL40rocblas_trsm_block_backward_substitutionI19rocblas_complex_numIfES1_PKS1_PS1_Lb1ELb0ELb0EEv18rocblas_operation_llT0_T1_lllT2_lllib,@function
_ZL40rocblas_trsm_block_backward_substitutionI19rocblas_complex_numIfES1_PKS1_PS1_Lb1ELb0ELb0EEv18rocblas_operation_llT0_T1_lllT2_lllib: ; @_ZL40rocblas_trsm_block_backward_substitutionI19rocblas_complex_numIfES1_PKS1_PS1_Lb1ELb0ELb0EEv18rocblas_operation_llT0_T1_lllT2_lllib
; %bb.0:
	s_load_dword s0, s[4:5], 0x64
	s_load_dwordx4 s[28:31], s[4:5], 0x8
	s_load_dwordx2 s[34:35], s[4:5], 0x18
	s_load_dwordx16 s[12:27], s[4:5], 0x20
	s_load_dword s6, s[4:5], 0x74
	s_waitcnt lgkmcnt(0)
	s_bitcmp1_b32 s0, 0
	s_cselect_b64 s[0:1], -1, 0
	s_xor_b64 s[10:11], s[0:1], -1
	s_mul_i32 s0, s19, s8
	s_mul_hi_u32 s1, s18, s8
	s_add_i32 s1, s1, s0
	s_mul_i32 s0, s18, s8
	s_lshl_b64 s[0:1], s[0:1], 3
	s_add_u32 s2, s12, s0
	s_addc_u32 s3, s13, s1
	s_lshl_b64 s[0:1], s[14:15], 3
	s_add_u32 s2, s2, s0
	s_addc_u32 s3, s3, s1
	s_add_u32 s12, s4, 0x68
	v_mov_b32_e32 v2, v1
	s_addc_u32 s13, s5, 0
	s_lshr_b32 s6, s6, 16
	s_and_b64 vcc, exec, s[10:11]
	s_cbranch_vccnz .LBB191_16
; %bb.1:
	v_cmp_lt_i64_e64 s[0:1], s[28:29], 1
	s_lshl_b32 s9, s6, 3
	s_add_i32 s14, s9, 0
	s_and_b64 vcc, exec, s[0:1]
	s_cbranch_vccnz .LBB191_15
; %bb.2:
	v_mad_u64_u32 v[3:4], s[0:1], s16, v0, 0
	v_mov_b32_e32 v1, 0
	v_cmp_le_u64_e64 s[18:19], s[28:29], v[0:1]
	v_cmp_gt_u64_e64 s[0:1], s[28:29], v[0:1]
	v_mov_b32_e32 v1, v4
	v_mad_u64_u32 v[4:5], s[36:37], s17, v0, v[1:2]
	v_lshlrev_b32_e32 v6, 3, v0
	v_mov_b32_e32 v7, s3
	v_add_co_u32_e32 v1, vcc, s2, v6
	v_lshlrev_b64 v[3:4], 3, v[3:4]
	v_addc_co_u32_e32 v11, vcc, 0, v7, vcc
	v_add_co_u32_e32 v3, vcc, v1, v3
	v_add_u32_e32 v10, s14, v6
	v_addc_co_u32_e32 v4, vcc, v11, v4, vcc
	s_xor_b64 s[36:37], s[18:19], -1
	s_mov_b32 s9, s6
	v_mov_b32_e32 v5, v2
	s_branch .LBB191_5
.LBB191_3:                              ;   in Loop: Header=BB191_5 Depth=1
	s_or_b64 exec, exec, s[38:39]
	s_load_dword s15, s[12:13], 0xc
	s_waitcnt lgkmcnt(0)
	s_and_b32 s15, s15, 0xffff
	v_mul_u32_u24_e32 v6, s15, v0
	v_lshl_add_u32 v6, v6, 3, v10
	ds_write_b64 v6, v[8:9]
.LBB191_4:                              ;   in Loop: Header=BB191_5 Depth=1
	s_or_b64 exec, exec, s[2:3]
	s_ashr_i32 s2, s9, 31
	v_mov_b32_e32 v6, s9
	v_mov_b32_e32 v7, s2
	v_cmp_le_i64_e32 vcc, s[28:29], v[6:7]
	v_add_u32_e32 v5, s6, v5
	s_add_i32 s9, s9, s6
	s_cbranch_vccnz .LBB191_15
.LBB191_5:                              ; =>This Inner Loop Header: Depth=1
	s_mov_b64 s[40:41], s[18:19]
	s_and_saveexec_b64 s[38:39], s[0:1]
	s_cbranch_execz .LBB191_9
; %bb.6:                                ;   in Loop: Header=BB191_5 Depth=1
	v_ashrrev_i32_e32 v6, 31, v5
	v_cmp_gt_i64_e32 vcc, s[28:29], v[5:6]
	v_cmp_lt_i32_e64 s[2:3], v0, v5
	s_and_b64 s[42:43], s[2:3], vcc
	s_mov_b64 s[40:41], -1
	s_and_saveexec_b64 s[2:3], s[42:43]
	s_cbranch_execz .LBB191_8
; %bb.7:                                ;   in Loop: Header=BB191_5 Depth=1
	v_mul_lo_u32 v8, s17, v5
	v_mul_lo_u32 v9, s16, v6
	v_mad_u64_u32 v[6:7], s[40:41], s16, v5, 0
	s_load_dword s15, s[12:13], 0xc
	s_xor_b64 s[40:41], exec, -1
	v_add3_u32 v7, v7, v9, v8
	v_lshlrev_b64 v[6:7], 3, v[6:7]
	v_add_co_u32_e32 v6, vcc, v1, v6
	v_addc_co_u32_e32 v7, vcc, v11, v7, vcc
	global_load_dwordx2 v[6:7], v[6:7], off
	s_waitcnt lgkmcnt(0)
	s_and_b32 s15, s15, 0xffff
	v_mul_lo_u32 v8, v5, s15
	v_lshl_add_u32 v8, v8, 3, v10
	s_waitcnt vmcnt(0)
	ds_write_b64 v8, v[6:7]
.LBB191_8:                              ;   in Loop: Header=BB191_5 Depth=1
	s_or_b64 exec, exec, s[2:3]
	s_andn2_b64 s[2:3], s[18:19], exec
	s_and_b64 s[40:41], s[40:41], exec
	s_or_b64 s[40:41], s[2:3], s[40:41]
.LBB191_9:                              ;   in Loop: Header=BB191_5 Depth=1
	s_or_b64 exec, exec, s[38:39]
	s_and_saveexec_b64 s[2:3], s[40:41]
	s_cbranch_execz .LBB191_4
; %bb.10:                               ;   in Loop: Header=BB191_5 Depth=1
	v_cmp_eq_u32_e32 vcc, v0, v5
	s_and_b64 s[38:39], s[36:37], vcc
	s_and_b64 exec, exec, s[38:39]
	s_cbranch_execz .LBB191_4
; %bb.11:                               ;   in Loop: Header=BB191_5 Depth=1
	global_load_dwordx2 v[6:7], v[3:4], off
                                        ; implicit-def: $vgpr8
	s_waitcnt vmcnt(0)
	v_cmp_ngt_f32_e64 s[38:39], |v6|, |v7|
	s_and_saveexec_b64 s[40:41], s[38:39]
	s_xor_b64 s[38:39], exec, s[40:41]
	s_cbranch_execz .LBB191_13
; %bb.12:                               ;   in Loop: Header=BB191_5 Depth=1
	v_div_scale_f32 v8, s[40:41], v7, v7, v6
	v_div_scale_f32 v9, vcc, v6, v7, v6
	v_rcp_f32_e32 v12, v8
	v_fma_f32 v13, -v8, v12, 1.0
	v_fmac_f32_e32 v12, v13, v12
	v_mul_f32_e32 v13, v9, v12
	v_fma_f32 v14, -v8, v13, v9
	v_fmac_f32_e32 v13, v14, v12
	v_fma_f32 v8, -v8, v13, v9
	v_div_fmas_f32 v8, v8, v12, v13
	v_div_fixup_f32 v8, v8, v7, v6
	v_fmac_f32_e32 v7, v6, v8
	v_div_scale_f32 v6, s[40:41], v7, v7, 1.0
	v_div_scale_f32 v9, vcc, 1.0, v7, 1.0
	v_rcp_f32_e32 v12, v6
	v_fma_f32 v13, -v6, v12, 1.0
	v_fmac_f32_e32 v12, v13, v12
	v_mul_f32_e32 v13, v9, v12
	v_fma_f32 v14, -v6, v13, v9
	v_fmac_f32_e32 v13, v14, v12
	v_fma_f32 v6, -v6, v13, v9
	v_div_fmas_f32 v6, v6, v12, v13
	v_div_fixup_f32 v6, v6, v7, 1.0
	v_mul_f32_e32 v8, v8, v6
	v_xor_b32_e32 v9, 0x80000000, v6
                                        ; implicit-def: $vgpr6_vgpr7
.LBB191_13:                             ;   in Loop: Header=BB191_5 Depth=1
	s_andn2_saveexec_b64 s[38:39], s[38:39]
	s_cbranch_execz .LBB191_3
; %bb.14:                               ;   in Loop: Header=BB191_5 Depth=1
	v_div_scale_f32 v8, s[40:41], v6, v6, v7
	v_div_scale_f32 v9, vcc, v7, v6, v7
	v_rcp_f32_e32 v12, v8
	v_fma_f32 v13, -v8, v12, 1.0
	v_fmac_f32_e32 v12, v13, v12
	v_mul_f32_e32 v13, v9, v12
	v_fma_f32 v14, -v8, v13, v9
	v_fmac_f32_e32 v13, v14, v12
	v_fma_f32 v8, -v8, v13, v9
	v_div_fmas_f32 v8, v8, v12, v13
	v_div_fixup_f32 v9, v8, v6, v7
	v_fmac_f32_e32 v6, v7, v9
	v_div_scale_f32 v7, s[40:41], v6, v6, 1.0
	v_div_scale_f32 v8, vcc, 1.0, v6, 1.0
	v_rcp_f32_e32 v12, v7
	v_fma_f32 v13, -v7, v12, 1.0
	v_fmac_f32_e32 v12, v13, v12
	v_mul_f32_e32 v13, v8, v12
	v_fma_f32 v14, -v7, v13, v8
	v_fmac_f32_e32 v13, v14, v12
	v_fma_f32 v7, -v7, v13, v8
	v_div_fmas_f32 v7, v7, v12, v13
	v_div_fixup_f32 v8, v7, v6, 1.0
	v_mul_f32_e64 v9, v9, -v8
	s_branch .LBB191_3
.LBB191_15:
	s_mov_b64 s[0:1], src_shared_base
	s_load_dword s0, s[12:13], 0xc
	s_mov_b32 s15, s1
	s_mov_b32 s17, 0
	s_mov_b64 s[2:3], s[14:15]
	s_waitcnt lgkmcnt(0)
	s_and_b32 s16, s0, 0xffff
.LBB191_16:
	s_mul_i32 s7, s7, s6
	v_add_u32_e32 v3, s7, v2
	v_mov_b32_e32 v4, 0
	v_cmp_gt_i64_e32 vcc, s[30:31], v[3:4]
	s_and_saveexec_b64 s[0:1], vcc
	s_cbranch_execz .LBB191_45
; %bb.17:
	v_mov_b32_e32 v1, v4
	v_cmp_gt_i64_e32 vcc, s[28:29], v[0:1]
	s_and_b64 exec, exec, vcc
	s_cbranch_execz .LBB191_45
; %bb.18:
	s_mul_i32 s0, s27, s8
	s_mul_hi_u32 s1, s26, s8
	v_mad_u64_u32 v[5:6], s[6:7], s24, v0, 0
	s_add_i32 s1, s1, s0
	s_mul_i32 s0, s26, s8
	s_lshl_b64 s[0:1], s[0:1], 3
	s_add_u32 s6, s20, s0
	s_addc_u32 s7, s21, s1
	v_mad_u64_u32 v[6:7], s[0:1], s25, v0, v[6:7]
	s_lshl_b64 s[0:1], s[22:23], 3
	s_add_u32 s0, s6, s0
	v_lshlrev_b64 v[5:6], 3, v[5:6]
	s_addc_u32 s1, s7, s1
	v_mov_b32_e32 v7, s1
	v_add_co_u32_e32 v5, vcc, s0, v5
	v_lshlrev_b64 v[3:4], 3, v[3:4]
	v_addc_co_u32_e32 v6, vcc, v7, v6, vcc
	v_add_co_u32_e32 v3, vcc, v5, v3
	v_addc_co_u32_e32 v4, vcc, v6, v4, vcc
	global_load_dwordx2 v[7:8], v[3:4], off
	v_cmp_lt_u64_e64 s[0:1], s[28:29], 2
	s_and_b64 vcc, exec, s[0:1]
	s_waitcnt vmcnt(0)
	v_mul_f32_e32 v5, s35, v8
	v_mul_f32_e32 v6, s34, v8
	v_fma_f32 v5, s34, v7, -v5
	v_fmac_f32_e32 v6, s35, v7
	s_cbranch_vccnz .LBB191_36
; %bb.19:
	s_load_dword s4, s[4:5], 0x0
	v_mad_u64_u32 v[7:8], s[0:1], v0, s16, v[0:1]
	v_lshl_add_u32 v2, v2, 3, 0
	v_mad_u64_u32 v[8:9], s[0:1], v0, s17, v[8:9]
	s_waitcnt lgkmcnt(0)
	s_cmpk_lg_i32 s4, 0x71
	s_cselect_b64 s[0:1], -1, 0
	s_add_u32 s4, s28, -1
	s_addc_u32 s5, s29, -1
	s_mul_i32 s6, s16, s5
	s_mul_hi_u32 s7, s16, s4
	s_add_i32 s6, s7, s6
	s_mul_i32 s7, s17, s4
	v_lshlrev_b64 v[7:8], 3, v[7:8]
	s_add_i32 s7, s6, s7
	s_mul_i32 s6, s16, s4
	s_lshl_b64 s[6:7], s[6:7], 3
	v_mov_b32_e32 v9, s3
	v_add_co_u32_e32 v7, vcc, s2, v7
	s_add_u32 s6, s2, s6
	v_addc_co_u32_e32 v8, vcc, v9, v8, vcc
	v_lshlrev_b32_e32 v9, 3, v0
	s_addc_u32 s7, s3, s7
	v_mov_b32_e32 v10, s7
	v_add_co_u32_e32 v9, vcc, s6, v9
	s_lshl_b64 s[6:7], s[16:17], 3
	s_sub_u32 s12, 0, s6
	v_addc_co_u32_e32 v10, vcc, 0, v10, vcc
	s_subb_u32 s13, 0, s7
.LBB191_20:                             ; =>This Inner Loop Header: Depth=1
	v_cmp_eq_u64_e32 vcc, s[4:5], v[0:1]
	s_barrier
	s_and_saveexec_b64 s[6:7], vcc
	s_cbranch_execz .LBB191_28
; %bb.21:                               ;   in Loop: Header=BB191_20 Depth=1
	flat_load_dwordx2 v[11:12], v[7:8]
	s_andn2_b64 vcc, exec, s[10:11]
	s_cbranch_vccnz .LBB191_27
; %bb.22:                               ;   in Loop: Header=BB191_20 Depth=1
	s_waitcnt vmcnt(0) lgkmcnt(0)
	v_cmp_ngt_f32_e64 s[8:9], |v11|, |v12|
	s_and_saveexec_b64 s[14:15], s[8:9]
	s_xor_b64 s[8:9], exec, s[14:15]
	s_cbranch_execz .LBB191_24
; %bb.23:                               ;   in Loop: Header=BB191_20 Depth=1
	v_div_scale_f32 v13, s[14:15], v12, v12, v11
	v_div_scale_f32 v14, vcc, v11, v12, v11
	v_rcp_f32_e32 v15, v13
	v_fma_f32 v16, -v13, v15, 1.0
	v_fmac_f32_e32 v15, v16, v15
	v_mul_f32_e32 v16, v14, v15
	v_fma_f32 v17, -v13, v16, v14
	v_fmac_f32_e32 v16, v17, v15
	v_fma_f32 v13, -v13, v16, v14
	v_div_fmas_f32 v13, v13, v15, v16
	v_div_fixup_f32 v13, v13, v12, v11
	v_fmac_f32_e32 v12, v11, v13
	v_div_scale_f32 v11, s[14:15], v12, v12, 1.0
	v_div_scale_f32 v14, vcc, 1.0, v12, 1.0
	v_rcp_f32_e32 v15, v11
	v_fma_f32 v16, -v11, v15, 1.0
	v_fmac_f32_e32 v15, v16, v15
	v_mul_f32_e32 v16, v14, v15
	v_fma_f32 v17, -v11, v16, v14
	v_fmac_f32_e32 v16, v17, v15
	v_fma_f32 v11, -v11, v16, v14
	v_div_fmas_f32 v11, v11, v15, v16
	v_div_fixup_f32 v12, v11, v12, 1.0
	v_mul_f32_e32 v11, v13, v12
	v_xor_b32_e32 v12, 0x80000000, v12
.LBB191_24:                             ;   in Loop: Header=BB191_20 Depth=1
	s_andn2_saveexec_b64 s[8:9], s[8:9]
	s_cbranch_execz .LBB191_26
; %bb.25:                               ;   in Loop: Header=BB191_20 Depth=1
	v_div_scale_f32 v13, s[14:15], v11, v11, v12
	v_div_scale_f32 v14, vcc, v12, v11, v12
	v_rcp_f32_e32 v15, v13
	v_fma_f32 v16, -v13, v15, 1.0
	v_fmac_f32_e32 v15, v16, v15
	v_mul_f32_e32 v16, v14, v15
	v_fma_f32 v17, -v13, v16, v14
	v_fmac_f32_e32 v16, v17, v15
	v_fma_f32 v13, -v13, v16, v14
	v_div_fmas_f32 v13, v13, v15, v16
	v_div_fixup_f32 v13, v13, v11, v12
	v_fmac_f32_e32 v11, v12, v13
	v_div_scale_f32 v12, s[14:15], v11, v11, 1.0
	v_div_scale_f32 v14, vcc, 1.0, v11, 1.0
	v_rcp_f32_e32 v15, v12
	v_fma_f32 v16, -v12, v15, 1.0
	v_fmac_f32_e32 v15, v16, v15
	v_mul_f32_e32 v16, v14, v15
	v_fma_f32 v17, -v12, v16, v14
	v_fmac_f32_e32 v16, v17, v15
	v_fma_f32 v12, -v12, v16, v14
	v_div_fmas_f32 v12, v12, v15, v16
	v_div_fixup_f32 v11, v12, v11, 1.0
	v_mul_f32_e64 v12, v13, -v11
.LBB191_26:                             ;   in Loop: Header=BB191_20 Depth=1
	s_or_b64 exec, exec, s[8:9]
.LBB191_27:                             ;   in Loop: Header=BB191_20 Depth=1
	s_waitcnt vmcnt(0) lgkmcnt(0)
	v_mul_f32_e32 v13, v6, v12
	v_mul_f32_e32 v14, v5, v12
	v_fma_f32 v13, v5, v11, -v13
	v_fmac_f32_e32 v14, v6, v11
	v_mov_b32_e32 v6, v14
	v_mov_b32_e32 v5, v13
	ds_write_b64 v2, v[13:14]
.LBB191_28:                             ;   in Loop: Header=BB191_20 Depth=1
	s_or_b64 exec, exec, s[6:7]
	v_cmp_gt_i64_e32 vcc, s[4:5], v[0:1]
	s_waitcnt lgkmcnt(0)
	s_barrier
	s_and_saveexec_b64 s[6:7], vcc
	s_cbranch_execz .LBB191_34
; %bb.29:                               ;   in Loop: Header=BB191_20 Depth=1
	s_mov_b64 s[8:9], -1
	s_and_b64 vcc, exec, s[0:1]
                                        ; implicit-def: $vgpr11
	s_cbranch_vccz .LBB191_31
; %bb.30:                               ;   in Loop: Header=BB191_20 Depth=1
	flat_load_dwordx2 v[11:12], v[9:10]
	s_mov_b64 s[8:9], 0
.LBB191_31:                             ;   in Loop: Header=BB191_20 Depth=1
	s_andn2_b64 vcc, exec, s[8:9]
	s_cbranch_vccnz .LBB191_33
; %bb.32:                               ;   in Loop: Header=BB191_20 Depth=1
	s_waitcnt vmcnt(0) lgkmcnt(0)
	flat_load_dwordx2 v[11:12], v[9:10]
	s_waitcnt vmcnt(0) lgkmcnt(0)
	v_xor_b32_e32 v12, 0x80000000, v12
.LBB191_33:                             ;   in Loop: Header=BB191_20 Depth=1
	ds_read_b64 v[13:14], v2
	s_waitcnt vmcnt(0) lgkmcnt(0)
	v_mul_f32_e32 v15, v12, v14
	v_mul_f32_e32 v14, v14, v11
	v_fma_f32 v11, v13, v11, -v15
	v_fmac_f32_e32 v14, v12, v13
	v_sub_f32_e32 v5, v5, v11
	v_sub_f32_e32 v6, v6, v14
.LBB191_34:                             ;   in Loop: Header=BB191_20 Depth=1
	s_or_b64 exec, exec, s[6:7]
	s_add_u32 s6, s4, -1
	s_addc_u32 s7, s5, -1
	s_add_u32 s4, s4, 1
	s_addc_u32 s5, s5, 0
	v_mov_b32_e32 v11, s13
	v_cmp_lt_u64_e64 s[4:5], s[4:5], 3
	v_add_co_u32_e32 v9, vcc, s12, v9
	v_addc_co_u32_e32 v10, vcc, v10, v11, vcc
	s_and_b64 vcc, exec, s[4:5]
	s_cbranch_vccnz .LBB191_36
; %bb.35:                               ;   in Loop: Header=BB191_20 Depth=1
	s_mov_b64 s[4:5], s[6:7]
	s_branch .LBB191_20
.LBB191_36:
	v_cmp_eq_u32_e32 vcc, 0, v0
	s_and_saveexec_b64 s[0:1], vcc
	s_cbranch_execz .LBB191_44
; %bb.37:
	v_mad_u64_u32 v[1:2], s[4:5], v0, s16, v[0:1]
	v_mad_u64_u32 v[7:8], s[4:5], v0, s17, v[2:3]
	v_mov_b32_e32 v8, s3
	v_mov_b32_e32 v2, v7
	v_lshlrev_b64 v[0:1], 3, v[1:2]
	v_add_co_u32_e32 v0, vcc, s2, v0
	v_addc_co_u32_e32 v1, vcc, v8, v1, vcc
	flat_load_dwordx2 v[0:1], v[0:1]
	s_andn2_b64 vcc, exec, s[10:11]
	s_cbranch_vccnz .LBB191_43
; %bb.38:
	s_waitcnt vmcnt(0) lgkmcnt(0)
	v_cmp_ngt_f32_e64 s[2:3], |v0|, |v1|
	s_and_saveexec_b64 s[4:5], s[2:3]
	s_xor_b64 s[2:3], exec, s[4:5]
	s_cbranch_execz .LBB191_40
; %bb.39:
	v_div_scale_f32 v2, s[4:5], v1, v1, v0
	v_div_scale_f32 v7, vcc, v0, v1, v0
	v_rcp_f32_e32 v8, v2
	v_fma_f32 v9, -v2, v8, 1.0
	v_fmac_f32_e32 v8, v9, v8
	v_mul_f32_e32 v9, v7, v8
	v_fma_f32 v10, -v2, v9, v7
	v_fmac_f32_e32 v9, v10, v8
	v_fma_f32 v2, -v2, v9, v7
	v_div_fmas_f32 v2, v2, v8, v9
	v_div_fixup_f32 v2, v2, v1, v0
	v_fmac_f32_e32 v1, v0, v2
	v_div_scale_f32 v0, s[4:5], v1, v1, 1.0
	v_div_scale_f32 v7, vcc, 1.0, v1, 1.0
	v_rcp_f32_e32 v8, v0
	v_fma_f32 v9, -v0, v8, 1.0
	v_fmac_f32_e32 v8, v9, v8
	v_mul_f32_e32 v9, v7, v8
	v_fma_f32 v10, -v0, v9, v7
	v_fmac_f32_e32 v9, v10, v8
	v_fma_f32 v0, -v0, v9, v7
	v_div_fmas_f32 v0, v0, v8, v9
	v_div_fixup_f32 v1, v0, v1, 1.0
	v_mul_f32_e32 v0, v2, v1
	v_xor_b32_e32 v1, 0x80000000, v1
.LBB191_40:
	s_andn2_saveexec_b64 s[2:3], s[2:3]
	s_cbranch_execz .LBB191_42
; %bb.41:
	v_div_scale_f32 v2, s[4:5], v0, v0, v1
	v_div_scale_f32 v7, vcc, v1, v0, v1
	v_rcp_f32_e32 v8, v2
	v_fma_f32 v9, -v2, v8, 1.0
	v_fmac_f32_e32 v8, v9, v8
	v_mul_f32_e32 v9, v7, v8
	v_fma_f32 v10, -v2, v9, v7
	v_fmac_f32_e32 v9, v10, v8
	v_fma_f32 v2, -v2, v9, v7
	v_div_fmas_f32 v2, v2, v8, v9
	v_div_fixup_f32 v2, v2, v0, v1
	v_fmac_f32_e32 v0, v1, v2
	v_div_scale_f32 v1, s[4:5], v0, v0, 1.0
	v_div_scale_f32 v7, vcc, 1.0, v0, 1.0
	v_rcp_f32_e32 v8, v1
	v_fma_f32 v9, -v1, v8, 1.0
	v_fmac_f32_e32 v8, v9, v8
	v_mul_f32_e32 v9, v7, v8
	v_fma_f32 v10, -v1, v9, v7
	v_fmac_f32_e32 v9, v10, v8
	v_fma_f32 v1, -v1, v9, v7
	v_div_fmas_f32 v1, v1, v8, v9
	v_div_fixup_f32 v0, v1, v0, 1.0
	v_mul_f32_e64 v1, v2, -v0
.LBB191_42:
	s_or_b64 exec, exec, s[2:3]
.LBB191_43:
	s_waitcnt vmcnt(0) lgkmcnt(0)
	v_mul_f32_e32 v2, v6, v1
	v_fma_f32 v2, v5, v0, -v2
	v_mul_f32_e32 v6, v6, v0
	v_fmac_f32_e32 v6, v5, v1
	v_mov_b32_e32 v5, v2
.LBB191_44:
	s_or_b64 exec, exec, s[0:1]
	global_store_dwordx2 v[3:4], v[5:6], off
.LBB191_45:
	s_endpgm
	.section	.rodata,"a",@progbits
	.p2align	6, 0x0
	.amdhsa_kernel _ZL40rocblas_trsm_block_backward_substitutionI19rocblas_complex_numIfES1_PKS1_PS1_Lb1ELb0ELb0EEv18rocblas_operation_llT0_T1_lllT2_lllib
		.amdhsa_group_segment_fixed_size 0
		.amdhsa_private_segment_fixed_size 0
		.amdhsa_kernarg_size 360
		.amdhsa_user_sgpr_count 6
		.amdhsa_user_sgpr_private_segment_buffer 1
		.amdhsa_user_sgpr_dispatch_ptr 0
		.amdhsa_user_sgpr_queue_ptr 0
		.amdhsa_user_sgpr_kernarg_segment_ptr 1
		.amdhsa_user_sgpr_dispatch_id 0
		.amdhsa_user_sgpr_flat_scratch_init 0
		.amdhsa_user_sgpr_private_segment_size 0
		.amdhsa_uses_dynamic_stack 0
		.amdhsa_system_sgpr_private_segment_wavefront_offset 0
		.amdhsa_system_sgpr_workgroup_id_x 1
		.amdhsa_system_sgpr_workgroup_id_y 1
		.amdhsa_system_sgpr_workgroup_id_z 1
		.amdhsa_system_sgpr_workgroup_info 0
		.amdhsa_system_vgpr_workitem_id 1
		.amdhsa_next_free_vgpr 18
		.amdhsa_next_free_sgpr 44
		.amdhsa_reserve_vcc 1
		.amdhsa_reserve_flat_scratch 0
		.amdhsa_float_round_mode_32 0
		.amdhsa_float_round_mode_16_64 0
		.amdhsa_float_denorm_mode_32 3
		.amdhsa_float_denorm_mode_16_64 3
		.amdhsa_dx10_clamp 1
		.amdhsa_ieee_mode 1
		.amdhsa_fp16_overflow 0
		.amdhsa_exception_fp_ieee_invalid_op 0
		.amdhsa_exception_fp_denorm_src 0
		.amdhsa_exception_fp_ieee_div_zero 0
		.amdhsa_exception_fp_ieee_overflow 0
		.amdhsa_exception_fp_ieee_underflow 0
		.amdhsa_exception_fp_ieee_inexact 0
		.amdhsa_exception_int_div_zero 0
	.end_amdhsa_kernel
	.section	.text._ZL40rocblas_trsm_block_backward_substitutionI19rocblas_complex_numIfES1_PKS1_PS1_Lb1ELb0ELb0EEv18rocblas_operation_llT0_T1_lllT2_lllib,"axG",@progbits,_ZL40rocblas_trsm_block_backward_substitutionI19rocblas_complex_numIfES1_PKS1_PS1_Lb1ELb0ELb0EEv18rocblas_operation_llT0_T1_lllT2_lllib,comdat
.Lfunc_end191:
	.size	_ZL40rocblas_trsm_block_backward_substitutionI19rocblas_complex_numIfES1_PKS1_PS1_Lb1ELb0ELb0EEv18rocblas_operation_llT0_T1_lllT2_lllib, .Lfunc_end191-_ZL40rocblas_trsm_block_backward_substitutionI19rocblas_complex_numIfES1_PKS1_PS1_Lb1ELb0ELb0EEv18rocblas_operation_llT0_T1_lllT2_lllib
                                        ; -- End function
	.set _ZL40rocblas_trsm_block_backward_substitutionI19rocblas_complex_numIfES1_PKS1_PS1_Lb1ELb0ELb0EEv18rocblas_operation_llT0_T1_lllT2_lllib.num_vgpr, 18
	.set _ZL40rocblas_trsm_block_backward_substitutionI19rocblas_complex_numIfES1_PKS1_PS1_Lb1ELb0ELb0EEv18rocblas_operation_llT0_T1_lllT2_lllib.num_agpr, 0
	.set _ZL40rocblas_trsm_block_backward_substitutionI19rocblas_complex_numIfES1_PKS1_PS1_Lb1ELb0ELb0EEv18rocblas_operation_llT0_T1_lllT2_lllib.numbered_sgpr, 44
	.set _ZL40rocblas_trsm_block_backward_substitutionI19rocblas_complex_numIfES1_PKS1_PS1_Lb1ELb0ELb0EEv18rocblas_operation_llT0_T1_lllT2_lllib.num_named_barrier, 0
	.set _ZL40rocblas_trsm_block_backward_substitutionI19rocblas_complex_numIfES1_PKS1_PS1_Lb1ELb0ELb0EEv18rocblas_operation_llT0_T1_lllT2_lllib.private_seg_size, 0
	.set _ZL40rocblas_trsm_block_backward_substitutionI19rocblas_complex_numIfES1_PKS1_PS1_Lb1ELb0ELb0EEv18rocblas_operation_llT0_T1_lllT2_lllib.uses_vcc, 1
	.set _ZL40rocblas_trsm_block_backward_substitutionI19rocblas_complex_numIfES1_PKS1_PS1_Lb1ELb0ELb0EEv18rocblas_operation_llT0_T1_lllT2_lllib.uses_flat_scratch, 0
	.set _ZL40rocblas_trsm_block_backward_substitutionI19rocblas_complex_numIfES1_PKS1_PS1_Lb1ELb0ELb0EEv18rocblas_operation_llT0_T1_lllT2_lllib.has_dyn_sized_stack, 0
	.set _ZL40rocblas_trsm_block_backward_substitutionI19rocblas_complex_numIfES1_PKS1_PS1_Lb1ELb0ELb0EEv18rocblas_operation_llT0_T1_lllT2_lllib.has_recursion, 0
	.set _ZL40rocblas_trsm_block_backward_substitutionI19rocblas_complex_numIfES1_PKS1_PS1_Lb1ELb0ELb0EEv18rocblas_operation_llT0_T1_lllT2_lllib.has_indirect_call, 0
	.section	.AMDGPU.csdata,"",@progbits
; Kernel info:
; codeLenInByte = 2288
; TotalNumSgprs: 48
; NumVgprs: 18
; ScratchSize: 0
; MemoryBound: 0
; FloatMode: 240
; IeeeMode: 1
; LDSByteSize: 0 bytes/workgroup (compile time only)
; SGPRBlocks: 5
; VGPRBlocks: 4
; NumSGPRsForWavesPerEU: 48
; NumVGPRsForWavesPerEU: 18
; Occupancy: 10
; WaveLimiterHint : 1
; COMPUTE_PGM_RSRC2:SCRATCH_EN: 0
; COMPUTE_PGM_RSRC2:USER_SGPR: 6
; COMPUTE_PGM_RSRC2:TRAP_HANDLER: 0
; COMPUTE_PGM_RSRC2:TGID_X_EN: 1
; COMPUTE_PGM_RSRC2:TGID_Y_EN: 1
; COMPUTE_PGM_RSRC2:TGID_Z_EN: 1
; COMPUTE_PGM_RSRC2:TIDIG_COMP_CNT: 1
	.section	.text._ZL39rocblas_trsm_block_forward_substitutionI19rocblas_complex_numIfES1_PKS1_PS1_Lb1ELb0ELb1EEv18rocblas_operation_llT0_T1_lllT2_lllib,"axG",@progbits,_ZL39rocblas_trsm_block_forward_substitutionI19rocblas_complex_numIfES1_PKS1_PS1_Lb1ELb0ELb1EEv18rocblas_operation_llT0_T1_lllT2_lllib,comdat
	.globl	_ZL39rocblas_trsm_block_forward_substitutionI19rocblas_complex_numIfES1_PKS1_PS1_Lb1ELb0ELb1EEv18rocblas_operation_llT0_T1_lllT2_lllib ; -- Begin function _ZL39rocblas_trsm_block_forward_substitutionI19rocblas_complex_numIfES1_PKS1_PS1_Lb1ELb0ELb1EEv18rocblas_operation_llT0_T1_lllT2_lllib
	.p2align	8
	.type	_ZL39rocblas_trsm_block_forward_substitutionI19rocblas_complex_numIfES1_PKS1_PS1_Lb1ELb0ELb1EEv18rocblas_operation_llT0_T1_lllT2_lllib,@function
_ZL39rocblas_trsm_block_forward_substitutionI19rocblas_complex_numIfES1_PKS1_PS1_Lb1ELb0ELb1EEv18rocblas_operation_llT0_T1_lllT2_lllib: ; @_ZL39rocblas_trsm_block_forward_substitutionI19rocblas_complex_numIfES1_PKS1_PS1_Lb1ELb0ELb1EEv18rocblas_operation_llT0_T1_lllT2_lllib
; %bb.0:
	s_load_dwordx16 s[12:27], s[4:5], 0x20
	s_load_dwordx4 s[28:31], s[4:5], 0x8
	s_load_dwordx2 s[2:3], s[4:5], 0x18
	s_load_dword s10, s[4:5], 0x64
	s_load_dword s11, s[4:5], 0x74
	v_mov_b32_e32 v2, v1
	s_waitcnt lgkmcnt(0)
	s_mul_i32 s0, s19, s8
	s_mul_hi_u32 s1, s18, s8
	s_add_i32 s1, s1, s0
	s_mul_i32 s0, s18, s8
	s_lshl_b64 s[0:1], s[0:1], 3
	s_add_u32 s6, s12, s0
	s_addc_u32 s9, s13, s1
	s_lshl_b64 s[0:1], s[14:15], 3
	s_add_u32 s12, s6, s0
	s_addc_u32 s13, s9, s1
	s_add_u32 s18, s4, 0x68
	s_addc_u32 s19, s5, 0
	s_lshr_b32 s6, s11, 16
	s_bitcmp0_b32 s10, 0
	s_mov_b64 s[14:15], 1
	s_cbranch_scc1 .LBB192_6
; %bb.1:
	s_lshl_b32 s0, s6, 3
	s_add_i32 s34, s0, 0
	v_cmp_lt_i64_e64 s[0:1], s[28:29], 1
	s_mov_b64 s[10:11], 1
	s_and_b64 vcc, exec, s[0:1]
	s_cbranch_vccnz .LBB192_7
; %bb.2:
	v_mad_u64_u32 v[3:4], s[0:1], s16, v0, 0
	v_lshl_add_u32 v5, v0, 3, s34
	s_mov_b32 s9, 0
	v_mov_b32_e32 v1, v4
	v_mad_u64_u32 v[6:7], s[0:1], s17, v0, v[1:2]
	v_mov_b32_e32 v1, 0
	v_mov_b32_e32 v7, s13
	;; [unrolled: 1-line block ×3, first 2 shown]
	v_lshlrev_b64 v[3:4], 3, v[3:4]
	v_cmp_gt_u64_e64 s[0:1], s[28:29], v[0:1]
	v_add_co_u32_e32 v1, vcc, s12, v3
	v_addc_co_u32_e32 v6, vcc, v7, v4, vcc
	s_branch .LBB192_4
.LBB192_3:                              ;   in Loop: Header=BB192_4 Depth=1
	s_or_b64 exec, exec, s[12:13]
	s_add_i32 s9, s9, s6
	s_ashr_i32 s12, s9, 31
	v_mov_b32_e32 v3, s9
	v_mov_b32_e32 v4, s12
	v_cmp_le_i64_e32 vcc, s[28:29], v[3:4]
	s_cbranch_vccnz .LBB192_7
.LBB192_4:                              ; =>This Inner Loop Header: Depth=1
	v_add_u32_e32 v3, s9, v2
	v_cmp_gt_i32_e32 vcc, v0, v3
	s_and_b64 s[14:15], s[0:1], vcc
	s_and_saveexec_b64 s[12:13], s[14:15]
	s_cbranch_execz .LBB192_3
; %bb.5:                                ;   in Loop: Header=BB192_4 Depth=1
	v_ashrrev_i32_e32 v4, 31, v3
	v_lshlrev_b64 v[7:8], 3, v[3:4]
	s_load_dword s14, s[18:19], 0xc
	v_add_co_u32_e32 v7, vcc, v1, v7
	v_addc_co_u32_e32 v8, vcc, v6, v8, vcc
	global_load_dwordx2 v[7:8], v[7:8], off
	s_waitcnt lgkmcnt(0)
	s_and_b32 s14, s14, 0xffff
	v_mul_lo_u32 v3, v3, s14
	v_lshl_add_u32 v3, v3, 3, v5
	s_waitcnt vmcnt(0)
	ds_write_b64 v3, v[7:8]
	s_branch .LBB192_3
.LBB192_6:
	s_mov_b64 s[10:11], s[16:17]
	s_branch .LBB192_8
.LBB192_7:
	s_mov_b64 s[0:1], src_shared_base
	s_load_dword s0, s[18:19], 0xc
	s_mov_b32 s35, s1
	s_mov_b64 s[12:13], s[34:35]
	s_waitcnt lgkmcnt(0)
	s_and_b32 s14, s0, 0xffff
.LBB192_8:
	s_mul_i32 s7, s7, s6
	v_add_u32_e32 v3, s7, v2
	v_mov_b32_e32 v4, 0
	v_cmp_gt_i64_e32 vcc, s[30:31], v[3:4]
	s_and_saveexec_b64 s[0:1], vcc
	s_cbranch_execz .LBB192_22
; %bb.9:
	v_mov_b32_e32 v1, v4
	v_cmp_gt_i64_e32 vcc, s[28:29], v[0:1]
	s_and_b64 exec, exec, vcc
	s_cbranch_execz .LBB192_22
; %bb.10:
	s_mul_i32 s0, s27, s8
	s_mul_hi_u32 s1, s26, s8
	v_mad_u64_u32 v[4:5], s[6:7], s24, v3, 0
	s_add_i32 s1, s1, s0
	s_mul_i32 s0, s26, s8
	s_lshl_b64 s[0:1], s[0:1], 3
	s_add_u32 s6, s20, s0
	s_addc_u32 s7, s21, s1
	v_mad_u64_u32 v[5:6], s[0:1], s25, v3, v[5:6]
	s_lshl_b64 s[0:1], s[22:23], 3
	s_add_u32 s0, s6, s0
	v_lshlrev_b64 v[3:4], 3, v[4:5]
	s_addc_u32 s1, s7, s1
	v_mov_b32_e32 v5, s1
	v_add_co_u32_e32 v3, vcc, s0, v3
	v_addc_co_u32_e32 v4, vcc, v5, v4, vcc
	v_lshlrev_b32_e32 v5, 3, v0
	v_add_co_u32_e32 v3, vcc, v3, v5
	v_addc_co_u32_e32 v4, vcc, 0, v4, vcc
	global_load_dwordx2 v[7:8], v[3:4], off
	v_cmp_lt_u64_e64 s[0:1], s[28:29], 2
	s_and_b64 vcc, exec, s[0:1]
	s_waitcnt vmcnt(0)
	v_mul_f32_e32 v5, s3, v8
	v_mul_f32_e32 v6, s2, v8
	v_fma_f32 v5, s2, v7, -v5
	v_fmac_f32_e32 v6, s3, v7
	s_cbranch_vccnz .LBB192_21
; %bb.11:
	v_mad_u64_u32 v[7:8], s[0:1], s10, v0, 0
	s_load_dword s2, s[4:5], 0x0
	v_lshl_add_u32 v2, v2, 3, 0
	v_mad_u64_u32 v[8:9], s[0:1], s11, v0, v[8:9]
	v_mov_b32_e32 v9, s13
	s_waitcnt lgkmcnt(0)
	s_cmpk_lg_i32 s2, 0x71
	v_lshlrev_b64 v[7:8], 3, v[7:8]
	s_cselect_b64 s[0:1], -1, 0
	v_add_co_u32_e32 v7, vcc, s12, v7
	s_add_u32 s2, s28, -1
	v_addc_co_u32_e32 v8, vcc, v9, v8, vcc
	s_addc_u32 s3, s29, -1
	s_lshl_b32 s10, s14, 3
	s_mov_b64 s[4:5], 0
	s_branch .LBB192_14
.LBB192_12:                             ;   in Loop: Header=BB192_14 Depth=1
	ds_read_b64 v[11:12], v2
	s_waitcnt vmcnt(0) lgkmcnt(0)
	v_mul_f32_e32 v13, v10, v12
	v_mul_f32_e32 v12, v12, v9
	v_fma_f32 v9, v11, v9, -v13
	v_fmac_f32_e32 v12, v10, v11
	v_sub_f32_e32 v5, v5, v9
	v_sub_f32_e32 v6, v6, v12
.LBB192_13:                             ;   in Loop: Header=BB192_14 Depth=1
	s_or_b64 exec, exec, s[6:7]
	s_add_u32 s4, s4, 1
	s_addc_u32 s5, s5, 0
	v_add_co_u32_e32 v7, vcc, s10, v7
	s_cmp_eq_u64 s[2:3], s[4:5]
	v_addc_co_u32_e32 v8, vcc, 0, v8, vcc
	s_cbranch_scc1 .LBB192_21
.LBB192_14:                             ; =>This Inner Loop Header: Depth=1
	v_cmp_eq_u64_e32 vcc, s[4:5], v[0:1]
	s_barrier
	s_and_saveexec_b64 s[6:7], vcc
; %bb.15:                               ;   in Loop: Header=BB192_14 Depth=1
	ds_write_b64 v2, v[5:6]
; %bb.16:                               ;   in Loop: Header=BB192_14 Depth=1
	s_or_b64 exec, exec, s[6:7]
	v_cmp_lt_u64_e32 vcc, s[4:5], v[0:1]
	s_waitcnt lgkmcnt(0)
	s_barrier
	s_and_saveexec_b64 s[6:7], vcc
	s_cbranch_execz .LBB192_13
; %bb.17:                               ;   in Loop: Header=BB192_14 Depth=1
	s_mov_b64 s[8:9], -1
	s_and_b64 vcc, exec, s[0:1]
                                        ; implicit-def: $vgpr9
	s_cbranch_vccz .LBB192_19
; %bb.18:                               ;   in Loop: Header=BB192_14 Depth=1
	flat_load_dwordx2 v[9:10], v[7:8]
	s_mov_b64 s[8:9], 0
.LBB192_19:                             ;   in Loop: Header=BB192_14 Depth=1
	s_andn2_b64 vcc, exec, s[8:9]
	s_cbranch_vccnz .LBB192_12
; %bb.20:                               ;   in Loop: Header=BB192_14 Depth=1
	s_waitcnt vmcnt(0) lgkmcnt(0)
	flat_load_dwordx2 v[9:10], v[7:8]
	s_waitcnt vmcnt(0) lgkmcnt(0)
	v_xor_b32_e32 v10, 0x80000000, v10
	s_branch .LBB192_12
.LBB192_21:
	global_store_dwordx2 v[3:4], v[5:6], off
.LBB192_22:
	s_endpgm
	.section	.rodata,"a",@progbits
	.p2align	6, 0x0
	.amdhsa_kernel _ZL39rocblas_trsm_block_forward_substitutionI19rocblas_complex_numIfES1_PKS1_PS1_Lb1ELb0ELb1EEv18rocblas_operation_llT0_T1_lllT2_lllib
		.amdhsa_group_segment_fixed_size 0
		.amdhsa_private_segment_fixed_size 0
		.amdhsa_kernarg_size 360
		.amdhsa_user_sgpr_count 6
		.amdhsa_user_sgpr_private_segment_buffer 1
		.amdhsa_user_sgpr_dispatch_ptr 0
		.amdhsa_user_sgpr_queue_ptr 0
		.amdhsa_user_sgpr_kernarg_segment_ptr 1
		.amdhsa_user_sgpr_dispatch_id 0
		.amdhsa_user_sgpr_flat_scratch_init 0
		.amdhsa_user_sgpr_private_segment_size 0
		.amdhsa_uses_dynamic_stack 0
		.amdhsa_system_sgpr_private_segment_wavefront_offset 0
		.amdhsa_system_sgpr_workgroup_id_x 1
		.amdhsa_system_sgpr_workgroup_id_y 1
		.amdhsa_system_sgpr_workgroup_id_z 1
		.amdhsa_system_sgpr_workgroup_info 0
		.amdhsa_system_vgpr_workitem_id 1
		.amdhsa_next_free_vgpr 14
		.amdhsa_next_free_sgpr 36
		.amdhsa_reserve_vcc 1
		.amdhsa_reserve_flat_scratch 0
		.amdhsa_float_round_mode_32 0
		.amdhsa_float_round_mode_16_64 0
		.amdhsa_float_denorm_mode_32 3
		.amdhsa_float_denorm_mode_16_64 3
		.amdhsa_dx10_clamp 1
		.amdhsa_ieee_mode 1
		.amdhsa_fp16_overflow 0
		.amdhsa_exception_fp_ieee_invalid_op 0
		.amdhsa_exception_fp_denorm_src 0
		.amdhsa_exception_fp_ieee_div_zero 0
		.amdhsa_exception_fp_ieee_overflow 0
		.amdhsa_exception_fp_ieee_underflow 0
		.amdhsa_exception_fp_ieee_inexact 0
		.amdhsa_exception_int_div_zero 0
	.end_amdhsa_kernel
	.section	.text._ZL39rocblas_trsm_block_forward_substitutionI19rocblas_complex_numIfES1_PKS1_PS1_Lb1ELb0ELb1EEv18rocblas_operation_llT0_T1_lllT2_lllib,"axG",@progbits,_ZL39rocblas_trsm_block_forward_substitutionI19rocblas_complex_numIfES1_PKS1_PS1_Lb1ELb0ELb1EEv18rocblas_operation_llT0_T1_lllT2_lllib,comdat
.Lfunc_end192:
	.size	_ZL39rocblas_trsm_block_forward_substitutionI19rocblas_complex_numIfES1_PKS1_PS1_Lb1ELb0ELb1EEv18rocblas_operation_llT0_T1_lllT2_lllib, .Lfunc_end192-_ZL39rocblas_trsm_block_forward_substitutionI19rocblas_complex_numIfES1_PKS1_PS1_Lb1ELb0ELb1EEv18rocblas_operation_llT0_T1_lllT2_lllib
                                        ; -- End function
	.set _ZL39rocblas_trsm_block_forward_substitutionI19rocblas_complex_numIfES1_PKS1_PS1_Lb1ELb0ELb1EEv18rocblas_operation_llT0_T1_lllT2_lllib.num_vgpr, 14
	.set _ZL39rocblas_trsm_block_forward_substitutionI19rocblas_complex_numIfES1_PKS1_PS1_Lb1ELb0ELb1EEv18rocblas_operation_llT0_T1_lllT2_lllib.num_agpr, 0
	.set _ZL39rocblas_trsm_block_forward_substitutionI19rocblas_complex_numIfES1_PKS1_PS1_Lb1ELb0ELb1EEv18rocblas_operation_llT0_T1_lllT2_lllib.numbered_sgpr, 36
	.set _ZL39rocblas_trsm_block_forward_substitutionI19rocblas_complex_numIfES1_PKS1_PS1_Lb1ELb0ELb1EEv18rocblas_operation_llT0_T1_lllT2_lllib.num_named_barrier, 0
	.set _ZL39rocblas_trsm_block_forward_substitutionI19rocblas_complex_numIfES1_PKS1_PS1_Lb1ELb0ELb1EEv18rocblas_operation_llT0_T1_lllT2_lllib.private_seg_size, 0
	.set _ZL39rocblas_trsm_block_forward_substitutionI19rocblas_complex_numIfES1_PKS1_PS1_Lb1ELb0ELb1EEv18rocblas_operation_llT0_T1_lllT2_lllib.uses_vcc, 1
	.set _ZL39rocblas_trsm_block_forward_substitutionI19rocblas_complex_numIfES1_PKS1_PS1_Lb1ELb0ELb1EEv18rocblas_operation_llT0_T1_lllT2_lllib.uses_flat_scratch, 0
	.set _ZL39rocblas_trsm_block_forward_substitutionI19rocblas_complex_numIfES1_PKS1_PS1_Lb1ELb0ELb1EEv18rocblas_operation_llT0_T1_lllT2_lllib.has_dyn_sized_stack, 0
	.set _ZL39rocblas_trsm_block_forward_substitutionI19rocblas_complex_numIfES1_PKS1_PS1_Lb1ELb0ELb1EEv18rocblas_operation_llT0_T1_lllT2_lllib.has_recursion, 0
	.set _ZL39rocblas_trsm_block_forward_substitutionI19rocblas_complex_numIfES1_PKS1_PS1_Lb1ELb0ELb1EEv18rocblas_operation_llT0_T1_lllT2_lllib.has_indirect_call, 0
	.section	.AMDGPU.csdata,"",@progbits
; Kernel info:
; codeLenInByte = 828
; TotalNumSgprs: 40
; NumVgprs: 14
; ScratchSize: 0
; MemoryBound: 0
; FloatMode: 240
; IeeeMode: 1
; LDSByteSize: 0 bytes/workgroup (compile time only)
; SGPRBlocks: 4
; VGPRBlocks: 3
; NumSGPRsForWavesPerEU: 40
; NumVGPRsForWavesPerEU: 14
; Occupancy: 10
; WaveLimiterHint : 1
; COMPUTE_PGM_RSRC2:SCRATCH_EN: 0
; COMPUTE_PGM_RSRC2:USER_SGPR: 6
; COMPUTE_PGM_RSRC2:TRAP_HANDLER: 0
; COMPUTE_PGM_RSRC2:TGID_X_EN: 1
; COMPUTE_PGM_RSRC2:TGID_Y_EN: 1
; COMPUTE_PGM_RSRC2:TGID_Z_EN: 1
; COMPUTE_PGM_RSRC2:TIDIG_COMP_CNT: 1
	.section	.text._ZL40rocblas_trsm_block_backward_substitutionI19rocblas_complex_numIfES1_PKS1_PS1_Lb1ELb0ELb1EEv18rocblas_operation_llT0_T1_lllT2_lllib,"axG",@progbits,_ZL40rocblas_trsm_block_backward_substitutionI19rocblas_complex_numIfES1_PKS1_PS1_Lb1ELb0ELb1EEv18rocblas_operation_llT0_T1_lllT2_lllib,comdat
	.globl	_ZL40rocblas_trsm_block_backward_substitutionI19rocblas_complex_numIfES1_PKS1_PS1_Lb1ELb0ELb1EEv18rocblas_operation_llT0_T1_lllT2_lllib ; -- Begin function _ZL40rocblas_trsm_block_backward_substitutionI19rocblas_complex_numIfES1_PKS1_PS1_Lb1ELb0ELb1EEv18rocblas_operation_llT0_T1_lllT2_lllib
	.p2align	8
	.type	_ZL40rocblas_trsm_block_backward_substitutionI19rocblas_complex_numIfES1_PKS1_PS1_Lb1ELb0ELb1EEv18rocblas_operation_llT0_T1_lllT2_lllib,@function
_ZL40rocblas_trsm_block_backward_substitutionI19rocblas_complex_numIfES1_PKS1_PS1_Lb1ELb0ELb1EEv18rocblas_operation_llT0_T1_lllT2_lllib: ; @_ZL40rocblas_trsm_block_backward_substitutionI19rocblas_complex_numIfES1_PKS1_PS1_Lb1ELb0ELb1EEv18rocblas_operation_llT0_T1_lllT2_lllib
; %bb.0:
	s_load_dwordx16 s[12:27], s[4:5], 0x20
	s_load_dwordx4 s[28:31], s[4:5], 0x8
	s_load_dwordx2 s[10:11], s[4:5], 0x18
	s_load_dword s9, s[4:5], 0x64
	s_load_dword s6, s[4:5], 0x74
	v_mov_b32_e32 v2, v1
	s_waitcnt lgkmcnt(0)
	s_mul_i32 s0, s19, s8
	s_mul_hi_u32 s1, s18, s8
	s_add_i32 s1, s1, s0
	s_mul_i32 s0, s18, s8
	s_lshl_b64 s[0:1], s[0:1], 3
	s_add_u32 s2, s12, s0
	s_addc_u32 s3, s13, s1
	s_lshl_b64 s[0:1], s[14:15], 3
	s_add_u32 s2, s2, s0
	s_addc_u32 s3, s3, s1
	s_add_u32 s12, s4, 0x68
	s_addc_u32 s13, s5, 0
	s_lshr_b32 s6, s6, 16
	s_bitcmp0_b32 s9, 0
	s_cbranch_scc1 .LBB193_7
; %bb.1:
	v_cmp_lt_i64_e64 s[0:1], s[28:29], 1
	s_lshl_b32 s9, s6, 3
	s_add_i32 s14, s9, 0
	s_and_b64 vcc, exec, s[0:1]
	s_cbranch_vccnz .LBB193_6
; %bb.2:
	v_lshlrev_b32_e32 v3, 3, v0
	v_mov_b32_e32 v1, 0
	v_cmp_gt_u64_e64 s[0:1], s[28:29], v[0:1]
	v_mov_b32_e32 v4, s3
	v_add_co_u32_e32 v1, vcc, s2, v3
	v_add_u32_e32 v5, s14, v3
	v_addc_co_u32_e32 v6, vcc, 0, v4, vcc
	s_mov_b32 s9, 0
	s_branch .LBB193_4
.LBB193_3:                              ;   in Loop: Header=BB193_4 Depth=1
	s_or_b64 exec, exec, s[2:3]
	s_add_i32 s9, s9, s6
	s_ashr_i32 s2, s9, 31
	v_mov_b32_e32 v3, s9
	v_mov_b32_e32 v4, s2
	v_cmp_le_i64_e32 vcc, s[28:29], v[3:4]
	s_cbranch_vccnz .LBB193_6
.LBB193_4:                              ; =>This Inner Loop Header: Depth=1
	v_add_u32_e32 v3, s9, v2
	v_ashrrev_i32_e32 v4, 31, v3
	v_cmp_gt_i64_e32 vcc, s[28:29], v[3:4]
	v_cmp_lt_i32_e64 s[2:3], v0, v3
	s_and_b64 s[2:3], s[2:3], vcc
	s_and_b64 s[18:19], s[0:1], s[2:3]
	s_and_saveexec_b64 s[2:3], s[18:19]
	s_cbranch_execz .LBB193_3
; %bb.5:                                ;   in Loop: Header=BB193_4 Depth=1
	v_mul_lo_u32 v9, s17, v3
	v_mul_lo_u32 v4, s16, v4
	v_mad_u64_u32 v[7:8], s[18:19], s16, v3, 0
	s_load_dword s15, s[12:13], 0xc
	v_add3_u32 v8, v8, v4, v9
	v_lshlrev_b64 v[7:8], 3, v[7:8]
	v_add_co_u32_e32 v7, vcc, v1, v7
	v_addc_co_u32_e32 v8, vcc, v6, v8, vcc
	global_load_dwordx2 v[7:8], v[7:8], off
	s_waitcnt lgkmcnt(0)
	s_and_b32 s15, s15, 0xffff
	v_mul_lo_u32 v3, v3, s15
	v_lshl_add_u32 v3, v3, 3, v5
	s_waitcnt vmcnt(0)
	ds_write_b64 v3, v[7:8]
	s_branch .LBB193_3
.LBB193_6:
	s_mov_b64 s[0:1], src_shared_base
	s_load_dword s0, s[12:13], 0xc
	s_mov_b32 s15, s1
	s_mov_b32 s17, 0
	s_mov_b64 s[2:3], s[14:15]
	s_waitcnt lgkmcnt(0)
	s_and_b32 s16, s0, 0xffff
.LBB193_7:
	s_mul_i32 s7, s7, s6
	v_add_u32_e32 v3, s7, v2
	v_mov_b32_e32 v4, 0
	v_cmp_gt_i64_e32 vcc, s[30:31], v[3:4]
	s_and_saveexec_b64 s[0:1], vcc
	s_cbranch_execz .LBB193_22
; %bb.8:
	v_mov_b32_e32 v1, v4
	v_cmp_gt_i64_e32 vcc, s[28:29], v[0:1]
	s_and_b64 exec, exec, vcc
	s_cbranch_execz .LBB193_22
; %bb.9:
	s_mul_i32 s0, s27, s8
	s_mul_hi_u32 s1, s26, s8
	v_mad_u64_u32 v[5:6], s[6:7], s24, v0, 0
	s_add_i32 s1, s1, s0
	s_mul_i32 s0, s26, s8
	s_lshl_b64 s[0:1], s[0:1], 3
	s_add_u32 s6, s20, s0
	s_addc_u32 s7, s21, s1
	v_mad_u64_u32 v[6:7], s[0:1], s25, v0, v[6:7]
	s_lshl_b64 s[0:1], s[22:23], 3
	s_add_u32 s0, s6, s0
	v_lshlrev_b64 v[5:6], 3, v[5:6]
	s_addc_u32 s1, s7, s1
	v_mov_b32_e32 v7, s1
	v_add_co_u32_e32 v5, vcc, s0, v5
	v_lshlrev_b64 v[3:4], 3, v[3:4]
	v_addc_co_u32_e32 v6, vcc, v7, v6, vcc
	v_add_co_u32_e32 v3, vcc, v5, v3
	v_addc_co_u32_e32 v4, vcc, v6, v4, vcc
	global_load_dwordx2 v[7:8], v[3:4], off
	v_cmp_lt_u64_e64 s[0:1], s[28:29], 2
	s_and_b64 vcc, exec, s[0:1]
	s_waitcnt vmcnt(0)
	v_mul_f32_e32 v5, s11, v8
	v_mul_f32_e32 v6, s10, v8
	v_fma_f32 v5, s10, v7, -v5
	v_fmac_f32_e32 v6, s11, v7
	s_cbranch_vccnz .LBB193_21
; %bb.10:
	s_load_dword s0, s[4:5], 0x0
	v_lshlrev_b32_e32 v7, 3, v0
	v_lshl_add_u32 v2, v2, 3, 0
	s_waitcnt lgkmcnt(0)
	s_cmpk_lg_i32 s0, 0x71
	s_cselect_b64 s[0:1], -1, 0
	s_add_u32 s4, s28, -1
	s_addc_u32 s5, s29, -1
	s_mul_hi_u32 s6, s16, s4
	s_mul_i32 s8, s16, s5
	s_mul_i32 s7, s17, s4
	s_add_i32 s6, s6, s8
	s_add_i32 s7, s6, s7
	s_mul_i32 s6, s16, s4
	s_lshl_b64 s[6:7], s[6:7], 3
	s_add_u32 s2, s2, s6
	s_addc_u32 s3, s3, s7
	v_mov_b32_e32 v8, s3
	v_add_co_u32_e32 v7, vcc, s2, v7
	s_lshl_b64 s[2:3], s[16:17], 3
	s_sub_u32 s8, 0, s2
	v_addc_co_u32_e32 v8, vcc, 0, v8, vcc
	s_subb_u32 s9, 0, s3
.LBB193_11:                             ; =>This Inner Loop Header: Depth=1
	v_cmp_eq_u64_e32 vcc, s[4:5], v[0:1]
	s_barrier
	s_and_saveexec_b64 s[2:3], vcc
; %bb.12:                               ;   in Loop: Header=BB193_11 Depth=1
	ds_write_b64 v2, v[5:6]
; %bb.13:                               ;   in Loop: Header=BB193_11 Depth=1
	s_or_b64 exec, exec, s[2:3]
	v_cmp_gt_i64_e32 vcc, s[4:5], v[0:1]
	s_waitcnt lgkmcnt(0)
	s_barrier
	s_and_saveexec_b64 s[2:3], vcc
	s_cbranch_execz .LBB193_19
; %bb.14:                               ;   in Loop: Header=BB193_11 Depth=1
	s_mov_b64 s[6:7], -1
	s_and_b64 vcc, exec, s[0:1]
                                        ; implicit-def: $vgpr9
	s_cbranch_vccz .LBB193_16
; %bb.15:                               ;   in Loop: Header=BB193_11 Depth=1
	flat_load_dwordx2 v[9:10], v[7:8]
	s_mov_b64 s[6:7], 0
.LBB193_16:                             ;   in Loop: Header=BB193_11 Depth=1
	s_andn2_b64 vcc, exec, s[6:7]
	s_cbranch_vccnz .LBB193_18
; %bb.17:                               ;   in Loop: Header=BB193_11 Depth=1
	s_waitcnt vmcnt(0) lgkmcnt(0)
	flat_load_dwordx2 v[9:10], v[7:8]
	s_waitcnt vmcnt(0) lgkmcnt(0)
	v_xor_b32_e32 v10, 0x80000000, v10
.LBB193_18:                             ;   in Loop: Header=BB193_11 Depth=1
	ds_read_b64 v[11:12], v2
	s_waitcnt vmcnt(0) lgkmcnt(0)
	v_mul_f32_e32 v13, v10, v12
	v_mul_f32_e32 v12, v12, v9
	v_fma_f32 v9, v11, v9, -v13
	v_fmac_f32_e32 v12, v10, v11
	v_sub_f32_e32 v5, v5, v9
	v_sub_f32_e32 v6, v6, v12
.LBB193_19:                             ;   in Loop: Header=BB193_11 Depth=1
	s_or_b64 exec, exec, s[2:3]
	s_add_u32 s2, s4, -1
	s_addc_u32 s3, s5, -1
	s_add_u32 s4, s4, 1
	s_addc_u32 s5, s5, 0
	v_mov_b32_e32 v9, s9
	v_cmp_lt_u64_e64 s[4:5], s[4:5], 3
	v_add_co_u32_e32 v7, vcc, s8, v7
	v_addc_co_u32_e32 v8, vcc, v8, v9, vcc
	s_and_b64 vcc, exec, s[4:5]
	s_cbranch_vccnz .LBB193_21
; %bb.20:                               ;   in Loop: Header=BB193_11 Depth=1
	s_mov_b64 s[4:5], s[2:3]
	s_branch .LBB193_11
.LBB193_21:
	global_store_dwordx2 v[3:4], v[5:6], off
.LBB193_22:
	s_endpgm
	.section	.rodata,"a",@progbits
	.p2align	6, 0x0
	.amdhsa_kernel _ZL40rocblas_trsm_block_backward_substitutionI19rocblas_complex_numIfES1_PKS1_PS1_Lb1ELb0ELb1EEv18rocblas_operation_llT0_T1_lllT2_lllib
		.amdhsa_group_segment_fixed_size 0
		.amdhsa_private_segment_fixed_size 0
		.amdhsa_kernarg_size 360
		.amdhsa_user_sgpr_count 6
		.amdhsa_user_sgpr_private_segment_buffer 1
		.amdhsa_user_sgpr_dispatch_ptr 0
		.amdhsa_user_sgpr_queue_ptr 0
		.amdhsa_user_sgpr_kernarg_segment_ptr 1
		.amdhsa_user_sgpr_dispatch_id 0
		.amdhsa_user_sgpr_flat_scratch_init 0
		.amdhsa_user_sgpr_private_segment_size 0
		.amdhsa_uses_dynamic_stack 0
		.amdhsa_system_sgpr_private_segment_wavefront_offset 0
		.amdhsa_system_sgpr_workgroup_id_x 1
		.amdhsa_system_sgpr_workgroup_id_y 1
		.amdhsa_system_sgpr_workgroup_id_z 1
		.amdhsa_system_sgpr_workgroup_info 0
		.amdhsa_system_vgpr_workitem_id 1
		.amdhsa_next_free_vgpr 14
		.amdhsa_next_free_sgpr 32
		.amdhsa_reserve_vcc 1
		.amdhsa_reserve_flat_scratch 0
		.amdhsa_float_round_mode_32 0
		.amdhsa_float_round_mode_16_64 0
		.amdhsa_float_denorm_mode_32 3
		.amdhsa_float_denorm_mode_16_64 3
		.amdhsa_dx10_clamp 1
		.amdhsa_ieee_mode 1
		.amdhsa_fp16_overflow 0
		.amdhsa_exception_fp_ieee_invalid_op 0
		.amdhsa_exception_fp_denorm_src 0
		.amdhsa_exception_fp_ieee_div_zero 0
		.amdhsa_exception_fp_ieee_overflow 0
		.amdhsa_exception_fp_ieee_underflow 0
		.amdhsa_exception_fp_ieee_inexact 0
		.amdhsa_exception_int_div_zero 0
	.end_amdhsa_kernel
	.section	.text._ZL40rocblas_trsm_block_backward_substitutionI19rocblas_complex_numIfES1_PKS1_PS1_Lb1ELb0ELb1EEv18rocblas_operation_llT0_T1_lllT2_lllib,"axG",@progbits,_ZL40rocblas_trsm_block_backward_substitutionI19rocblas_complex_numIfES1_PKS1_PS1_Lb1ELb0ELb1EEv18rocblas_operation_llT0_T1_lllT2_lllib,comdat
.Lfunc_end193:
	.size	_ZL40rocblas_trsm_block_backward_substitutionI19rocblas_complex_numIfES1_PKS1_PS1_Lb1ELb0ELb1EEv18rocblas_operation_llT0_T1_lllT2_lllib, .Lfunc_end193-_ZL40rocblas_trsm_block_backward_substitutionI19rocblas_complex_numIfES1_PKS1_PS1_Lb1ELb0ELb1EEv18rocblas_operation_llT0_T1_lllT2_lllib
                                        ; -- End function
	.set _ZL40rocblas_trsm_block_backward_substitutionI19rocblas_complex_numIfES1_PKS1_PS1_Lb1ELb0ELb1EEv18rocblas_operation_llT0_T1_lllT2_lllib.num_vgpr, 14
	.set _ZL40rocblas_trsm_block_backward_substitutionI19rocblas_complex_numIfES1_PKS1_PS1_Lb1ELb0ELb1EEv18rocblas_operation_llT0_T1_lllT2_lllib.num_agpr, 0
	.set _ZL40rocblas_trsm_block_backward_substitutionI19rocblas_complex_numIfES1_PKS1_PS1_Lb1ELb0ELb1EEv18rocblas_operation_llT0_T1_lllT2_lllib.numbered_sgpr, 32
	.set _ZL40rocblas_trsm_block_backward_substitutionI19rocblas_complex_numIfES1_PKS1_PS1_Lb1ELb0ELb1EEv18rocblas_operation_llT0_T1_lllT2_lllib.num_named_barrier, 0
	.set _ZL40rocblas_trsm_block_backward_substitutionI19rocblas_complex_numIfES1_PKS1_PS1_Lb1ELb0ELb1EEv18rocblas_operation_llT0_T1_lllT2_lllib.private_seg_size, 0
	.set _ZL40rocblas_trsm_block_backward_substitutionI19rocblas_complex_numIfES1_PKS1_PS1_Lb1ELb0ELb1EEv18rocblas_operation_llT0_T1_lllT2_lllib.uses_vcc, 1
	.set _ZL40rocblas_trsm_block_backward_substitutionI19rocblas_complex_numIfES1_PKS1_PS1_Lb1ELb0ELb1EEv18rocblas_operation_llT0_T1_lllT2_lllib.uses_flat_scratch, 0
	.set _ZL40rocblas_trsm_block_backward_substitutionI19rocblas_complex_numIfES1_PKS1_PS1_Lb1ELb0ELb1EEv18rocblas_operation_llT0_T1_lllT2_lllib.has_dyn_sized_stack, 0
	.set _ZL40rocblas_trsm_block_backward_substitutionI19rocblas_complex_numIfES1_PKS1_PS1_Lb1ELb0ELb1EEv18rocblas_operation_llT0_T1_lllT2_lllib.has_recursion, 0
	.set _ZL40rocblas_trsm_block_backward_substitutionI19rocblas_complex_numIfES1_PKS1_PS1_Lb1ELb0ELb1EEv18rocblas_operation_llT0_T1_lllT2_lllib.has_indirect_call, 0
	.section	.AMDGPU.csdata,"",@progbits
; Kernel info:
; codeLenInByte = 872
; TotalNumSgprs: 36
; NumVgprs: 14
; ScratchSize: 0
; MemoryBound: 0
; FloatMode: 240
; IeeeMode: 1
; LDSByteSize: 0 bytes/workgroup (compile time only)
; SGPRBlocks: 4
; VGPRBlocks: 3
; NumSGPRsForWavesPerEU: 36
; NumVGPRsForWavesPerEU: 14
; Occupancy: 10
; WaveLimiterHint : 1
; COMPUTE_PGM_RSRC2:SCRATCH_EN: 0
; COMPUTE_PGM_RSRC2:USER_SGPR: 6
; COMPUTE_PGM_RSRC2:TRAP_HANDLER: 0
; COMPUTE_PGM_RSRC2:TGID_X_EN: 1
; COMPUTE_PGM_RSRC2:TGID_Y_EN: 1
; COMPUTE_PGM_RSRC2:TGID_Z_EN: 1
; COMPUTE_PGM_RSRC2:TIDIG_COMP_CNT: 1
	.section	.text._ZL26setup_batched_array_kernelILi128E19rocblas_complex_numIfEEvPT0_lPS3_,"axG",@progbits,_ZL26setup_batched_array_kernelILi128E19rocblas_complex_numIfEEvPT0_lPS3_,comdat
	.globl	_ZL26setup_batched_array_kernelILi128E19rocblas_complex_numIfEEvPT0_lPS3_ ; -- Begin function _ZL26setup_batched_array_kernelILi128E19rocblas_complex_numIfEEvPT0_lPS3_
	.p2align	8
	.type	_ZL26setup_batched_array_kernelILi128E19rocblas_complex_numIfEEvPT0_lPS3_,@function
_ZL26setup_batched_array_kernelILi128E19rocblas_complex_numIfEEvPT0_lPS3_: ; @_ZL26setup_batched_array_kernelILi128E19rocblas_complex_numIfEEvPT0_lPS3_
; %bb.0:
	s_load_dwordx4 s[0:3], s[4:5], 0x0
	s_mov_b32 s7, 0
	s_load_dwordx2 s[4:5], s[4:5], 0x10
	v_mov_b32_e32 v2, 0
	s_waitcnt lgkmcnt(0)
	s_mul_i32 s3, s3, s6
	s_mul_hi_u32 s8, s2, s6
	s_add_i32 s3, s8, s3
	s_mul_i32 s2, s2, s6
	s_lshl_b64 s[2:3], s[2:3], 3
	s_add_u32 s0, s0, s2
	s_addc_u32 s1, s1, s3
	s_lshl_b64 s[2:3], s[6:7], 3
	s_add_u32 s2, s4, s2
	v_mov_b32_e32 v0, s0
	s_addc_u32 s3, s5, s3
	v_mov_b32_e32 v1, s1
	global_store_dwordx2 v2, v[0:1], s[2:3]
	s_endpgm
	.section	.rodata,"a",@progbits
	.p2align	6, 0x0
	.amdhsa_kernel _ZL26setup_batched_array_kernelILi128E19rocblas_complex_numIfEEvPT0_lPS3_
		.amdhsa_group_segment_fixed_size 0
		.amdhsa_private_segment_fixed_size 0
		.amdhsa_kernarg_size 24
		.amdhsa_user_sgpr_count 6
		.amdhsa_user_sgpr_private_segment_buffer 1
		.amdhsa_user_sgpr_dispatch_ptr 0
		.amdhsa_user_sgpr_queue_ptr 0
		.amdhsa_user_sgpr_kernarg_segment_ptr 1
		.amdhsa_user_sgpr_dispatch_id 0
		.amdhsa_user_sgpr_flat_scratch_init 0
		.amdhsa_user_sgpr_private_segment_size 0
		.amdhsa_uses_dynamic_stack 0
		.amdhsa_system_sgpr_private_segment_wavefront_offset 0
		.amdhsa_system_sgpr_workgroup_id_x 1
		.amdhsa_system_sgpr_workgroup_id_y 0
		.amdhsa_system_sgpr_workgroup_id_z 0
		.amdhsa_system_sgpr_workgroup_info 0
		.amdhsa_system_vgpr_workitem_id 0
		.amdhsa_next_free_vgpr 3
		.amdhsa_next_free_sgpr 9
		.amdhsa_reserve_vcc 0
		.amdhsa_reserve_flat_scratch 0
		.amdhsa_float_round_mode_32 0
		.amdhsa_float_round_mode_16_64 0
		.amdhsa_float_denorm_mode_32 3
		.amdhsa_float_denorm_mode_16_64 3
		.amdhsa_dx10_clamp 1
		.amdhsa_ieee_mode 1
		.amdhsa_fp16_overflow 0
		.amdhsa_exception_fp_ieee_invalid_op 0
		.amdhsa_exception_fp_denorm_src 0
		.amdhsa_exception_fp_ieee_div_zero 0
		.amdhsa_exception_fp_ieee_overflow 0
		.amdhsa_exception_fp_ieee_underflow 0
		.amdhsa_exception_fp_ieee_inexact 0
		.amdhsa_exception_int_div_zero 0
	.end_amdhsa_kernel
	.section	.text._ZL26setup_batched_array_kernelILi128E19rocblas_complex_numIfEEvPT0_lPS3_,"axG",@progbits,_ZL26setup_batched_array_kernelILi128E19rocblas_complex_numIfEEvPT0_lPS3_,comdat
.Lfunc_end194:
	.size	_ZL26setup_batched_array_kernelILi128E19rocblas_complex_numIfEEvPT0_lPS3_, .Lfunc_end194-_ZL26setup_batched_array_kernelILi128E19rocblas_complex_numIfEEvPT0_lPS3_
                                        ; -- End function
	.set _ZL26setup_batched_array_kernelILi128E19rocblas_complex_numIfEEvPT0_lPS3_.num_vgpr, 3
	.set _ZL26setup_batched_array_kernelILi128E19rocblas_complex_numIfEEvPT0_lPS3_.num_agpr, 0
	.set _ZL26setup_batched_array_kernelILi128E19rocblas_complex_numIfEEvPT0_lPS3_.numbered_sgpr, 9
	.set _ZL26setup_batched_array_kernelILi128E19rocblas_complex_numIfEEvPT0_lPS3_.num_named_barrier, 0
	.set _ZL26setup_batched_array_kernelILi128E19rocblas_complex_numIfEEvPT0_lPS3_.private_seg_size, 0
	.set _ZL26setup_batched_array_kernelILi128E19rocblas_complex_numIfEEvPT0_lPS3_.uses_vcc, 0
	.set _ZL26setup_batched_array_kernelILi128E19rocblas_complex_numIfEEvPT0_lPS3_.uses_flat_scratch, 0
	.set _ZL26setup_batched_array_kernelILi128E19rocblas_complex_numIfEEvPT0_lPS3_.has_dyn_sized_stack, 0
	.set _ZL26setup_batched_array_kernelILi128E19rocblas_complex_numIfEEvPT0_lPS3_.has_recursion, 0
	.set _ZL26setup_batched_array_kernelILi128E19rocblas_complex_numIfEEvPT0_lPS3_.has_indirect_call, 0
	.section	.AMDGPU.csdata,"",@progbits
; Kernel info:
; codeLenInByte = 88
; TotalNumSgprs: 13
; NumVgprs: 3
; ScratchSize: 0
; MemoryBound: 0
; FloatMode: 240
; IeeeMode: 1
; LDSByteSize: 0 bytes/workgroup (compile time only)
; SGPRBlocks: 1
; VGPRBlocks: 0
; NumSGPRsForWavesPerEU: 13
; NumVGPRsForWavesPerEU: 3
; Occupancy: 10
; WaveLimiterHint : 0
; COMPUTE_PGM_RSRC2:SCRATCH_EN: 0
; COMPUTE_PGM_RSRC2:USER_SGPR: 6
; COMPUTE_PGM_RSRC2:TRAP_HANDLER: 0
; COMPUTE_PGM_RSRC2:TGID_X_EN: 1
; COMPUTE_PGM_RSRC2:TGID_Y_EN: 0
; COMPUTE_PGM_RSRC2:TGID_Z_EN: 0
; COMPUTE_PGM_RSRC2:TIDIG_COMP_CNT: 0
	.section	.text._ZL25rocblas_trtri_trsm_kernelILi128ELi16ELi8E19rocblas_complex_numIfEPKS1_PS1_Ev13rocblas_fill_17rocblas_diagonal_T3_lilT4_lli,"axG",@progbits,_ZL25rocblas_trtri_trsm_kernelILi128ELi16ELi8E19rocblas_complex_numIfEPKS1_PS1_Ev13rocblas_fill_17rocblas_diagonal_T3_lilT4_lli,comdat
	.globl	_ZL25rocblas_trtri_trsm_kernelILi128ELi16ELi8E19rocblas_complex_numIfEPKS1_PS1_Ev13rocblas_fill_17rocblas_diagonal_T3_lilT4_lli ; -- Begin function _ZL25rocblas_trtri_trsm_kernelILi128ELi16ELi8E19rocblas_complex_numIfEPKS1_PS1_Ev13rocblas_fill_17rocblas_diagonal_T3_lilT4_lli
	.p2align	8
	.type	_ZL25rocblas_trtri_trsm_kernelILi128ELi16ELi8E19rocblas_complex_numIfEPKS1_PS1_Ev13rocblas_fill_17rocblas_diagonal_T3_lilT4_lli,@function
_ZL25rocblas_trtri_trsm_kernelILi128ELi16ELi8E19rocblas_complex_numIfEPKS1_PS1_Ev13rocblas_fill_17rocblas_diagonal_T3_lilT4_lli: ; @_ZL25rocblas_trtri_trsm_kernelILi128ELi16ELi8E19rocblas_complex_numIfEPKS1_PS1_Ev13rocblas_fill_17rocblas_diagonal_T3_lilT4_lli
; %bb.0:
	v_cmp_gt_u32_e64 s[0:1], 16, v0
	v_cmp_lt_u32_e64 s[8:9], 15, v0
	v_cmp_gt_u32_e64 s[2:3], 32, v0
	v_cmp_lt_u32_e32 vcc, 31, v0
	v_mov_b32_e32 v1, v0
	s_and_saveexec_b64 s[10:11], s[8:9]
	s_cbranch_execz .LBB195_6
; %bb.1:
                                        ; implicit-def: $vgpr1
	s_and_saveexec_b64 s[8:9], vcc
	s_xor_b64 s[8:9], exec, s[8:9]
; %bb.2:
	v_subrev_u32_e32 v1, 32, v0
; %bb.3:
	s_andn2_saveexec_b64 s[8:9], s[8:9]
; %bb.4:
	v_add_u32_e32 v1, -16, v0
; %bb.5:
	s_or_b64 exec, exec, s[8:9]
.LBB195_6:
	s_or_b64 exec, exec, s[10:11]
	s_load_dword s18, s[4:5], 0x18
	s_load_dwordx2 s[16:17], s[4:5], 0x0
	s_load_dwordx4 s[20:23], s[4:5], 0x8
	s_load_dwordx8 s[8:15], s[4:5], 0x20
	s_lshl_b32 s24, s6, 1
	s_waitcnt lgkmcnt(0)
	s_ashr_i32 s19, s18, 31
	s_lshl_b64 s[4:5], s[18:19], 4
	s_add_u32 s27, s4, 16
	s_addc_u32 s28, s5, 0
	s_mul_i32 s25, s28, s24
	s_mul_hi_u32 s26, s27, s24
	s_add_i32 s31, s26, s25
	s_mul_i32 s9, s9, s7
	s_mul_hi_u32 s25, s8, s7
	s_add_i32 s9, s25, s9
	s_mul_i32 s8, s8, s7
	s_lshl_b64 s[8:9], s[8:9], 3
	s_mul_i32 s30, s27, s24
	s_add_u32 s20, s20, s8
	s_addc_u32 s21, s21, s9
	s_lshl_b64 s[8:9], s[30:31], 3
	s_add_u32 s20, s20, s8
	s_addc_u32 s21, s21, s9
	s_lshl_b64 s[8:9], s[22:23], 3
	s_add_u32 s25, s20, s8
	v_mov_b32_e32 v2, 0x1800
	s_addc_u32 s26, s21, s9
	v_cndmask_b32_e64 v4, 0, v2, s[2:3]
	v_mov_b32_e32 v5, 0x1000
	s_and_saveexec_b64 s[8:9], vcc
	s_xor_b64 s[8:9], exec, s[8:9]
	s_cbranch_execz .LBB195_13
; %bb.7:
	v_cmp_gt_u32_e32 vcc, 48, v0
	s_and_saveexec_b64 s[20:21], vcc
	s_cbranch_execz .LBB195_12
; %bb.8:
	v_mov_b32_e32 v2, 0
	v_lshlrev_b64 v[2:3], 3, v[1:2]
	s_cmpk_eq_i32 s16, 0x7a
	s_mov_b64 s[22:23], -1
	s_cbranch_scc1 .LBB195_10
; %bb.9:
	s_lshl_b64 s[22:23], s[18:19], 7
	s_add_u32 s22, s25, s22
	s_addc_u32 s23, s26, s23
	v_mov_b32_e32 v7, s23
	v_add_co_u32_e32 v6, vcc, s22, v2
	v_addc_co_u32_e32 v7, vcc, v7, v3, vcc
	v_mov_b32_e32 v8, 0x78
	v_mad_i64_i32 v[8:9], s[22:23], s18, v8, v[6:7]
	s_lshl_b64 s[22:23], s[18:19], 3
	s_sub_u32 s22, 0, s22
	s_subb_u32 s23, 0, s23
	v_mov_b32_e32 v11, s23
	v_add_co_u32_e32 v10, vcc, s22, v8
	v_addc_co_u32_e32 v11, vcc, v9, v11, vcc
	global_load_dwordx2 v[12:13], v[8:9], off
	global_load_dwordx2 v[14:15], v[10:11], off
	v_mov_b32_e32 v9, s23
	v_add_co_u32_e32 v8, vcc, s22, v10
	v_addc_co_u32_e32 v9, vcc, v11, v9, vcc
	global_load_dwordx2 v[10:11], v[8:9], off
	v_mov_b32_e32 v16, s23
	global_load_dwordx2 v[6:7], v[6:7], off
	v_add_co_u32_e32 v8, vcc, s22, v8
	v_addc_co_u32_e32 v9, vcc, v9, v16, vcc
	global_load_dwordx2 v[16:17], v[8:9], off
	v_mov_b32_e32 v18, s23
	v_add_co_u32_e32 v8, vcc, s22, v8
	v_addc_co_u32_e32 v9, vcc, v9, v18, vcc
	global_load_dwordx2 v[18:19], v[8:9], off
	v_mov_b32_e32 v20, s23
	v_add_co_u32_e32 v8, vcc, s22, v8
	v_addc_co_u32_e32 v9, vcc, v9, v20, vcc
	global_load_dwordx2 v[20:21], v[8:9], off
	v_mov_b32_e32 v22, s23
	v_add_co_u32_e32 v8, vcc, s22, v8
	v_addc_co_u32_e32 v9, vcc, v9, v22, vcc
	v_mov_b32_e32 v23, s23
	v_add_co_u32_e32 v22, vcc, s22, v8
	v_lshlrev_b32_e32 v30, 3, v1
	v_addc_co_u32_e32 v23, vcc, v9, v23, vcc
	v_mov_b32_e32 v24, s23
	v_mov_b32_e32 v25, s23
	;; [unrolled: 1-line block ×6, first 2 shown]
	s_waitcnt vmcnt(5)
	ds_write2_b64 v30, v[14:15], v[12:13] offset0:224 offset1:240
	v_add_co_u32_e32 v12, vcc, s22, v22
	v_addc_co_u32_e32 v13, vcc, v23, v24, vcc
	v_add_co_u32_e32 v14, vcc, s22, v12
	v_addc_co_u32_e32 v15, vcc, v13, v25, vcc
	;; [unrolled: 2-line block ×3, first 2 shown]
	global_load_dwordx2 v[8:9], v[8:9], off
	s_nop 0
	global_load_dwordx2 v[22:23], v[22:23], off
	s_nop 0
	global_load_dwordx2 v[12:13], v[12:13], off
	s_nop 0
	global_load_dwordx2 v[14:15], v[14:15], off
	s_waitcnt vmcnt(6)
	ds_write2_b64 v30, v[16:17], v[10:11] offset0:192 offset1:208
	v_add_co_u32_e32 v16, vcc, s22, v24
	v_addc_co_u32_e32 v17, vcc, v25, v27, vcc
	global_load_dwordx2 v[10:11], v[24:25], off
	v_add_co_u32_e32 v24, vcc, s22, v16
	v_addc_co_u32_e32 v25, vcc, v17, v28, vcc
	global_load_dwordx2 v[26:27], v[16:17], off
	global_load_dwordx2 v[28:29], v[24:25], off
	v_add_co_u32_e32 v16, vcc, s22, v24
	v_addc_co_u32_e32 v17, vcc, v25, v31, vcc
	s_waitcnt vmcnt(7)
	ds_write2_b64 v30, v[20:21], v[18:19] offset0:160 offset1:176
	global_load_dwordx2 v[18:19], v[16:17], off
	v_mov_b32_e32 v20, s23
	v_add_co_u32_e32 v16, vcc, s22, v16
	v_addc_co_u32_e32 v17, vcc, v17, v20, vcc
	global_load_dwordx2 v[16:17], v[16:17], off
	s_mov_b64 s[22:23], 0
	s_waitcnt vmcnt(7)
	ds_write2_b64 v30, v[22:23], v[8:9] offset0:128 offset1:144
	s_waitcnt vmcnt(5)
	ds_write2_b64 v30, v[14:15], v[12:13] offset0:96 offset1:112
	;; [unrolled: 2-line block ×4, first 2 shown]
	s_waitcnt vmcnt(0)
	ds_write2_b64 v30, v[6:7], v[16:17] offset1:16
.LBB195_10:
	s_andn2_b64 vcc, exec, s[22:23]
	s_cbranch_vccnz .LBB195_12
; %bb.11:
	v_mov_b32_e32 v6, s26
	v_add_co_u32_e32 v2, vcc, s25, v2
	v_addc_co_u32_e32 v3, vcc, v6, v3, vcc
	s_lshl_b64 s[22:23], s[18:19], 3
	v_mov_b32_e32 v28, s23
	v_add_co_u32_e32 v6, vcc, s22, v2
	v_addc_co_u32_e32 v7, vcc, v3, v28, vcc
	global_load_dwordx2 v[8:9], v[2:3], off offset:128
	global_load_dwordx2 v[10:11], v[6:7], off offset:128
	v_add_co_u32_e32 v2, vcc, s22, v6
	v_addc_co_u32_e32 v3, vcc, v7, v28, vcc
	v_add_co_u32_e32 v6, vcc, s22, v2
	v_addc_co_u32_e32 v7, vcc, v3, v28, vcc
	global_load_dwordx2 v[12:13], v[2:3], off offset:128
	global_load_dwordx2 v[14:15], v[6:7], off offset:128
	v_add_co_u32_e32 v2, vcc, s22, v6
	v_addc_co_u32_e32 v3, vcc, v7, v28, vcc
	v_add_co_u32_e32 v6, vcc, s22, v2
	v_addc_co_u32_e32 v7, vcc, v3, v28, vcc
	global_load_dwordx2 v[16:17], v[2:3], off offset:128
	global_load_dwordx2 v[18:19], v[6:7], off offset:128
	v_add_co_u32_e32 v2, vcc, s22, v6
	v_addc_co_u32_e32 v3, vcc, v7, v28, vcc
	global_load_dwordx2 v[6:7], v[2:3], off offset:128
	v_add_co_u32_e32 v2, vcc, s22, v2
	v_addc_co_u32_e32 v3, vcc, v3, v28, vcc
	global_load_dwordx2 v[20:21], v[2:3], off offset:128
	v_add_co_u32_e32 v2, vcc, s22, v2
	v_addc_co_u32_e32 v3, vcc, v3, v28, vcc
	;; [unrolled: 3-line block ×4, first 2 shown]
	v_add_co_u32_e32 v26, vcc, s22, v2
	v_lshlrev_b32_e32 v29, 3, v1
	v_addc_co_u32_e32 v27, vcc, v3, v28, vcc
	global_load_dwordx2 v[2:3], v[2:3], off offset:128
	s_waitcnt vmcnt(9)
	ds_write2_b64 v29, v[8:9], v[10:11] offset1:16
	v_add_co_u32_e32 v10, vcc, s22, v26
	v_addc_co_u32_e32 v11, vcc, v27, v28, vcc
	global_load_dwordx2 v[8:9], v[26:27], off offset:128
	v_add_co_u32_e32 v26, vcc, s22, v10
	v_addc_co_u32_e32 v27, vcc, v11, v28, vcc
	s_waitcnt vmcnt(8)
	ds_write2_b64 v29, v[12:13], v[14:15] offset0:32 offset1:48
	v_add_co_u32_e32 v14, vcc, s22, v26
	v_addc_co_u32_e32 v15, vcc, v27, v28, vcc
	global_load_dwordx2 v[12:13], v[26:27], off offset:128
	v_add_co_u32_e32 v26, vcc, s22, v14
	v_addc_co_u32_e32 v27, vcc, v15, v28, vcc
	global_load_dwordx2 v[10:11], v[10:11], off offset:128
	s_nop 0
	global_load_dwordx2 v[14:15], v[14:15], off offset:128
	s_nop 0
	global_load_dwordx2 v[26:27], v[26:27], off offset:128
	s_waitcnt vmcnt(10)
	ds_write2_b64 v29, v[16:17], v[18:19] offset0:64 offset1:80
	s_waitcnt vmcnt(8)
	ds_write2_b64 v29, v[6:7], v[20:21] offset0:96 offset1:112
	;; [unrolled: 2-line block ×6, first 2 shown]
.LBB195_12:
	s_or_b64 exec, exec, s[20:21]
.LBB195_13:
	s_or_saveexec_b64 s[8:9], s[8:9]
	v_cndmask_b32_e64 v10, v4, v5, s[0:1]
	s_xor_b64 exec, exec, s[8:9]
	s_cbranch_execz .LBB195_80
; %bb.14:
	v_mov_b32_e32 v2, s28
	v_cndmask_b32_e64 v3, v2, 0, s[0:1]
	v_mov_b32_e32 v2, s27
	v_cndmask_b32_e64 v2, v2, 0, s[0:1]
	v_lshlrev_b64 v[3:4], 3, v[2:3]
	s_cmpk_eq_i32 s16, 0x7a
	s_mov_b64 s[20:21], -1
	s_cbranch_scc1 .LBB195_48
; %bb.15:
	v_mov_b32_e32 v7, 0
	v_mov_b32_e32 v2, v7
	;; [unrolled: 1-line block ×3, first 2 shown]
	v_add_co_u32_e32 v8, vcc, s25, v3
	v_addc_co_u32_e32 v9, vcc, v5, v4, vcc
	v_lshlrev_b64 v[5:6], 3, v[1:2]
	v_add_co_u32_e32 v5, vcc, v8, v5
	v_addc_co_u32_e32 v6, vcc, v9, v6, vcc
	v_cmp_gt_u32_e32 vcc, 16, v1
	v_mov_b32_e32 v8, 0
	v_mov_b32_e32 v9, 0
	s_and_saveexec_b64 s[20:21], vcc
	s_cbranch_execz .LBB195_17
; %bb.16:
	v_mov_b32_e32 v2, 0x78
	v_mad_i64_i32 v[8:9], s[22:23], s18, v2, v[5:6]
	global_load_dwordx2 v[8:9], v[8:9], off
.LBB195_17:
	s_or_b64 exec, exec, s[20:21]
	v_sub_u32_e32 v2, 0xffffff10, v1
	v_lshl_add_u32 v2, v2, 3, v10
	s_waitcnt vmcnt(0)
	ds_write_b64 v2, v[8:9] offset:2040
	v_cmp_gt_u32_e32 vcc, 15, v1
	v_mov_b32_e32 v8, 0
	s_and_saveexec_b64 s[20:21], vcc
	s_cbranch_execz .LBB195_19
; %bb.18:
	v_mov_b32_e32 v2, 0x70
	v_mad_i64_i32 v[7:8], s[22:23], s18, v2, v[5:6]
	global_load_dwordx2 v[7:8], v[7:8], off
.LBB195_19:
	s_or_b64 exec, exec, s[20:21]
	v_sub_u32_e32 v2, 0xffffff20, v1
	v_lshl_add_u32 v2, v2, 3, v10
	s_waitcnt vmcnt(0)
	ds_write_b64 v2, v[7:8] offset:2040
	v_cmp_gt_u32_e32 vcc, 14, v1
	v_mov_b32_e32 v7, 0
	v_mov_b32_e32 v8, 0
	v_mov_b32_e32 v9, 0
	s_and_saveexec_b64 s[20:21], vcc
	s_cbranch_execz .LBB195_21
; %bb.20:
	v_mov_b32_e32 v2, 0x68
	v_mad_i64_i32 v[8:9], s[22:23], s18, v2, v[5:6]
	global_load_dwordx2 v[8:9], v[8:9], off
.LBB195_21:
	s_or_b64 exec, exec, s[20:21]
	v_sub_u32_e32 v2, 0xffffff30, v1
	v_lshl_add_u32 v2, v2, 3, v10
	s_waitcnt vmcnt(0)
	ds_write_b64 v2, v[8:9] offset:2040
	v_cmp_gt_u32_e32 vcc, 13, v1
	v_mov_b32_e32 v8, 0
	s_and_saveexec_b64 s[20:21], vcc
	s_cbranch_execz .LBB195_23
; %bb.22:
	v_mov_b32_e32 v2, 0x60
	v_mad_i64_i32 v[7:8], s[22:23], s18, v2, v[5:6]
	global_load_dwordx2 v[7:8], v[7:8], off
.LBB195_23:
	s_or_b64 exec, exec, s[20:21]
	v_sub_u32_e32 v2, 0xffffff40, v1
	v_lshl_add_u32 v2, v2, 3, v10
	s_waitcnt vmcnt(0)
	ds_write_b64 v2, v[7:8] offset:2040
	v_cmp_gt_u32_e32 vcc, 12, v1
	v_mov_b32_e32 v7, 0
	;; [unrolled: 30-line block ×3, first 2 shown]
	v_mov_b32_e32 v8, 0
	v_mov_b32_e32 v9, 0
	s_and_saveexec_b64 s[20:21], vcc
	s_cbranch_execz .LBB195_29
; %bb.28:
	v_mov_b32_e32 v2, 0x48
	v_mad_i64_i32 v[8:9], s[22:23], s18, v2, v[5:6]
	global_load_dwordx2 v[8:9], v[8:9], off
.LBB195_29:
	s_or_b64 exec, exec, s[20:21]
	v_sub_u32_e32 v2, 0xffffff70, v1
	v_lshl_add_u32 v2, v2, 3, v10
	s_waitcnt vmcnt(0)
	ds_write_b64 v2, v[8:9] offset:2040
	v_cmp_gt_u32_e32 vcc, 9, v1
	v_mov_b32_e32 v8, 0
	s_and_saveexec_b64 s[20:21], vcc
	s_cbranch_execz .LBB195_31
; %bb.30:
	s_lshl_b64 s[22:23], s[18:19], 6
	v_mov_b32_e32 v2, s23
	v_add_co_u32_e32 v7, vcc, s22, v5
	v_addc_co_u32_e32 v8, vcc, v6, v2, vcc
	global_load_dwordx2 v[7:8], v[7:8], off
.LBB195_31:
	s_or_b64 exec, exec, s[20:21]
	v_sub_u32_e32 v2, 0xffffff80, v1
	v_lshl_add_u32 v2, v2, 3, v10
	s_waitcnt vmcnt(0)
	ds_write_b64 v2, v[7:8] offset:2040
	v_cmp_gt_u32_e32 vcc, 8, v1
	v_mov_b32_e32 v7, 0
	v_mov_b32_e32 v8, 0
	;; [unrolled: 1-line block ×3, first 2 shown]
	s_and_saveexec_b64 s[20:21], vcc
	s_cbranch_execz .LBB195_33
; %bb.32:
	v_mad_i64_i32 v[8:9], s[22:23], s18, 56, v[5:6]
	global_load_dwordx2 v[8:9], v[8:9], off
.LBB195_33:
	s_or_b64 exec, exec, s[20:21]
	v_sub_u32_e32 v2, 0xffffff90, v1
	v_lshl_add_u32 v2, v2, 3, v10
	s_waitcnt vmcnt(0)
	ds_write_b64 v2, v[8:9] offset:2040
	v_cmp_gt_u32_e32 vcc, 7, v1
	v_mov_b32_e32 v8, 0
	s_and_saveexec_b64 s[20:21], vcc
	s_cbranch_execz .LBB195_35
; %bb.34:
	v_mad_i64_i32 v[7:8], s[22:23], s18, 48, v[5:6]
	global_load_dwordx2 v[7:8], v[7:8], off
.LBB195_35:
	s_or_b64 exec, exec, s[20:21]
	v_sub_u32_e32 v2, 0xffffffa0, v1
	v_lshl_add_u32 v2, v2, 3, v10
	s_waitcnt vmcnt(0)
	ds_write_b64 v2, v[7:8] offset:2040
	v_cmp_gt_u32_e32 vcc, 6, v1
	v_mov_b32_e32 v7, 0
	v_mov_b32_e32 v8, 0
	;; [unrolled: 1-line block ×3, first 2 shown]
	s_and_saveexec_b64 s[20:21], vcc
	s_cbranch_execz .LBB195_37
; %bb.36:
	v_mad_i64_i32 v[8:9], s[22:23], s18, 40, v[5:6]
	global_load_dwordx2 v[8:9], v[8:9], off
.LBB195_37:
	s_or_b64 exec, exec, s[20:21]
	v_sub_u32_e32 v2, 0xffffffb0, v1
	v_lshl_add_u32 v2, v2, 3, v10
	s_waitcnt vmcnt(0)
	ds_write_b64 v2, v[8:9] offset:2040
	v_cmp_gt_u32_e32 vcc, 5, v1
	v_mov_b32_e32 v8, 0
	s_and_saveexec_b64 s[20:21], vcc
	s_cbranch_execz .LBB195_39
; %bb.38:
	s_lshl_b64 s[22:23], s[18:19], 5
	v_mov_b32_e32 v2, s23
	v_add_co_u32_e32 v7, vcc, s22, v5
	v_addc_co_u32_e32 v8, vcc, v6, v2, vcc
	global_load_dwordx2 v[7:8], v[7:8], off
.LBB195_39:
	s_or_b64 exec, exec, s[20:21]
	v_sub_u32_e32 v2, 0xffffffc0, v1
	v_lshl_add_u32 v2, v2, 3, v10
	s_waitcnt vmcnt(0)
	ds_write_b64 v2, v[7:8] offset:2040
	v_cmp_gt_u32_e32 vcc, 4, v1
	v_mov_b32_e32 v7, 0
	v_mov_b32_e32 v8, 0
	;; [unrolled: 1-line block ×3, first 2 shown]
	s_and_saveexec_b64 s[20:21], vcc
	s_cbranch_execz .LBB195_41
; %bb.40:
	v_mad_i64_i32 v[8:9], s[22:23], s18, 24, v[5:6]
	global_load_dwordx2 v[8:9], v[8:9], off
.LBB195_41:
	s_or_b64 exec, exec, s[20:21]
	v_sub_u32_e32 v2, 0xffffffd0, v1
	v_lshl_add_u32 v2, v2, 3, v10
	s_waitcnt vmcnt(0)
	ds_write_b64 v2, v[8:9] offset:2040
	v_cmp_gt_u32_e32 vcc, 3, v1
	v_mov_b32_e32 v8, 0
	s_and_saveexec_b64 s[20:21], vcc
	s_cbranch_execz .LBB195_43
; %bb.42:
	v_mov_b32_e32 v2, s5
	v_add_co_u32_e32 v7, vcc, s4, v5
	v_addc_co_u32_e32 v8, vcc, v6, v2, vcc
	global_load_dwordx2 v[7:8], v[7:8], off
.LBB195_43:
	s_or_b64 exec, exec, s[20:21]
	v_sub_u32_e32 v2, 0xffffffe0, v1
	v_lshl_add_u32 v2, v2, 3, v10
	s_waitcnt vmcnt(0)
	ds_write_b64 v2, v[7:8] offset:2040
	v_cmp_gt_u32_e32 vcc, 2, v1
	v_mov_b32_e32 v7, 0
	v_mov_b32_e32 v8, 0
	;; [unrolled: 1-line block ×3, first 2 shown]
	s_and_saveexec_b64 s[20:21], vcc
	s_cbranch_execz .LBB195_45
; %bb.44:
	s_lshl_b64 s[22:23], s[18:19], 3
	v_mov_b32_e32 v2, s23
	v_add_co_u32_e32 v8, vcc, s22, v5
	v_addc_co_u32_e32 v9, vcc, v6, v2, vcc
	global_load_dwordx2 v[8:9], v[8:9], off
.LBB195_45:
	s_or_b64 exec, exec, s[20:21]
	v_sub_u32_e32 v2, -16, v1
	v_lshl_add_u32 v2, v2, 3, v10
	s_waitcnt vmcnt(0)
	ds_write_b64 v2, v[8:9] offset:2040
	v_cmp_eq_u32_e32 vcc, 0, v1
	v_mov_b32_e32 v8, 0
	s_and_saveexec_b64 s[20:21], vcc
	s_cbranch_execz .LBB195_47
; %bb.46:
	global_load_dwordx2 v[7:8], v[5:6], off
.LBB195_47:
	s_or_b64 exec, exec, s[20:21]
	v_lshlrev_b32_e32 v2, 3, v1
	v_sub_u32_e32 v2, v10, v2
	s_mov_b64 s[20:21], 0
	s_waitcnt vmcnt(0)
	ds_write_b64 v2, v[7:8] offset:2040
.LBB195_48:
	s_and_b64 vcc, exec, s[20:21]
	s_cbranch_vccz .LBB195_80
; %bb.49:
	v_mov_b32_e32 v5, 0
	v_mov_b32_e32 v2, v5
	;; [unrolled: 1-line block ×3, first 2 shown]
	v_add_co_u32_e32 v7, vcc, s25, v3
	v_lshlrev_b64 v[2:3], 3, v[1:2]
	v_addc_co_u32_e32 v4, vcc, v6, v4, vcc
	v_add_co_u32_e32 v2, vcc, v7, v2
	v_addc_co_u32_e32 v3, vcc, v4, v3, vcc
	global_load_dwordx2 v[11:12], v[2:3], off
	v_lshl_add_u32 v8, v1, 3, v10
	v_cmp_ne_u32_e32 vcc, 0, v1
	v_mov_b32_e32 v6, 0
	v_mov_b32_e32 v7, 0
	s_waitcnt vmcnt(0)
	ds_write_b64 v8, v[11:12]
	s_and_saveexec_b64 s[20:21], vcc
	s_cbranch_execz .LBB195_51
; %bb.50:
	s_lshl_b64 s[22:23], s[18:19], 3
	v_mov_b32_e32 v4, s23
	v_add_co_u32_e32 v6, vcc, s22, v2
	v_addc_co_u32_e32 v7, vcc, v3, v4, vcc
	global_load_dwordx2 v[6:7], v[6:7], off
.LBB195_51:
	s_or_b64 exec, exec, s[20:21]
	s_waitcnt vmcnt(0)
	ds_write_b64 v8, v[6:7] offset:128
	v_cmp_lt_u32_e32 vcc, 1, v1
	v_mov_b32_e32 v6, 0
	s_and_saveexec_b64 s[20:21], vcc
	s_cbranch_execz .LBB195_53
; %bb.52:
	v_mov_b32_e32 v5, s5
	v_add_co_u32_e32 v4, vcc, s4, v2
	v_addc_co_u32_e32 v5, vcc, v3, v5, vcc
	global_load_dwordx2 v[5:6], v[4:5], off
.LBB195_53:
	s_or_b64 exec, exec, s[20:21]
	s_waitcnt vmcnt(0)
	ds_write_b64 v8, v[5:6] offset:256
	v_cmp_lt_u32_e32 vcc, 2, v1
	v_mov_b32_e32 v4, 0
	v_mov_b32_e32 v5, 0
	v_mov_b32_e32 v6, 0
	s_and_saveexec_b64 s[4:5], vcc
	s_cbranch_execz .LBB195_55
; %bb.54:
	v_mad_i64_i32 v[5:6], s[20:21], s18, 24, v[2:3]
	global_load_dwordx2 v[5:6], v[5:6], off
.LBB195_55:
	s_or_b64 exec, exec, s[4:5]
	s_waitcnt vmcnt(0)
	ds_write_b64 v8, v[5:6] offset:384
	v_cmp_lt_u32_e32 vcc, 3, v1
	v_mov_b32_e32 v5, 0
	s_and_saveexec_b64 s[4:5], vcc
	s_cbranch_execz .LBB195_57
; %bb.56:
	s_lshl_b64 s[20:21], s[18:19], 5
	v_mov_b32_e32 v5, s21
	v_add_co_u32_e32 v4, vcc, s20, v2
	v_addc_co_u32_e32 v5, vcc, v3, v5, vcc
	global_load_dwordx2 v[4:5], v[4:5], off
.LBB195_57:
	s_or_b64 exec, exec, s[4:5]
	s_waitcnt vmcnt(0)
	ds_write_b64 v8, v[4:5] offset:512
	v_cmp_lt_u32_e32 vcc, 4, v1
	v_mov_b32_e32 v4, 0
	v_mov_b32_e32 v5, 0
	;; [unrolled: 1-line block ×3, first 2 shown]
	s_and_saveexec_b64 s[4:5], vcc
	s_cbranch_execz .LBB195_59
; %bb.58:
	v_mad_i64_i32 v[5:6], s[20:21], s18, 40, v[2:3]
	global_load_dwordx2 v[5:6], v[5:6], off
.LBB195_59:
	s_or_b64 exec, exec, s[4:5]
	s_waitcnt vmcnt(0)
	ds_write_b64 v8, v[5:6] offset:640
	v_cmp_lt_u32_e32 vcc, 5, v1
	v_mov_b32_e32 v5, 0
	s_and_saveexec_b64 s[4:5], vcc
	s_cbranch_execz .LBB195_61
; %bb.60:
	v_mad_i64_i32 v[4:5], s[20:21], s18, 48, v[2:3]
	global_load_dwordx2 v[4:5], v[4:5], off
.LBB195_61:
	s_or_b64 exec, exec, s[4:5]
	s_waitcnt vmcnt(0)
	ds_write_b64 v8, v[4:5] offset:768
	v_cmp_lt_u32_e32 vcc, 6, v1
	v_mov_b32_e32 v4, 0
	v_mov_b32_e32 v5, 0
	;; [unrolled: 1-line block ×3, first 2 shown]
	s_and_saveexec_b64 s[4:5], vcc
	s_cbranch_execz .LBB195_63
; %bb.62:
	v_mad_i64_i32 v[5:6], s[20:21], s18, 56, v[2:3]
	global_load_dwordx2 v[5:6], v[5:6], off
.LBB195_63:
	s_or_b64 exec, exec, s[4:5]
	s_waitcnt vmcnt(0)
	ds_write_b64 v8, v[5:6] offset:896
	v_cmp_lt_u32_e32 vcc, 7, v1
	v_mov_b32_e32 v5, 0
	s_and_saveexec_b64 s[4:5], vcc
	s_cbranch_execz .LBB195_65
; %bb.64:
	s_lshl_b64 s[20:21], s[18:19], 6
	v_mov_b32_e32 v5, s21
	v_add_co_u32_e32 v4, vcc, s20, v2
	v_addc_co_u32_e32 v5, vcc, v3, v5, vcc
	global_load_dwordx2 v[4:5], v[4:5], off
.LBB195_65:
	s_or_b64 exec, exec, s[4:5]
	s_waitcnt vmcnt(0)
	ds_write_b64 v8, v[4:5] offset:1024
	v_cmp_lt_u32_e32 vcc, 8, v1
	v_mov_b32_e32 v4, 0
	v_mov_b32_e32 v5, 0
	v_mov_b32_e32 v6, 0
	s_and_saveexec_b64 s[4:5], vcc
	s_cbranch_execz .LBB195_67
; %bb.66:
	v_mov_b32_e32 v5, 0x48
	v_mad_i64_i32 v[5:6], s[20:21], s18, v5, v[2:3]
	global_load_dwordx2 v[5:6], v[5:6], off
.LBB195_67:
	s_or_b64 exec, exec, s[4:5]
	s_waitcnt vmcnt(0)
	ds_write_b64 v8, v[5:6] offset:1152
	v_cmp_lt_u32_e32 vcc, 9, v1
	v_mov_b32_e32 v5, 0
	s_and_saveexec_b64 s[4:5], vcc
	s_cbranch_execz .LBB195_69
; %bb.68:
	v_mov_b32_e32 v4, 0x50
	v_mad_i64_i32 v[4:5], s[20:21], s18, v4, v[2:3]
	global_load_dwordx2 v[4:5], v[4:5], off
.LBB195_69:
	s_or_b64 exec, exec, s[4:5]
	s_waitcnt vmcnt(0)
	ds_write_b64 v8, v[4:5] offset:1280
	v_cmp_lt_u32_e32 vcc, 10, v1
	v_mov_b32_e32 v4, 0
	v_mov_b32_e32 v5, 0
	v_mov_b32_e32 v6, 0
	s_and_saveexec_b64 s[4:5], vcc
	s_cbranch_execz .LBB195_71
; %bb.70:
	v_mov_b32_e32 v5, 0x58
	v_mad_i64_i32 v[5:6], s[20:21], s18, v5, v[2:3]
	global_load_dwordx2 v[5:6], v[5:6], off
.LBB195_71:
	s_or_b64 exec, exec, s[4:5]
	s_waitcnt vmcnt(0)
	ds_write_b64 v8, v[5:6] offset:1408
	v_cmp_lt_u32_e32 vcc, 11, v1
	v_mov_b32_e32 v5, 0
	s_and_saveexec_b64 s[4:5], vcc
	s_cbranch_execz .LBB195_73
; %bb.72:
	v_mov_b32_e32 v4, 0x60
	v_mad_i64_i32 v[4:5], s[20:21], s18, v4, v[2:3]
	global_load_dwordx2 v[4:5], v[4:5], off
.LBB195_73:
	;; [unrolled: 26-line block ×3, first 2 shown]
	s_or_b64 exec, exec, s[4:5]
	s_waitcnt vmcnt(0)
	ds_write_b64 v8, v[4:5] offset:1792
	v_cmp_lt_u32_e32 vcc, 14, v1
	v_mov_b32_e32 v4, 0
	v_mov_b32_e32 v5, 0
	s_and_saveexec_b64 s[4:5], vcc
	s_cbranch_execz .LBB195_79
; %bb.78:
	v_mov_b32_e32 v4, 0x78
	v_mad_i64_i32 v[2:3], s[18:19], s18, v4, v[2:3]
	global_load_dwordx2 v[4:5], v[2:3], off
.LBB195_79:
	s_or_b64 exec, exec, s[4:5]
	s_waitcnt vmcnt(0)
	ds_write_b64 v8, v[4:5] offset:1920
.LBB195_80:
	s_or_b64 exec, exec, s[8:9]
	s_waitcnt lgkmcnt(0)
	s_barrier
	s_and_saveexec_b64 s[8:9], s[2:3]
	s_cbranch_execz .LBB195_93
; %bb.81:
	v_mul_i32_i24_e32 v2, 0x88, v1
	s_cmpk_lg_i32 s17, 0x84
	s_mov_b64 s[4:5], -1
	v_add_u32_e32 v6, v10, v2
	s_cbranch_scc0 .LBB195_91
; %bb.82:
	ds_read_b64 v[2:3], v6
	s_waitcnt lgkmcnt(0)
	v_cmp_neq_f32_e32 vcc, 0, v2
	v_cmp_neq_f32_e64 s[4:5], 0, v3
	s_or_b64 s[4:5], vcc, s[4:5]
	s_and_saveexec_b64 s[18:19], s[4:5]
	s_xor_b64 s[4:5], exec, s[18:19]
	s_cbranch_execz .LBB195_88
; %bb.83:
	v_cmp_ngt_f32_e64 s[18:19], |v2|, |v3|
                                        ; implicit-def: $vgpr4
	s_and_saveexec_b64 s[20:21], s[18:19]
	s_xor_b64 s[18:19], exec, s[20:21]
	s_cbranch_execz .LBB195_85
; %bb.84:
	v_div_scale_f32 v4, s[20:21], v3, v3, v2
	v_div_scale_f32 v5, vcc, v2, v3, v2
	v_rcp_f32_e32 v7, v4
	v_fma_f32 v8, -v4, v7, 1.0
	v_fmac_f32_e32 v7, v8, v7
	v_mul_f32_e32 v8, v5, v7
	v_fma_f32 v9, -v4, v8, v5
	v_fmac_f32_e32 v8, v9, v7
	v_fma_f32 v4, -v4, v8, v5
	v_div_fmas_f32 v4, v4, v7, v8
	v_div_fixup_f32 v4, v4, v3, v2
	v_fmac_f32_e32 v3, v2, v4
	v_div_scale_f32 v2, s[20:21], v3, v3, 1.0
	v_div_scale_f32 v5, vcc, 1.0, v3, 1.0
	v_rcp_f32_e32 v7, v2
	v_fma_f32 v8, -v2, v7, 1.0
	v_fmac_f32_e32 v7, v8, v7
	v_mul_f32_e32 v8, v5, v7
	v_fma_f32 v9, -v2, v8, v5
	v_fmac_f32_e32 v8, v9, v7
	v_fma_f32 v2, -v2, v8, v5
	v_div_fmas_f32 v2, v2, v7, v8
	v_div_fixup_f32 v2, v2, v3, 1.0
	v_mul_f32_e32 v4, v4, v2
	v_xor_b32_e32 v5, 0x80000000, v2
                                        ; implicit-def: $vgpr2_vgpr3
.LBB195_85:
	s_andn2_saveexec_b64 s[18:19], s[18:19]
	s_cbranch_execz .LBB195_87
; %bb.86:
	v_div_scale_f32 v4, s[20:21], v2, v2, v3
	v_div_scale_f32 v5, vcc, v3, v2, v3
	v_rcp_f32_e32 v7, v4
	v_fma_f32 v8, -v4, v7, 1.0
	v_fmac_f32_e32 v7, v8, v7
	v_mul_f32_e32 v8, v5, v7
	v_fma_f32 v9, -v4, v8, v5
	v_fmac_f32_e32 v8, v9, v7
	v_fma_f32 v4, -v4, v8, v5
	v_div_fmas_f32 v4, v4, v7, v8
	v_div_fixup_f32 v5, v4, v2, v3
	v_fmac_f32_e32 v2, v3, v5
	v_div_scale_f32 v3, s[20:21], v2, v2, 1.0
	v_div_scale_f32 v4, vcc, 1.0, v2, 1.0
	v_rcp_f32_e32 v7, v3
	v_fma_f32 v8, -v3, v7, 1.0
	v_fmac_f32_e32 v7, v8, v7
	v_mul_f32_e32 v8, v4, v7
	v_fma_f32 v9, -v3, v8, v4
	v_fmac_f32_e32 v8, v9, v7
	v_fma_f32 v3, -v3, v8, v4
	v_div_fmas_f32 v3, v3, v7, v8
	v_div_fixup_f32 v4, v3, v2, 1.0
	v_mul_f32_e64 v5, v5, -v4
.LBB195_87:
	s_or_b64 exec, exec, s[18:19]
	ds_write_b64 v6, v[4:5]
.LBB195_88:
	s_andn2_saveexec_b64 s[4:5], s[4:5]
; %bb.89:
	v_mov_b32_e32 v2, 1.0
	v_mov_b32_e32 v3, 0
	ds_write_b64 v6, v[2:3]
; %bb.90:
	s_or_b64 exec, exec, s[4:5]
	s_mov_b64 s[4:5], 0
.LBB195_91:
	s_andn2_b64 vcc, exec, s[4:5]
	s_cbranch_vccnz .LBB195_93
; %bb.92:
	v_mov_b32_e32 v2, 1.0
	v_mov_b32_e32 v3, 0
	ds_write_b64 v6, v[2:3]
.LBB195_93:
	s_or_b64 exec, exec, s[8:9]
	s_waitcnt lgkmcnt(0)
	s_barrier
	s_and_saveexec_b64 s[4:5], s[2:3]
	s_cbranch_execz .LBB195_105
; %bb.94:
	v_lshl_add_u32 v2, v1, 3, v10
	v_mul_i32_i24_e32 v5, 0x88, v1
	v_add_u32_e32 v3, 0x80, v2
	v_add_u32_e32 v4, 8, v10
	s_mov_b32 s17, 0
	v_add_u32_e32 v5, v10, v5
	s_branch .LBB195_96
.LBB195_95:                             ;   in Loop: Header=BB195_96 Depth=1
	v_add_u32_e32 v3, 0x80, v3
	s_cmp_eq_u32 s17, 16
	v_add_u32_e32 v4, 0x88, v4
	s_cbranch_scc1 .LBB195_105
.LBB195_96:                             ; =>This Loop Header: Depth=1
                                        ;     Child Loop BB195_101 Depth 2
	s_mov_b32 s18, s17
	v_cmp_lt_i32_e32 vcc, s18, v1
	v_mov_b32_e32 v6, 0
	v_mov_b32_e32 v7, 0
	s_and_saveexec_b64 s[8:9], vcc
	s_cbranch_execz .LBB195_98
; %bb.97:                               ;   in Loop: Header=BB195_96 Depth=1
	s_mul_i32 s17, s18, 0x88
	v_lshl_add_u32 v6, s18, 7, v2
	v_add_u32_e32 v8, s17, v10
	ds_read_b64 v[6:7], v6
	ds_read_b64 v[8:9], v8
	s_waitcnt lgkmcnt(0)
	v_mul_f32_e32 v11, v9, v7
	v_mul_f32_e32 v7, v8, v7
	v_fma_f32 v8, v8, v6, -v11
	v_fmac_f32_e32 v7, v9, v6
	v_add_f32_e32 v6, 0, v8
	v_add_f32_e32 v7, 0, v7
.LBB195_98:                             ;   in Loop: Header=BB195_96 Depth=1
	s_or_b64 exec, exec, s[8:9]
	s_add_i32 s17, s18, 1
	s_cmp_gt_u32 s18, 14
	s_cbranch_scc1 .LBB195_95
; %bb.99:                               ;   in Loop: Header=BB195_96 Depth=1
	s_lshl_b32 s8, s18, 7
	v_add_u32_e32 v8, s8, v2
	v_mov_b32_e32 v9, v4
	v_mov_b32_e32 v11, v3
	s_mov_b32 s18, s17
	s_branch .LBB195_101
.LBB195_100:                            ;   in Loop: Header=BB195_101 Depth=2
	s_or_b64 exec, exec, s[8:9]
	s_add_i32 s18, s18, 1
	v_add_u32_e32 v11, 0x80, v11
	s_cmp_eq_u32 s18, 16
	v_add_u32_e32 v9, 8, v9
	s_cbranch_scc1 .LBB195_95
.LBB195_101:                            ;   Parent Loop BB195_96 Depth=1
                                        ; =>  This Inner Loop Header: Depth=2
	v_cmp_eq_u32_e32 vcc, s18, v1
	s_and_saveexec_b64 s[8:9], vcc
	s_cbranch_execz .LBB195_103
; %bb.102:                              ;   in Loop: Header=BB195_101 Depth=2
	ds_read_b64 v[12:13], v5
	v_sub_f32_e32 v15, 0, v6
	s_waitcnt lgkmcnt(0)
	v_mul_f32_e32 v14, v7, v13
	v_mul_f32_e32 v16, v7, v12
	v_fmac_f32_e32 v14, v15, v12
	v_fma_f32 v15, -v6, v13, -v16
	ds_write_b64 v8, v[14:15]
.LBB195_103:                            ;   in Loop: Header=BB195_101 Depth=2
	s_or_b64 exec, exec, s[8:9]
	v_cmp_lt_i32_e32 vcc, s18, v1
	s_and_saveexec_b64 s[8:9], vcc
	s_cbranch_execz .LBB195_100
; %bb.104:                              ;   in Loop: Header=BB195_101 Depth=2
	ds_read_b64 v[12:13], v11
	ds_read_b64 v[14:15], v9
	s_waitcnt lgkmcnt(0)
	v_mul_f32_e32 v16, v15, v13
	v_mul_f32_e32 v13, v14, v13
	v_fma_f32 v14, v14, v12, -v16
	v_fmac_f32_e32 v13, v15, v12
	v_add_f32_e32 v6, v6, v14
	v_add_f32_e32 v7, v7, v13
	s_branch .LBB195_100
.LBB195_105:
	s_or_b64 exec, exec, s[4:5]
	s_cmpk_lg_i32 s16, 0x7a
	s_cselect_b64 s[8:9], -1, 0
	s_movk_i32 s4, 0x100
	v_and_b32_e32 v4, 15, v0
	v_lshrrev_b32_e32 v5, 4, v0
	v_cmp_gt_u32_e64 s[4:5], s4, v0
	s_and_b64 vcc, exec, s[8:9]
	s_waitcnt lgkmcnt(0)
	s_barrier
	s_cbranch_vccz .LBB195_110
; %bb.106:
	s_mov_b64 s[18:19], 0
	s_mov_b64 s[16:17], 0
                                        ; implicit-def: $vgpr3
	s_and_saveexec_b64 s[20:21], s[4:5]
	s_cbranch_execz .LBB195_111
; %bb.107:
	s_movk_i32 s16, 0xf0
	v_bfi_b32 v2, v0, 0, s16
	v_mov_b32_e32 v3, 0x1878
	v_lshlrev_b32_e32 v6, 3, v4
	v_add_u32_e32 v7, 1, v5
	v_lshl_or_b32 v8, v2, 3, v3
	v_mov_b32_e32 v3, 0
	s_mov_b64 s[16:17], 0
	v_mov_b32_e32 v2, 0
.LBB195_108:                            ; =>This Inner Loop Header: Depth=1
	ds_read_b64 v[11:12], v6
	ds_read_b64 v[13:14], v8
	v_add_u32_e32 v7, -1, v7
	v_cmp_eq_u32_e32 vcc, 0, v7
	v_add_u32_e32 v8, -8, v8
	v_add_u32_e32 v6, 0x80, v6
	s_waitcnt lgkmcnt(0)
	v_mul_f32_e32 v9, v14, v12
	v_mul_f32_e32 v12, v13, v12
	v_fma_f32 v9, v13, v11, -v9
	v_fmac_f32_e32 v12, v14, v11
	s_or_b64 s[16:17], vcc, s[16:17]
	v_add_f32_e32 v2, v2, v9
	v_add_f32_e32 v3, v3, v12
	s_andn2_b64 exec, exec, s[16:17]
	s_cbranch_execnz .LBB195_108
; %bb.109:
	s_or_b64 exec, exec, s[16:17]
	s_mov_b64 s[16:17], exec
	s_or_b64 exec, exec, s[20:21]
	s_and_b64 vcc, exec, s[18:19]
	s_cbranch_vccnz .LBB195_112
	s_branch .LBB195_117
.LBB195_110:
	s_mov_b64 s[16:17], 0
                                        ; implicit-def: $vgpr3
	s_cbranch_execnz .LBB195_112
	s_branch .LBB195_117
.LBB195_111:
	s_or_b64 exec, exec, s[20:21]
	s_and_b64 vcc, exec, s[18:19]
	s_cbranch_vccz .LBB195_117
.LBB195_112:
                                        ; implicit-def: $vgpr3
	s_and_saveexec_b64 s[18:19], s[4:5]
	s_cbranch_execz .LBB195_116
; %bb.113:
	v_lshlrev_b32_e32 v2, 3, v0
	v_and_b32_e32 v2, 0x780, v2
	v_lshlrev_b32_e32 v3, 3, v5
	s_movk_i32 s20, 0x1000
	v_or3_b32 v7, v2, v3, s20
	v_lshlrev_b32_e32 v2, 3, v4
	v_add_u32_e32 v6, -1, v5
	v_lshl_or_b32 v8, v5, 7, v2
	v_mov_b32_e32 v3, 0
	s_mov_b64 s[20:21], 0
	v_mov_b32_e32 v2, 0
.LBB195_114:                            ; =>This Inner Loop Header: Depth=1
	ds_read_b64 v[11:12], v8
	ds_read_b64 v[13:14], v7
	v_add_u32_e32 v6, 1, v6
	v_cmp_lt_u32_e32 vcc, 14, v6
	v_add_u32_e32 v7, 8, v7
	v_add_u32_e32 v8, 0x80, v8
	s_waitcnt lgkmcnt(0)
	v_mul_f32_e32 v9, v14, v12
	v_mul_f32_e32 v12, v13, v12
	v_fma_f32 v9, v13, v11, -v9
	v_fmac_f32_e32 v12, v14, v11
	s_or_b64 s[20:21], vcc, s[20:21]
	v_add_f32_e32 v2, v2, v9
	v_add_f32_e32 v3, v3, v12
	s_andn2_b64 exec, exec, s[20:21]
	s_cbranch_execnz .LBB195_114
; %bb.115:
	s_or_b64 exec, exec, s[20:21]
	s_or_b64 s[16:17], s[16:17], exec
.LBB195_116:
	s_or_b64 exec, exec, s[18:19]
.LBB195_117:
	s_and_saveexec_b64 s[18:19], s[16:17]
; %bb.118:
	v_lshlrev_b32_e32 v6, 3, v0
	ds_write_b64 v6, v[2:3] offset:2048
; %bb.119:
	s_or_b64 exec, exec, s[18:19]
	s_bfe_u32 s16, s6, 0x1d0002
	s_mul_i32 s6, s15, s7
	s_mul_hi_u32 s15, s14, s7
	s_add_i32 s15, s15, s6
	s_mul_i32 s14, s14, s7
	s_and_b32 s18, s24, 6
	s_lshl_b64 s[6:7], s[14:15], 3
	s_mov_b32 s17, 0
	s_add_u32 s10, s10, s6
	s_addc_u32 s11, s11, s7
	s_lshl_b64 s[6:7], s[16:17], 17
	s_add_u32 s6, s10, s6
	s_addc_u32 s7, s11, s7
	s_mulk_i32 s18, 0x4080
	s_add_u32 s10, s6, s18
	s_addc_u32 s11, s7, 0
	s_lshl_b64 s[6:7], s[12:13], 3
	s_add_u32 s14, s10, s6
	s_addc_u32 s15, s11, s7
	s_and_b64 vcc, exec, s[8:9]
	s_waitcnt lgkmcnt(0)
	s_barrier
	s_cbranch_vccz .LBB195_124
; %bb.120:
	s_mov_b64 s[10:11], 0
	s_mov_b64 s[6:7], 0
                                        ; implicit-def: $vgpr3
                                        ; implicit-def: $vgpr2
	s_and_saveexec_b64 s[12:13], s[4:5]
	s_cbranch_execz .LBB195_130
; %bb.121:
	v_lshlrev_b32_e32 v3, 3, v0
	v_xor_b32_e32 v2, 15, v4
	v_and_b32_e32 v3, 0x780, v3
	v_lshlrev_b32_e32 v7, 3, v4
	s_movk_i32 s6, 0x800
	v_or3_b32 v7, v3, v7, s6
	v_lshlrev_b32_e32 v2, 3, v2
	v_lshlrev_b32_e32 v3, 7, v4
	v_sub_u32_e32 v2, v2, v3
	v_add_u32_e32 v6, -1, v4
	v_add_u32_e32 v8, 0x1780, v2
	v_mov_b32_e32 v2, 0
	s_mov_b64 s[6:7], 0
	v_mov_b32_e32 v3, 0
.LBB195_122:                            ; =>This Inner Loop Header: Depth=1
	ds_read_b64 v[11:12], v8
	ds_read_b64 v[13:14], v7
	v_add_u32_e32 v6, 1, v6
	v_cmp_lt_u32_e32 vcc, 14, v6
	v_add_u32_e32 v7, 8, v7
	v_add_u32_e32 v8, 0xffffff80, v8
	s_waitcnt lgkmcnt(0)
	v_mul_f32_e32 v9, v11, v13
	v_mul_f32_e32 v11, v11, v14
	v_fma_f32 v9, v12, v14, -v9
	v_fma_f32 v11, v13, -v12, -v11
	s_or_b64 s[6:7], vcc, s[6:7]
	v_add_f32_e32 v2, v2, v9
	v_add_f32_e32 v3, v3, v11
	s_andn2_b64 exec, exec, s[6:7]
	s_cbranch_execnz .LBB195_122
; %bb.123:
	s_or_b64 exec, exec, s[6:7]
	s_mov_b64 s[6:7], exec
	s_or_b64 exec, exec, s[12:13]
	s_and_b64 vcc, exec, s[10:11]
	s_cbranch_vccnz .LBB195_125
	s_branch .LBB195_131
.LBB195_124:
	s_mov_b64 s[6:7], 0
                                        ; implicit-def: $vgpr3
                                        ; implicit-def: $vgpr2
	s_cbranch_execz .LBB195_131
.LBB195_125:
                                        ; implicit-def: $vgpr3
                                        ; implicit-def: $vgpr2
	s_and_saveexec_b64 s[10:11], s[4:5]
	s_cbranch_execz .LBB195_129
; %bb.126:
	v_mov_b32_e32 v2, 0x1800
	v_lshl_or_b32 v6, v4, 3, v2
	v_and_b32_e32 v0, 0xf0, v0
	v_mov_b32_e32 v2, 0x800
	v_lshl_or_b32 v0, v0, 3, v2
	v_add_u32_e32 v7, 1, v4
	v_mov_b32_e32 v2, 0
	s_mov_b64 s[4:5], 0
	v_mov_b32_e32 v3, 0
.LBB195_127:                            ; =>This Inner Loop Header: Depth=1
	ds_read_b64 v[8:9], v6
	ds_read_b64 v[11:12], v0
	v_add_u32_e32 v7, -1, v7
	v_cmp_eq_u32_e32 vcc, 0, v7
	v_add_u32_e32 v0, 8, v0
	v_add_u32_e32 v6, 0x80, v6
	s_waitcnt lgkmcnt(0)
	v_mul_f32_e32 v13, v8, v11
	v_mul_f32_e32 v8, v8, v12
	v_fma_f32 v12, v9, v12, -v13
	v_fma_f32 v8, v11, -v9, -v8
	s_or_b64 s[4:5], vcc, s[4:5]
	v_add_f32_e32 v2, v2, v12
	v_add_f32_e32 v3, v3, v8
	s_andn2_b64 exec, exec, s[4:5]
	s_cbranch_execnz .LBB195_127
; %bb.128:
	s_or_b64 exec, exec, s[4:5]
	s_or_b64 s[6:7], s[6:7], exec
.LBB195_129:
	s_or_b64 exec, exec, s[10:11]
	s_mov_b64 s[10:11], 0x80
	s_mov_b64 s[4:5], 0x84
	s_and_saveexec_b64 s[12:13], s[6:7]
	s_cbranch_execnz .LBB195_132
	s_branch .LBB195_133
.LBB195_130:
	s_or_b64 exec, exec, s[12:13]
	s_and_b64 vcc, exec, s[10:11]
	s_cbranch_vccnz .LBB195_125
.LBB195_131:
	s_mov_b64 s[10:11], 0x4000
	s_mov_b64 s[4:5], 0x4004
	s_and_saveexec_b64 s[12:13], s[6:7]
	s_cbranch_execz .LBB195_133
.LBB195_132:
	v_lshlrev_b32_e32 v0, 3, v4
	v_lshl_or_b32 v0, v5, 10, v0
	v_mov_b32_e32 v4, s15
	v_add_co_u32_e32 v0, vcc, s14, v0
	v_addc_co_u32_e32 v6, vcc, 0, v4, vcc
	v_mov_b32_e32 v5, s11
	v_add_co_u32_e32 v4, vcc, s10, v0
	v_addc_co_u32_e32 v5, vcc, v6, v5, vcc
	global_store_dword v[4:5], v2, off
	v_mov_b32_e32 v2, s5
	v_add_co_u32_e32 v4, vcc, s4, v0
	v_addc_co_u32_e32 v5, vcc, v6, v2, vcc
	global_store_dword v[4:5], v3, off
.LBB195_133:
	s_or_b64 exec, exec, s[12:13]
	s_and_saveexec_b64 s[4:5], s[2:3]
	s_cbranch_execz .LBB195_143
; %bb.134:
	v_mov_b32_e32 v0, 0x810
	v_cndmask_b32_e64 v0, v0, 0, s[0:1]
	s_andn2_b64 vcc, exec, s[8:9]
	s_mov_b64 s[0:1], -1
	s_cbranch_vccnz .LBB195_139
; %bb.135:
	s_mov_b32 s0, 16
	v_cmp_gt_i32_e32 vcc, 16, v1
	s_and_saveexec_b64 s[2:3], vcc
	s_cbranch_execz .LBB195_138
; %bb.136:
	v_mov_b32_e32 v2, 0
	v_lshlrev_b32_e32 v3, 3, v0
	v_mov_b32_e32 v4, s15
	v_add_co_u32_e32 v5, vcc, s14, v3
	v_lshlrev_b64 v[2:3], 3, v[1:2]
	v_addc_co_u32_e32 v4, vcc, 0, v4, vcc
	v_add_co_u32_e32 v2, vcc, v5, v2
	v_addc_co_u32_e32 v3, vcc, v4, v3, vcc
	v_lshlrev_b32_e32 v4, 3, v1
	v_sub_u32_e32 v4, v10, v4
	v_add_u32_e32 v4, 0x78, v4
	s_mov_b64 s[4:5], 0
	s_mov_b32 s1, 0
.LBB195_137:                            ; =>This Inner Loop Header: Depth=1
	ds_read_b64 v[5:6], v4
	s_add_i32 s0, s0, -1
	s_lshl_b64 s[6:7], s[0:1], 10
	v_cmp_le_i32_e32 vcc, s0, v1
	v_mov_b32_e32 v8, s7
	s_or_b64 s[4:5], vcc, s[4:5]
	v_add_co_u32_e32 v7, vcc, s6, v2
	v_add_u32_e32 v4, 0x80, v4
	v_addc_co_u32_e32 v8, vcc, v3, v8, vcc
	s_waitcnt lgkmcnt(0)
	global_store_dwordx2 v[7:8], v[5:6], off
	s_andn2_b64 exec, exec, s[4:5]
	s_cbranch_execnz .LBB195_137
.LBB195_138:
	s_or_b64 exec, exec, s[2:3]
	s_mov_b64 s[0:1], 0
.LBB195_139:
	s_andn2_b64 vcc, exec, s[0:1]
	s_cbranch_vccnz .LBB195_143
; %bb.140:
	v_cmp_lt_i32_e32 vcc, -1, v1
	s_and_b64 exec, exec, vcc
	s_cbranch_execz .LBB195_143
; %bb.141:
	v_lshlrev_b32_e32 v0, 3, v0
	v_mov_b32_e32 v2, 0
	v_mov_b32_e32 v3, s15
	v_add_co_u32_e32 v0, vcc, s14, v0
	v_addc_co_u32_e32 v5, vcc, 0, v3, vcc
	v_lshlrev_b64 v[2:3], 3, v[1:2]
	v_lshl_add_u32 v4, v1, 3, v10
	v_add_co_u32_e32 v2, vcc, v0, v2
	v_addc_co_u32_e32 v3, vcc, v5, v3, vcc
	v_add_u32_e32 v0, 1, v1
	s_mov_b64 s[0:1], 0
.LBB195_142:                            ; =>This Inner Loop Header: Depth=1
	ds_read_b64 v[5:6], v4
	v_add_u32_e32 v0, -1, v0
	v_cmp_eq_u32_e32 vcc, 0, v0
	s_or_b64 s[0:1], vcc, s[0:1]
	v_add_u32_e32 v4, 0x80, v4
	s_waitcnt lgkmcnt(0)
	global_store_dwordx2 v[2:3], v[5:6], off
	v_add_co_u32_e32 v2, vcc, 0x400, v2
	v_addc_co_u32_e32 v3, vcc, 0, v3, vcc
	s_andn2_b64 exec, exec, s[0:1]
	s_cbranch_execnz .LBB195_142
.LBB195_143:
	s_endpgm
	.section	.rodata,"a",@progbits
	.p2align	6, 0x0
	.amdhsa_kernel _ZL25rocblas_trtri_trsm_kernelILi128ELi16ELi8E19rocblas_complex_numIfEPKS1_PS1_Ev13rocblas_fill_17rocblas_diagonal_T3_lilT4_lli
		.amdhsa_group_segment_fixed_size 8192
		.amdhsa_private_segment_fixed_size 0
		.amdhsa_kernarg_size 68
		.amdhsa_user_sgpr_count 6
		.amdhsa_user_sgpr_private_segment_buffer 1
		.amdhsa_user_sgpr_dispatch_ptr 0
		.amdhsa_user_sgpr_queue_ptr 0
		.amdhsa_user_sgpr_kernarg_segment_ptr 1
		.amdhsa_user_sgpr_dispatch_id 0
		.amdhsa_user_sgpr_flat_scratch_init 0
		.amdhsa_user_sgpr_private_segment_size 0
		.amdhsa_uses_dynamic_stack 0
		.amdhsa_system_sgpr_private_segment_wavefront_offset 0
		.amdhsa_system_sgpr_workgroup_id_x 1
		.amdhsa_system_sgpr_workgroup_id_y 0
		.amdhsa_system_sgpr_workgroup_id_z 1
		.amdhsa_system_sgpr_workgroup_info 0
		.amdhsa_system_vgpr_workitem_id 0
		.amdhsa_next_free_vgpr 32
		.amdhsa_next_free_sgpr 61
		.amdhsa_reserve_vcc 1
		.amdhsa_reserve_flat_scratch 0
		.amdhsa_float_round_mode_32 0
		.amdhsa_float_round_mode_16_64 0
		.amdhsa_float_denorm_mode_32 3
		.amdhsa_float_denorm_mode_16_64 3
		.amdhsa_dx10_clamp 1
		.amdhsa_ieee_mode 1
		.amdhsa_fp16_overflow 0
		.amdhsa_exception_fp_ieee_invalid_op 0
		.amdhsa_exception_fp_denorm_src 0
		.amdhsa_exception_fp_ieee_div_zero 0
		.amdhsa_exception_fp_ieee_overflow 0
		.amdhsa_exception_fp_ieee_underflow 0
		.amdhsa_exception_fp_ieee_inexact 0
		.amdhsa_exception_int_div_zero 0
	.end_amdhsa_kernel
	.section	.text._ZL25rocblas_trtri_trsm_kernelILi128ELi16ELi8E19rocblas_complex_numIfEPKS1_PS1_Ev13rocblas_fill_17rocblas_diagonal_T3_lilT4_lli,"axG",@progbits,_ZL25rocblas_trtri_trsm_kernelILi128ELi16ELi8E19rocblas_complex_numIfEPKS1_PS1_Ev13rocblas_fill_17rocblas_diagonal_T3_lilT4_lli,comdat
.Lfunc_end195:
	.size	_ZL25rocblas_trtri_trsm_kernelILi128ELi16ELi8E19rocblas_complex_numIfEPKS1_PS1_Ev13rocblas_fill_17rocblas_diagonal_T3_lilT4_lli, .Lfunc_end195-_ZL25rocblas_trtri_trsm_kernelILi128ELi16ELi8E19rocblas_complex_numIfEPKS1_PS1_Ev13rocblas_fill_17rocblas_diagonal_T3_lilT4_lli
                                        ; -- End function
	.set _ZL25rocblas_trtri_trsm_kernelILi128ELi16ELi8E19rocblas_complex_numIfEPKS1_PS1_Ev13rocblas_fill_17rocblas_diagonal_T3_lilT4_lli.num_vgpr, 32
	.set _ZL25rocblas_trtri_trsm_kernelILi128ELi16ELi8E19rocblas_complex_numIfEPKS1_PS1_Ev13rocblas_fill_17rocblas_diagonal_T3_lilT4_lli.num_agpr, 0
	.set _ZL25rocblas_trtri_trsm_kernelILi128ELi16ELi8E19rocblas_complex_numIfEPKS1_PS1_Ev13rocblas_fill_17rocblas_diagonal_T3_lilT4_lli.numbered_sgpr, 32
	.set _ZL25rocblas_trtri_trsm_kernelILi128ELi16ELi8E19rocblas_complex_numIfEPKS1_PS1_Ev13rocblas_fill_17rocblas_diagonal_T3_lilT4_lli.num_named_barrier, 0
	.set _ZL25rocblas_trtri_trsm_kernelILi128ELi16ELi8E19rocblas_complex_numIfEPKS1_PS1_Ev13rocblas_fill_17rocblas_diagonal_T3_lilT4_lli.private_seg_size, 0
	.set _ZL25rocblas_trtri_trsm_kernelILi128ELi16ELi8E19rocblas_complex_numIfEPKS1_PS1_Ev13rocblas_fill_17rocblas_diagonal_T3_lilT4_lli.uses_vcc, 1
	.set _ZL25rocblas_trtri_trsm_kernelILi128ELi16ELi8E19rocblas_complex_numIfEPKS1_PS1_Ev13rocblas_fill_17rocblas_diagonal_T3_lilT4_lli.uses_flat_scratch, 0
	.set _ZL25rocblas_trtri_trsm_kernelILi128ELi16ELi8E19rocblas_complex_numIfEPKS1_PS1_Ev13rocblas_fill_17rocblas_diagonal_T3_lilT4_lli.has_dyn_sized_stack, 0
	.set _ZL25rocblas_trtri_trsm_kernelILi128ELi16ELi8E19rocblas_complex_numIfEPKS1_PS1_Ev13rocblas_fill_17rocblas_diagonal_T3_lilT4_lli.has_recursion, 0
	.set _ZL25rocblas_trtri_trsm_kernelILi128ELi16ELi8E19rocblas_complex_numIfEPKS1_PS1_Ev13rocblas_fill_17rocblas_diagonal_T3_lilT4_lli.has_indirect_call, 0
	.section	.AMDGPU.csdata,"",@progbits
; Kernel info:
; codeLenInByte = 5484
; TotalNumSgprs: 36
; NumVgprs: 32
; ScratchSize: 0
; MemoryBound: 0
; FloatMode: 240
; IeeeMode: 1
; LDSByteSize: 8192 bytes/workgroup (compile time only)
; SGPRBlocks: 8
; VGPRBlocks: 7
; NumSGPRsForWavesPerEU: 65
; NumVGPRsForWavesPerEU: 32
; Occupancy: 8
; WaveLimiterHint : 0
; COMPUTE_PGM_RSRC2:SCRATCH_EN: 0
; COMPUTE_PGM_RSRC2:USER_SGPR: 6
; COMPUTE_PGM_RSRC2:TRAP_HANDLER: 0
; COMPUTE_PGM_RSRC2:TGID_X_EN: 1
; COMPUTE_PGM_RSRC2:TGID_Y_EN: 0
; COMPUTE_PGM_RSRC2:TGID_Z_EN: 1
; COMPUTE_PGM_RSRC2:TIDIG_COMP_CNT: 0
	.section	.text._ZL18rocblas_trtri_fillILi128E19rocblas_complex_numIfEPS1_EvP15_rocblas_handle13rocblas_fill_ililT1_llii,"axG",@progbits,_ZL18rocblas_trtri_fillILi128E19rocblas_complex_numIfEPS1_EvP15_rocblas_handle13rocblas_fill_ililT1_llii,comdat
	.globl	_ZL18rocblas_trtri_fillILi128E19rocblas_complex_numIfEPS1_EvP15_rocblas_handle13rocblas_fill_ililT1_llii ; -- Begin function _ZL18rocblas_trtri_fillILi128E19rocblas_complex_numIfEPS1_EvP15_rocblas_handle13rocblas_fill_ililT1_llii
	.p2align	8
	.type	_ZL18rocblas_trtri_fillILi128E19rocblas_complex_numIfEPS1_EvP15_rocblas_handle13rocblas_fill_ililT1_llii,@function
_ZL18rocblas_trtri_fillILi128E19rocblas_complex_numIfEPS1_EvP15_rocblas_handle13rocblas_fill_ililT1_llii: ; @_ZL18rocblas_trtri_fillILi128E19rocblas_complex_numIfEPS1_EvP15_rocblas_handle13rocblas_fill_ililT1_llii
; %bb.0:
	s_load_dword s1, s[4:5], 0x40
	s_load_dwordx2 s[2:3], s[4:5], 0x10
	s_mov_b32 s0, s6
	s_waitcnt lgkmcnt(0)
	s_ashr_i32 s6, s1, 31
	s_mul_hi_u32 s8, s2, s1
	s_mul_i32 s6, s2, s6
	s_add_i32 s6, s8, s6
	s_mul_i32 s8, s3, s1
	s_mul_i32 s16, s2, s1
	s_mov_b32 s1, 0
	s_lshl_b64 s[0:1], s[0:1], 7
	s_add_i32 s17, s6, s8
	v_or_b32_e32 v0, s0, v0
	v_mov_b32_e32 v1, s1
	v_cmp_gt_u64_e32 vcc, s[16:17], v[0:1]
	s_and_saveexec_b64 s[0:1], vcc
	s_cbranch_execz .LBB196_16
; %bb.1:
	s_load_dword s18, s[4:5], 0x18
	s_load_dwordx8 s[8:15], s[4:5], 0x20
	s_load_dwordx2 s[20:21], s[4:5], 0x8
	v_cvt_f32_u32_e32 v5, s2
	v_cvt_f32_u32_e32 v6, s3
	s_waitcnt lgkmcnt(0)
	s_ashr_i32 s19, s18, 31
	s_mul_i32 s0, s15, s7
	s_mul_hi_u32 s1, s14, s7
	v_mac_f32_e32 v5, 0x4f800000, v6
	s_add_i32 s1, s1, s0
	s_mul_i32 s0, s14, s7
	v_rcp_f32_e32 v5, v5
	s_lshl_b64 s[0:1], s[0:1], 3
	s_add_u32 s6, s10, s0
	s_addc_u32 s7, s11, s1
	s_lshl_b64 s[0:1], s[12:13], 3
	s_add_u32 s22, s6, s0
	v_mul_f32_e32 v5, 0x5f7ffffc, v5
	s_addc_u32 s23, s7, s1
	s_add_i32 s0, s21, -2
	s_load_dword s6, s[4:5], 0x48
	s_load_dword s7, s[4:5], 0x54
	v_mul_f32_e32 v6, 0x2f800000, v5
	v_cvt_f64_i32_e32 v[2:3], s0
	s_add_i32 s0, s21, -1
	v_trunc_f32_e32 v6, v6
	s_mul_hi_i32 s1, s0, s21
	s_mul_i32 s0, s0, s21
	v_mac_f32_e32 v5, 0xcf800000, v6
	s_ashr_i32 s24, s21, 31
	s_lshl_b64 s[4:5], s[0:1], 2
	v_cvt_u32_f32_e32 v12, v5
	v_cvt_u32_f32_e32 v13, v6
	s_mov_b32 s25, s21
	s_add_u32 s21, s4, -7
	s_addc_u32 s26, s5, -1
	s_lshr_b64 s[4:5], s[0:1], 1
	s_waitcnt lgkmcnt(0)
	s_and_b32 s0, s7, 0xffff
	s_mov_b32 s10, 0
	s_mov_b32 s12, 0
	s_mul_hi_u32 s27, s0, s6
	s_mul_i32 s28, s0, s6
	s_mov_b64 s[6:7], 0
	v_mov_b32_e32 v4, 0
	s_brev_b32 s11, 8
	v_mov_b32_e32 v11, 0x260
	s_movk_i32 s29, 0xffe0
	s_mov_b32 s13, 0xc1f00000
	v_mov_b32_e32 v14, 0x100
	v_mov_b32_e32 v15, 0xffffff80
	s_branch .LBB196_3
.LBB196_2:                              ;   in Loop: Header=BB196_3 Depth=1
	v_mov_b32_e32 v5, s27
	v_add_co_u32_e32 v0, vcc, s28, v0
	v_addc_co_u32_e32 v1, vcc, v1, v5, vcc
	v_cmp_le_u64_e32 vcc, s[16:17], v[0:1]
	s_or_b64 s[6:7], vcc, s[6:7]
	s_andn2_b64 exec, exec, s[6:7]
	s_cbranch_execz .LBB196_16
.LBB196_3:                              ; =>This Inner Loop Header: Depth=1
	v_or_b32_e32 v5, s3, v1
	v_cmp_ne_u64_e32 vcc, 0, v[4:5]
                                        ; implicit-def: $vgpr5_vgpr6
	s_and_saveexec_b64 s[0:1], vcc
	s_xor_b64 s[14:15], exec, s[0:1]
	s_cbranch_execz .LBB196_5
; %bb.4:                                ;   in Loop: Header=BB196_3 Depth=1
	s_sub_u32 s30, 0, s2
	v_readfirstlane_b32 s0, v12
	v_readfirstlane_b32 s34, v13
	s_subb_u32 s31, 0, s3
	s_mul_hi_u32 s33, s30, s0
	s_mul_i32 s35, s30, s34
	s_mul_i32 s1, s31, s0
	s_add_i32 s33, s33, s35
	s_add_i32 s33, s33, s1
	s_mul_i32 s36, s30, s0
	s_mul_i32 s35, s0, s33
	s_mul_hi_u32 s37, s0, s36
	s_mul_hi_u32 s1, s0, s33
	s_add_u32 s35, s37, s35
	s_addc_u32 s1, 0, s1
	s_mul_hi_u32 s38, s34, s36
	s_mul_i32 s36, s34, s36
	s_add_u32 s35, s35, s36
	s_mul_hi_u32 s37, s34, s33
	s_addc_u32 s1, s1, s38
	s_addc_u32 s35, s37, 0
	s_mul_i32 s33, s34, s33
	s_add_u32 s1, s1, s33
	s_addc_u32 s33, 0, s35
	s_add_u32 s35, s0, s1
	s_cselect_b64 s[0:1], -1, 0
	s_cmp_lg_u64 s[0:1], 0
	s_addc_u32 s33, s34, s33
	s_mul_i32 s0, s30, s33
	s_mul_hi_u32 s1, s30, s35
	s_add_i32 s0, s1, s0
	s_mul_i32 s31, s31, s35
	s_add_i32 s0, s0, s31
	s_mul_i32 s30, s30, s35
	s_mul_hi_u32 s31, s33, s30
	s_mul_i32 s34, s33, s30
	s_mul_i32 s37, s35, s0
	s_mul_hi_u32 s30, s35, s30
	s_mul_hi_u32 s36, s35, s0
	s_add_u32 s30, s30, s37
	s_addc_u32 s36, 0, s36
	s_add_u32 s30, s30, s34
	s_mul_hi_u32 s1, s33, s0
	s_addc_u32 s30, s36, s31
	s_addc_u32 s1, s1, 0
	s_mul_i32 s0, s33, s0
	s_add_u32 s0, s30, s0
	s_addc_u32 s30, 0, s1
	s_add_u32 s31, s35, s0
	s_cselect_b64 s[0:1], -1, 0
	s_cmp_lg_u64 s[0:1], 0
	s_addc_u32 s30, s33, s30
	v_mad_u64_u32 v[5:6], s[0:1], v0, s30, 0
	v_mul_hi_u32 v7, v0, s31
	v_add_co_u32_e32 v9, vcc, v7, v5
	v_addc_co_u32_e32 v10, vcc, 0, v6, vcc
	v_mad_u64_u32 v[5:6], s[0:1], v1, s31, 0
	v_mad_u64_u32 v[7:8], s[0:1], v1, s30, 0
	v_add_co_u32_e32 v5, vcc, v9, v5
	v_addc_co_u32_e32 v5, vcc, v10, v6, vcc
	v_addc_co_u32_e32 v6, vcc, 0, v8, vcc
	v_add_co_u32_e32 v7, vcc, v5, v7
	v_addc_co_u32_e32 v8, vcc, 0, v6, vcc
	v_mul_lo_u32 v9, s3, v7
	v_mul_lo_u32 v10, s2, v8
	v_mad_u64_u32 v[5:6], s[0:1], s2, v7, 0
	v_add3_u32 v6, v6, v10, v9
	v_sub_u32_e32 v9, v1, v6
	v_mov_b32_e32 v10, s3
	v_sub_co_u32_e32 v5, vcc, v0, v5
	v_subb_co_u32_e64 v9, s[0:1], v9, v10, vcc
	v_subrev_co_u32_e64 v10, s[0:1], s2, v5
	v_subbrev_co_u32_e64 v9, s[0:1], 0, v9, s[0:1]
	v_cmp_le_u32_e64 s[0:1], s3, v9
	v_cndmask_b32_e64 v16, 0, -1, s[0:1]
	v_cmp_le_u32_e64 s[0:1], s2, v10
	v_cndmask_b32_e64 v10, 0, -1, s[0:1]
	v_cmp_eq_u32_e64 s[0:1], s3, v9
	v_cndmask_b32_e64 v9, v16, v10, s[0:1]
	v_add_co_u32_e64 v10, s[0:1], 2, v7
	v_addc_co_u32_e64 v16, s[0:1], 0, v8, s[0:1]
	v_add_co_u32_e64 v17, s[0:1], 1, v7
	v_addc_co_u32_e64 v18, s[0:1], 0, v8, s[0:1]
	v_subb_co_u32_e32 v6, vcc, v1, v6, vcc
	v_cmp_ne_u32_e64 s[0:1], 0, v9
	v_cmp_le_u32_e32 vcc, s3, v6
	v_cndmask_b32_e64 v9, v18, v16, s[0:1]
	v_cndmask_b32_e64 v16, 0, -1, vcc
	v_cmp_le_u32_e32 vcc, s2, v5
	v_cndmask_b32_e64 v5, 0, -1, vcc
	v_cmp_eq_u32_e32 vcc, s3, v6
	v_cndmask_b32_e32 v5, v16, v5, vcc
	v_cmp_ne_u32_e32 vcc, 0, v5
	v_cndmask_b32_e64 v5, v17, v10, s[0:1]
	v_cndmask_b32_e32 v6, v8, v9, vcc
	v_cndmask_b32_e32 v5, v7, v5, vcc
.LBB196_5:                              ;   in Loop: Header=BB196_3 Depth=1
	s_andn2_saveexec_b64 s[0:1], s[14:15]
	s_cbranch_execz .LBB196_7
; %bb.6:                                ;   in Loop: Header=BB196_3 Depth=1
	v_cvt_f32_u32_e32 v5, s2
	s_sub_i32 s14, 0, s2
	v_rcp_iflag_f32_e32 v5, v5
	v_mul_f32_e32 v5, 0x4f7ffffe, v5
	v_cvt_u32_f32_e32 v5, v5
	v_mul_lo_u32 v6, s14, v5
	v_mul_hi_u32 v6, v5, v6
	v_add_u32_e32 v5, v5, v6
	v_mul_hi_u32 v5, v0, v5
	v_mul_lo_u32 v6, v5, s2
	v_add_u32_e32 v7, 1, v5
	v_sub_u32_e32 v6, v0, v6
	v_subrev_u32_e32 v8, s2, v6
	v_cmp_le_u32_e32 vcc, s2, v6
	v_cndmask_b32_e32 v6, v6, v8, vcc
	v_cndmask_b32_e32 v5, v5, v7, vcc
	v_add_u32_e32 v7, 1, v5
	v_cmp_le_u32_e32 vcc, s2, v6
	v_cndmask_b32_e32 v5, v5, v7, vcc
	v_mov_b32_e32 v6, v4
.LBB196_7:                              ;   in Loop: Header=BB196_3 Depth=1
	s_or_b64 exec, exec, s[0:1]
	v_mul_lo_u32 v9, v6, s2
	v_mul_lo_u32 v10, v5, s3
	v_mad_u64_u32 v[7:8], s[0:1], v5, s2, 0
	s_cmpk_lt_i32 s20, 0x7a
	v_add3_u32 v8, v8, v10, v9
	v_sub_co_u32_e32 v7, vcc, v0, v7
	v_subb_co_u32_e32 v8, vcc, v1, v8, vcc
	s_cbranch_scc1 .LBB196_10
; %bb.8:                                ;   in Loop: Header=BB196_3 Depth=1
	s_mov_b64 s[0:1], 0
	s_cmpk_eq_i32 s20, 0x7a
	s_mov_b64 s[14:15], 0
                                        ; implicit-def: $vgpr9_vgpr10
	s_cbranch_scc0 .LBB196_11
; %bb.9:                                ;   in Loop: Header=BB196_3 Depth=1
	v_lshlrev_b64 v[9:10], 3, v[7:8]
	v_mov_b32_e32 v16, s26
	v_sub_co_u32_e32 v17, vcc, s21, v9
	v_subb_co_u32_e32 v9, vcc, v16, v10, vcc
	v_cvt_f64_u32_e32 v[9:10], v9
	v_cvt_f64_u32_e32 v[16:17], v17
	v_mul_lo_u32 v22, v6, s8
	v_mul_lo_u32 v23, v5, s9
	v_ldexp_f64 v[9:10], v[9:10], 32
	v_mov_b32_e32 v24, s23
	v_mov_b32_e32 v25, s24
	v_add_f64 v[9:10], v[9:10], v[16:17]
	v_cmp_gt_f64_e32 vcc, s[10:11], v[9:10]
	v_cndmask_b32_e32 v16, 0, v14, vcc
	v_ldexp_f64 v[9:10], v[9:10], v16
	v_rsq_f64_e32 v[16:17], v[9:10]
	v_mul_f64 v[18:19], v[9:10], v[16:17]
	v_mul_f64 v[16:17], v[16:17], 0.5
	v_fma_f64 v[20:21], -v[16:17], v[18:19], 0.5
	v_fma_f64 v[18:19], v[18:19], v[20:21], v[18:19]
	v_fma_f64 v[16:17], v[16:17], v[20:21], v[16:17]
	v_fma_f64 v[20:21], -v[18:19], v[18:19], v[9:10]
	v_fma_f64 v[18:19], v[20:21], v[16:17], v[18:19]
	v_fma_f64 v[20:21], -v[18:19], v[18:19], v[9:10]
	v_fma_f64 v[16:17], v[20:21], v[16:17], v[18:19]
	v_cndmask_b32_e32 v18, 0, v15, vcc
	v_cmp_class_f64_e32 vcc, v[9:10], v11
	v_mov_b32_e32 v21, s5
	v_ldexp_f64 v[16:17], v[16:17], v18
	v_mad_u64_u32 v[18:19], s[14:15], v5, s8, 0
	v_add3_u32 v19, v19, v23, v22
	v_lshlrev_b64 v[18:19], 3, v[18:19]
	v_cndmask_b32_e32 v10, v17, v10, vcc
	v_cndmask_b32_e32 v9, v16, v9, vcc
	v_fma_f64 v[9:10], v[9:10], 0.5, -0.5
	v_subrev_co_u32_e32 v20, vcc, s4, v7
	v_subb_co_u32_e32 v21, vcc, v8, v21, vcc
	v_add_co_u32_e32 v22, vcc, s22, v18
	v_addc_co_u32_e32 v23, vcc, v24, v19, vcc
	v_floor_f64_e32 v[9:10], v[9:10]
	v_lshlrev_b64 v[20:21], 3, v[20:21]
	v_add_f64 v[9:10], v[2:3], -v[9:10]
	v_trunc_f64_e32 v[9:10], v[9:10]
	v_ldexp_f64 v[16:17], v[9:10], s29
	v_floor_f64_e32 v[16:17], v[16:17]
	v_fma_f64 v[9:10], v[16:17], s[12:13], v[9:10]
	v_cvt_u32_f64_e32 v17, v[16:17]
	v_mul_lo_u32 v18, v17, s18
	v_cvt_u32_f64_e32 v16, v[9:10]
	v_mul_lo_u32 v19, v16, s19
	v_mad_u64_u32 v[9:10], s[14:15], v16, s18, 0
	v_sub_co_u32_e32 v24, vcc, s25, v16
	v_subb_co_u32_e32 v25, vcc, v25, v17, vcc
	v_add3_u32 v10, v10, v19, v18
	v_add_co_u32_e32 v18, vcc, -1, v24
	v_addc_co_u32_e32 v19, vcc, -1, v25, vcc
	v_mul_lo_u32 v25, v18, v25
	v_mul_lo_u32 v26, v19, v24
	v_mad_u64_u32 v[18:19], s[14:15], v18, v24, 0
	v_lshlrev_b64 v[9:10], 3, v[9:10]
	v_lshlrev_b64 v[16:17], 3, v[16:17]
	v_add_co_u32_e32 v22, vcc, v22, v9
	v_add3_u32 v19, v19, v25, v26
	v_addc_co_u32_e32 v23, vcc, v23, v10, vcc
	v_lshlrev_b64 v[9:10], 2, v[18:19]
	v_add_co_u32_e32 v18, vcc, v22, v20
	v_addc_co_u32_e32 v19, vcc, v23, v21, vcc
	v_add_co_u32_e32 v16, vcc, v18, v16
	v_addc_co_u32_e32 v17, vcc, v19, v17, vcc
	v_and_b32_e32 v9, -8, v9
	v_add_co_u32_e32 v16, vcc, v16, v9
	v_addc_co_u32_e32 v17, vcc, v17, v10, vcc
	v_add_co_u32_e32 v9, vcc, 8, v16
	v_addc_co_u32_e32 v10, vcc, 0, v17, vcc
	global_store_dword v[16:17], v4, off offset:8
	s_mov_b64 s[14:15], -1
	s_branch .LBB196_11
.LBB196_10:                             ;   in Loop: Header=BB196_3 Depth=1
	s_mov_b64 s[0:1], -1
	s_mov_b64 s[14:15], 0
                                        ; implicit-def: $vgpr9_vgpr10
.LBB196_11:                             ;   in Loop: Header=BB196_3 Depth=1
	s_and_b64 vcc, exec, s[0:1]
	s_cbranch_vccz .LBB196_14
; %bb.12:                               ;   in Loop: Header=BB196_3 Depth=1
	s_cmpk_eq_i32 s20, 0x79
                                        ; implicit-def: $vgpr9_vgpr10
	s_cbranch_scc0 .LBB196_14
; %bb.13:                               ;   in Loop: Header=BB196_3 Depth=1
	v_lshlrev_b64 v[9:10], 3, v[7:8]
	v_mov_b32_e32 v22, s23
	v_cvt_f64_u32_e32 v[16:17], v10
	v_or_b32_e32 v9, 1, v9
	v_cvt_f64_u32_e32 v[9:10], v9
	s_mov_b64 s[14:15], -1
	v_ldexp_f64 v[16:17], v[16:17], 32
	v_add_f64 v[9:10], v[16:17], v[9:10]
	v_cmp_gt_f64_e32 vcc, s[10:11], v[9:10]
	v_cndmask_b32_e32 v16, 0, v14, vcc
	v_ldexp_f64 v[9:10], v[9:10], v16
	v_rsq_f64_e32 v[16:17], v[9:10]
	v_mul_f64 v[18:19], v[9:10], v[16:17]
	v_mul_f64 v[16:17], v[16:17], 0.5
	v_fma_f64 v[20:21], -v[16:17], v[18:19], 0.5
	v_fma_f64 v[18:19], v[18:19], v[20:21], v[18:19]
	v_fma_f64 v[16:17], v[16:17], v[20:21], v[16:17]
	v_fma_f64 v[20:21], -v[18:19], v[18:19], v[9:10]
	v_fma_f64 v[18:19], v[20:21], v[16:17], v[18:19]
	v_fma_f64 v[20:21], -v[18:19], v[18:19], v[9:10]
	v_fma_f64 v[16:17], v[20:21], v[16:17], v[18:19]
	v_cndmask_b32_e32 v18, 0, v15, vcc
	v_cmp_class_f64_e32 vcc, v[9:10], v11
	v_mul_lo_u32 v20, v6, s8
	v_mul_lo_u32 v21, v5, s9
	v_mad_u64_u32 v[5:6], s[0:1], v5, s8, 0
	v_ldexp_f64 v[16:17], v[16:17], v18
	v_mov_b32_e32 v18, s18
	v_add3_u32 v6, v6, v21, v20
	v_mov_b32_e32 v19, s19
	v_lshlrev_b64 v[5:6], 3, v[5:6]
	v_cndmask_b32_e32 v10, v17, v10, vcc
	v_cndmask_b32_e32 v9, v16, v9, vcc
	v_add_f64 v[9:10], v[9:10], -1.0
	v_mul_f64 v[9:10], v[9:10], 0.5
	v_trunc_f64_e32 v[9:10], v[9:10]
	v_ldexp_f64 v[16:17], v[9:10], s29
	v_floor_f64_e32 v[16:17], v[16:17]
	v_fma_f64 v[9:10], v[16:17], s[12:13], v[9:10]
	v_cvt_u32_f64_e32 v17, v[16:17]
	v_mul_lo_u32 v20, s18, v17
	v_cvt_u32_f64_e32 v16, v[9:10]
	v_mad_u64_u32 v[9:10], s[0:1], v16, v16, v[16:17]
	v_mul_lo_u32 v21, v16, v17
	v_mad_u64_u32 v[17:18], s[0:1], s18, v16, v[18:19]
	v_mul_lo_u32 v16, s19, v16
	v_add_co_u32_e32 v19, vcc, s22, v5
	v_add3_u32 v10, v21, v10, v21
	v_addc_co_u32_e32 v22, vcc, v22, v6, vcc
	v_lshrrev_b64 v[5:6], 1, v[9:10]
	v_add3_u32 v18, v16, v18, v20
	v_lshlrev_b64 v[9:10], 3, v[17:18]
	v_sub_co_u32_e32 v5, vcc, v7, v5
	v_subb_co_u32_e32 v6, vcc, v8, v6, vcc
	v_add_co_u32_e32 v7, vcc, v19, v9
	v_lshlrev_b64 v[5:6], 3, v[5:6]
	v_addc_co_u32_e32 v8, vcc, v22, v10, vcc
	v_add_co_u32_e32 v9, vcc, v7, v5
	v_addc_co_u32_e32 v10, vcc, v8, v6, vcc
	global_store_dword v[9:10], v4, off
.LBB196_14:                             ;   in Loop: Header=BB196_3 Depth=1
	s_and_b64 vcc, exec, s[14:15]
	s_cbranch_vccz .LBB196_2
; %bb.15:                               ;   in Loop: Header=BB196_3 Depth=1
	global_store_dword v[9:10], v4, off offset:4
	s_branch .LBB196_2
.LBB196_16:
	s_endpgm
	.section	.rodata,"a",@progbits
	.p2align	6, 0x0
	.amdhsa_kernel _ZL18rocblas_trtri_fillILi128E19rocblas_complex_numIfEPS1_EvP15_rocblas_handle13rocblas_fill_ililT1_llii
		.amdhsa_group_segment_fixed_size 0
		.amdhsa_private_segment_fixed_size 0
		.amdhsa_kernarg_size 328
		.amdhsa_user_sgpr_count 6
		.amdhsa_user_sgpr_private_segment_buffer 1
		.amdhsa_user_sgpr_dispatch_ptr 0
		.amdhsa_user_sgpr_queue_ptr 0
		.amdhsa_user_sgpr_kernarg_segment_ptr 1
		.amdhsa_user_sgpr_dispatch_id 0
		.amdhsa_user_sgpr_flat_scratch_init 0
		.amdhsa_user_sgpr_private_segment_size 0
		.amdhsa_uses_dynamic_stack 0
		.amdhsa_system_sgpr_private_segment_wavefront_offset 0
		.amdhsa_system_sgpr_workgroup_id_x 1
		.amdhsa_system_sgpr_workgroup_id_y 0
		.amdhsa_system_sgpr_workgroup_id_z 1
		.amdhsa_system_sgpr_workgroup_info 0
		.amdhsa_system_vgpr_workitem_id 0
		.amdhsa_next_free_vgpr 27
		.amdhsa_next_free_sgpr 39
		.amdhsa_reserve_vcc 1
		.amdhsa_reserve_flat_scratch 0
		.amdhsa_float_round_mode_32 0
		.amdhsa_float_round_mode_16_64 0
		.amdhsa_float_denorm_mode_32 3
		.amdhsa_float_denorm_mode_16_64 3
		.amdhsa_dx10_clamp 1
		.amdhsa_ieee_mode 1
		.amdhsa_fp16_overflow 0
		.amdhsa_exception_fp_ieee_invalid_op 0
		.amdhsa_exception_fp_denorm_src 0
		.amdhsa_exception_fp_ieee_div_zero 0
		.amdhsa_exception_fp_ieee_overflow 0
		.amdhsa_exception_fp_ieee_underflow 0
		.amdhsa_exception_fp_ieee_inexact 0
		.amdhsa_exception_int_div_zero 0
	.end_amdhsa_kernel
	.section	.text._ZL18rocblas_trtri_fillILi128E19rocblas_complex_numIfEPS1_EvP15_rocblas_handle13rocblas_fill_ililT1_llii,"axG",@progbits,_ZL18rocblas_trtri_fillILi128E19rocblas_complex_numIfEPS1_EvP15_rocblas_handle13rocblas_fill_ililT1_llii,comdat
.Lfunc_end196:
	.size	_ZL18rocblas_trtri_fillILi128E19rocblas_complex_numIfEPS1_EvP15_rocblas_handle13rocblas_fill_ililT1_llii, .Lfunc_end196-_ZL18rocblas_trtri_fillILi128E19rocblas_complex_numIfEPS1_EvP15_rocblas_handle13rocblas_fill_ililT1_llii
                                        ; -- End function
	.set _ZL18rocblas_trtri_fillILi128E19rocblas_complex_numIfEPS1_EvP15_rocblas_handle13rocblas_fill_ililT1_llii.num_vgpr, 27
	.set _ZL18rocblas_trtri_fillILi128E19rocblas_complex_numIfEPS1_EvP15_rocblas_handle13rocblas_fill_ililT1_llii.num_agpr, 0
	.set _ZL18rocblas_trtri_fillILi128E19rocblas_complex_numIfEPS1_EvP15_rocblas_handle13rocblas_fill_ililT1_llii.numbered_sgpr, 39
	.set _ZL18rocblas_trtri_fillILi128E19rocblas_complex_numIfEPS1_EvP15_rocblas_handle13rocblas_fill_ililT1_llii.num_named_barrier, 0
	.set _ZL18rocblas_trtri_fillILi128E19rocblas_complex_numIfEPS1_EvP15_rocblas_handle13rocblas_fill_ililT1_llii.private_seg_size, 0
	.set _ZL18rocblas_trtri_fillILi128E19rocblas_complex_numIfEPS1_EvP15_rocblas_handle13rocblas_fill_ililT1_llii.uses_vcc, 1
	.set _ZL18rocblas_trtri_fillILi128E19rocblas_complex_numIfEPS1_EvP15_rocblas_handle13rocblas_fill_ililT1_llii.uses_flat_scratch, 0
	.set _ZL18rocblas_trtri_fillILi128E19rocblas_complex_numIfEPS1_EvP15_rocblas_handle13rocblas_fill_ililT1_llii.has_dyn_sized_stack, 0
	.set _ZL18rocblas_trtri_fillILi128E19rocblas_complex_numIfEPS1_EvP15_rocblas_handle13rocblas_fill_ililT1_llii.has_recursion, 0
	.set _ZL18rocblas_trtri_fillILi128E19rocblas_complex_numIfEPS1_EvP15_rocblas_handle13rocblas_fill_ililT1_llii.has_indirect_call, 0
	.section	.AMDGPU.csdata,"",@progbits
; Kernel info:
; codeLenInByte = 1936
; TotalNumSgprs: 43
; NumVgprs: 27
; ScratchSize: 0
; MemoryBound: 0
; FloatMode: 240
; IeeeMode: 1
; LDSByteSize: 0 bytes/workgroup (compile time only)
; SGPRBlocks: 5
; VGPRBlocks: 6
; NumSGPRsForWavesPerEU: 43
; NumVGPRsForWavesPerEU: 27
; Occupancy: 9
; WaveLimiterHint : 0
; COMPUTE_PGM_RSRC2:SCRATCH_EN: 0
; COMPUTE_PGM_RSRC2:USER_SGPR: 6
; COMPUTE_PGM_RSRC2:TRAP_HANDLER: 0
; COMPUTE_PGM_RSRC2:TGID_X_EN: 1
; COMPUTE_PGM_RSRC2:TGID_Y_EN: 0
; COMPUTE_PGM_RSRC2:TGID_Z_EN: 1
; COMPUTE_PGM_RSRC2:TIDIG_COMP_CNT: 0
	.section	.text._ZL24rocblas_copy_matrix_trsmILi128ELi8E19rocblas_complex_numIfEPKS1_PS1_EviiiT2_ilT3_illli,"axG",@progbits,_ZL24rocblas_copy_matrix_trsmILi128ELi8E19rocblas_complex_numIfEPKS1_PS1_EviiiT2_ilT3_illli,comdat
	.globl	_ZL24rocblas_copy_matrix_trsmILi128ELi8E19rocblas_complex_numIfEPKS1_PS1_EviiiT2_ilT3_illli ; -- Begin function _ZL24rocblas_copy_matrix_trsmILi128ELi8E19rocblas_complex_numIfEPKS1_PS1_EviiiT2_ilT3_illli
	.p2align	8
	.type	_ZL24rocblas_copy_matrix_trsmILi128ELi8E19rocblas_complex_numIfEPKS1_PS1_EviiiT2_ilT3_illli,@function
_ZL24rocblas_copy_matrix_trsmILi128ELi8E19rocblas_complex_numIfEPKS1_PS1_EviiiT2_ilT3_illli: ; @_ZL24rocblas_copy_matrix_trsmILi128ELi8E19rocblas_complex_numIfEPKS1_PS1_EviiiT2_ilT3_illli
; %bb.0:
	s_load_dwordx2 s[0:1], s[4:5], 0x0
	v_mov_b32_e32 v3, 0
	v_lshl_add_u32 v2, s6, 7, v0
	v_lshl_add_u32 v0, s7, 3, v1
	v_mov_b32_e32 v1, v3
	s_waitcnt lgkmcnt(0)
	s_ashr_i32 s7, s1, 31
	s_mov_b32 s6, s1
	s_ashr_i32 s1, s0, 31
	v_cmp_gt_u64_e32 vcc, s[0:1], v[2:3]
	v_cmp_gt_u64_e64 s[0:1], s[6:7], v[0:1]
	s_and_b64 s[0:1], vcc, s[0:1]
	s_and_saveexec_b64 s[2:3], s[0:1]
	s_cbranch_execz .LBB197_3
; %bb.1:
	s_load_dwordx2 s[10:11], s[4:5], 0x10
	s_load_dword s18, s[4:5], 0x18
	s_load_dwordx4 s[12:15], s[4:5], 0x20
	s_load_dword s19, s[4:5], 0x30
	s_load_dwordx4 s[0:3], s[4:5], 0x38
	s_load_dwordx2 s[16:17], s[4:5], 0x48
	s_load_dword s9, s[4:5], 0x5c
	s_waitcnt lgkmcnt(0)
	s_ashr_i32 s20, s18, 31
	v_mad_u64_u32 v[4:5], s[4:5], s19, v0, 0
	s_ashr_i32 s21, s19, 31
	s_mul_i32 s1, s1, s8
	v_mad_u64_u32 v[5:6], s[4:5], s21, v0, v[5:6]
	s_mul_hi_u32 s22, s0, s8
	s_add_i32 s1, s22, s1
	s_mul_i32 s0, s0, s8
	s_lshl_b32 s9, s9, 3
	s_lshl_b64 s[0:1], s[0:1], 3
	s_lshl_b64 s[4:5], s[16:17], 3
	v_lshlrev_b64 v[4:5], 3, v[4:5]
	s_add_u32 s0, s4, s0
	s_addc_u32 s1, s5, s1
	v_mov_b32_e32 v6, s1
	v_add_co_u32_e32 v7, vcc, s0, v4
	v_addc_co_u32_e32 v6, vcc, v6, v5, vcc
	v_lshlrev_b64 v[4:5], 3, v[2:3]
	s_mul_i32 s21, s21, s9
	v_add_co_u32_e32 v2, vcc, v7, v4
	v_addc_co_u32_e32 v3, vcc, v6, v5, vcc
	v_mov_b32_e32 v6, s15
	v_add_co_u32_e32 v2, vcc, s14, v2
	v_addc_co_u32_e32 v3, vcc, v6, v3, vcc
	v_mad_u64_u32 v[6:7], s[4:5], s18, v0, 0
	s_mul_hi_u32 s0, s19, s9
	s_mul_i32 s13, s13, s8
	v_mad_u64_u32 v[7:8], s[4:5], s20, v0, v[7:8]
	s_mul_hi_u32 s14, s12, s8
	s_add_i32 s1, s0, s21
	s_mul_i32 s0, s19, s9
	s_add_i32 s5, s14, s13
	s_mul_i32 s4, s12, s8
	s_lshl_b64 s[0:1], s[0:1], 3
	s_lshl_b64 s[4:5], s[4:5], 3
	;; [unrolled: 1-line block ×3, first 2 shown]
	v_lshlrev_b64 v[6:7], 3, v[6:7]
	s_add_u32 s2, s2, s4
	s_addc_u32 s3, s3, s5
	v_mov_b32_e32 v8, s3
	v_add_co_u32_e32 v6, vcc, s2, v6
	v_addc_co_u32_e32 v7, vcc, v8, v7, vcc
	v_add_co_u32_e32 v4, vcc, v6, v4
	s_mul_i32 s20, s20, s9
	s_mul_hi_u32 s2, s18, s9
	v_addc_co_u32_e32 v5, vcc, v7, v5, vcc
	s_add_i32 s3, s2, s20
	s_mul_i32 s2, s18, s9
	v_mov_b32_e32 v6, s11
	v_add_co_u32_e32 v4, vcc, s10, v4
	s_lshl_b64 s[2:3], s[2:3], 3
	v_addc_co_u32_e32 v5, vcc, v6, v5, vcc
	s_mov_b64 s[4:5], 0
	v_mov_b32_e32 v6, s1
	v_mov_b32_e32 v7, s3
.LBB197_2:                              ; =>This Inner Loop Header: Depth=1
	global_load_dwordx2 v[8:9], v[4:5], off
	v_add_co_u32_e32 v0, vcc, s9, v0
	v_addc_co_u32_e32 v1, vcc, 0, v1, vcc
	v_add_co_u32_e32 v4, vcc, s2, v4
	v_addc_co_u32_e32 v5, vcc, v5, v7, vcc
	v_cmp_le_u64_e32 vcc, s[6:7], v[0:1]
	s_or_b64 s[4:5], vcc, s[4:5]
	s_waitcnt vmcnt(0)
	global_store_dwordx2 v[2:3], v[8:9], off
	v_add_co_u32_e32 v2, vcc, s0, v2
	v_addc_co_u32_e32 v3, vcc, v3, v6, vcc
	s_andn2_b64 exec, exec, s[4:5]
	s_cbranch_execnz .LBB197_2
.LBB197_3:
	s_endpgm
	.section	.rodata,"a",@progbits
	.p2align	6, 0x0
	.amdhsa_kernel _ZL24rocblas_copy_matrix_trsmILi128ELi8E19rocblas_complex_numIfEPKS1_PS1_EviiiT2_ilT3_illli
		.amdhsa_group_segment_fixed_size 0
		.amdhsa_private_segment_fixed_size 0
		.amdhsa_kernarg_size 344
		.amdhsa_user_sgpr_count 6
		.amdhsa_user_sgpr_private_segment_buffer 1
		.amdhsa_user_sgpr_dispatch_ptr 0
		.amdhsa_user_sgpr_queue_ptr 0
		.amdhsa_user_sgpr_kernarg_segment_ptr 1
		.amdhsa_user_sgpr_dispatch_id 0
		.amdhsa_user_sgpr_flat_scratch_init 0
		.amdhsa_user_sgpr_private_segment_size 0
		.amdhsa_uses_dynamic_stack 0
		.amdhsa_system_sgpr_private_segment_wavefront_offset 0
		.amdhsa_system_sgpr_workgroup_id_x 1
		.amdhsa_system_sgpr_workgroup_id_y 1
		.amdhsa_system_sgpr_workgroup_id_z 1
		.amdhsa_system_sgpr_workgroup_info 0
		.amdhsa_system_vgpr_workitem_id 1
		.amdhsa_next_free_vgpr 10
		.amdhsa_next_free_sgpr 23
		.amdhsa_reserve_vcc 1
		.amdhsa_reserve_flat_scratch 0
		.amdhsa_float_round_mode_32 0
		.amdhsa_float_round_mode_16_64 0
		.amdhsa_float_denorm_mode_32 3
		.amdhsa_float_denorm_mode_16_64 3
		.amdhsa_dx10_clamp 1
		.amdhsa_ieee_mode 1
		.amdhsa_fp16_overflow 0
		.amdhsa_exception_fp_ieee_invalid_op 0
		.amdhsa_exception_fp_denorm_src 0
		.amdhsa_exception_fp_ieee_div_zero 0
		.amdhsa_exception_fp_ieee_overflow 0
		.amdhsa_exception_fp_ieee_underflow 0
		.amdhsa_exception_fp_ieee_inexact 0
		.amdhsa_exception_int_div_zero 0
	.end_amdhsa_kernel
	.section	.text._ZL24rocblas_copy_matrix_trsmILi128ELi8E19rocblas_complex_numIfEPKS1_PS1_EviiiT2_ilT3_illli,"axG",@progbits,_ZL24rocblas_copy_matrix_trsmILi128ELi8E19rocblas_complex_numIfEPKS1_PS1_EviiiT2_ilT3_illli,comdat
.Lfunc_end197:
	.size	_ZL24rocblas_copy_matrix_trsmILi128ELi8E19rocblas_complex_numIfEPKS1_PS1_EviiiT2_ilT3_illli, .Lfunc_end197-_ZL24rocblas_copy_matrix_trsmILi128ELi8E19rocblas_complex_numIfEPKS1_PS1_EviiiT2_ilT3_illli
                                        ; -- End function
	.set _ZL24rocblas_copy_matrix_trsmILi128ELi8E19rocblas_complex_numIfEPKS1_PS1_EviiiT2_ilT3_illli.num_vgpr, 10
	.set _ZL24rocblas_copy_matrix_trsmILi128ELi8E19rocblas_complex_numIfEPKS1_PS1_EviiiT2_ilT3_illli.num_agpr, 0
	.set _ZL24rocblas_copy_matrix_trsmILi128ELi8E19rocblas_complex_numIfEPKS1_PS1_EviiiT2_ilT3_illli.numbered_sgpr, 23
	.set _ZL24rocblas_copy_matrix_trsmILi128ELi8E19rocblas_complex_numIfEPKS1_PS1_EviiiT2_ilT3_illli.num_named_barrier, 0
	.set _ZL24rocblas_copy_matrix_trsmILi128ELi8E19rocblas_complex_numIfEPKS1_PS1_EviiiT2_ilT3_illli.private_seg_size, 0
	.set _ZL24rocblas_copy_matrix_trsmILi128ELi8E19rocblas_complex_numIfEPKS1_PS1_EviiiT2_ilT3_illli.uses_vcc, 1
	.set _ZL24rocblas_copy_matrix_trsmILi128ELi8E19rocblas_complex_numIfEPKS1_PS1_EviiiT2_ilT3_illli.uses_flat_scratch, 0
	.set _ZL24rocblas_copy_matrix_trsmILi128ELi8E19rocblas_complex_numIfEPKS1_PS1_EviiiT2_ilT3_illli.has_dyn_sized_stack, 0
	.set _ZL24rocblas_copy_matrix_trsmILi128ELi8E19rocblas_complex_numIfEPKS1_PS1_EviiiT2_ilT3_illli.has_recursion, 0
	.set _ZL24rocblas_copy_matrix_trsmILi128ELi8E19rocblas_complex_numIfEPKS1_PS1_EviiiT2_ilT3_illli.has_indirect_call, 0
	.section	.AMDGPU.csdata,"",@progbits
; Kernel info:
; codeLenInByte = 444
; TotalNumSgprs: 27
; NumVgprs: 10
; ScratchSize: 0
; MemoryBound: 0
; FloatMode: 240
; IeeeMode: 1
; LDSByteSize: 0 bytes/workgroup (compile time only)
; SGPRBlocks: 3
; VGPRBlocks: 2
; NumSGPRsForWavesPerEU: 27
; NumVGPRsForWavesPerEU: 10
; Occupancy: 10
; WaveLimiterHint : 0
; COMPUTE_PGM_RSRC2:SCRATCH_EN: 0
; COMPUTE_PGM_RSRC2:USER_SGPR: 6
; COMPUTE_PGM_RSRC2:TRAP_HANDLER: 0
; COMPUTE_PGM_RSRC2:TGID_X_EN: 1
; COMPUTE_PGM_RSRC2:TGID_Y_EN: 1
; COMPUTE_PGM_RSRC2:TGID_Z_EN: 1
; COMPUTE_PGM_RSRC2:TIDIG_COMP_CNT: 1
	.section	.text._ZL23rocblas_set_matrix_trsmILi128ELi8E19rocblas_complex_numIdEPS1_EvlliT2_llT1_li,"axG",@progbits,_ZL23rocblas_set_matrix_trsmILi128ELi8E19rocblas_complex_numIdEPS1_EvlliT2_llT1_li,comdat
	.globl	_ZL23rocblas_set_matrix_trsmILi128ELi8E19rocblas_complex_numIdEPS1_EvlliT2_llT1_li ; -- Begin function _ZL23rocblas_set_matrix_trsmILi128ELi8E19rocblas_complex_numIdEPS1_EvlliT2_llT1_li
	.p2align	8
	.type	_ZL23rocblas_set_matrix_trsmILi128ELi8E19rocblas_complex_numIdEPS1_EvlliT2_llT1_li,@function
_ZL23rocblas_set_matrix_trsmILi128ELi8E19rocblas_complex_numIdEPS1_EvlliT2_llT1_li: ; @_ZL23rocblas_set_matrix_trsmILi128ELi8E19rocblas_complex_numIdEPS1_EvlliT2_llT1_li
; %bb.0:
	s_load_dwordx4 s[0:3], s[4:5], 0x0
	v_mov_b32_e32 v3, 0
	v_lshl_add_u32 v2, s6, 7, v0
	v_lshl_add_u32 v0, s7, 3, v1
	v_mov_b32_e32 v1, v3
	s_waitcnt lgkmcnt(0)
	v_cmp_gt_u64_e32 vcc, s[0:1], v[2:3]
	v_cmp_gt_u64_e64 s[0:1], s[2:3], v[0:1]
	s_and_b64 s[0:1], vcc, s[0:1]
	s_and_saveexec_b64 s[2:3], s[0:1]
	s_cbranch_execz .LBB198_2
; %bb.1:
	s_load_dwordx2 s[6:7], s[4:5], 0x28
	s_load_dwordx4 s[0:3], s[4:5], 0x18
	s_load_dwordx2 s[10:11], s[4:5], 0x40
	s_waitcnt lgkmcnt(0)
	s_mul_i32 s5, s7, s8
	s_mul_hi_u32 s7, s6, s8
	s_mul_i32 s4, s6, s8
	s_add_i32 s5, s7, s5
	v_mad_u64_u32 v[4:5], s[6:7], s2, v0, 0
	s_lshl_b64 s[4:5], s[4:5], 4
	s_add_u32 s2, s0, s4
	v_mov_b32_e32 v1, v5
	s_addc_u32 s4, s1, s5
	v_mad_u64_u32 v[0:1], s[0:1], s3, v0, v[1:2]
	s_lshl_b64 s[0:1], s[10:11], 4
	s_add_u32 s0, s2, s0
	v_mov_b32_e32 v5, v0
	v_lshlrev_b64 v[0:1], 4, v[4:5]
	s_addc_u32 s1, s4, s1
	v_mov_b32_e32 v4, s1
	v_add_co_u32_e32 v5, vcc, s0, v0
	v_addc_co_u32_e32 v4, vcc, v4, v1, vcc
	v_lshlrev_b64 v[0:1], 4, v[2:3]
	v_mov_b32_e32 v2, v3
	v_add_co_u32_e32 v0, vcc, v5, v0
	v_addc_co_u32_e32 v1, vcc, v4, v1, vcc
	v_mov_b32_e32 v4, v3
	v_mov_b32_e32 v5, v3
	global_store_dwordx4 v[0:1], v[2:5], off
.LBB198_2:
	s_endpgm
	.section	.rodata,"a",@progbits
	.p2align	6, 0x0
	.amdhsa_kernel _ZL23rocblas_set_matrix_trsmILi128ELi8E19rocblas_complex_numIdEPS1_EvlliT2_llT1_li
		.amdhsa_group_segment_fixed_size 0
		.amdhsa_private_segment_fixed_size 0
		.amdhsa_kernarg_size 76
		.amdhsa_user_sgpr_count 6
		.amdhsa_user_sgpr_private_segment_buffer 1
		.amdhsa_user_sgpr_dispatch_ptr 0
		.amdhsa_user_sgpr_queue_ptr 0
		.amdhsa_user_sgpr_kernarg_segment_ptr 1
		.amdhsa_user_sgpr_dispatch_id 0
		.amdhsa_user_sgpr_flat_scratch_init 0
		.amdhsa_user_sgpr_private_segment_size 0
		.amdhsa_uses_dynamic_stack 0
		.amdhsa_system_sgpr_private_segment_wavefront_offset 0
		.amdhsa_system_sgpr_workgroup_id_x 1
		.amdhsa_system_sgpr_workgroup_id_y 1
		.amdhsa_system_sgpr_workgroup_id_z 1
		.amdhsa_system_sgpr_workgroup_info 0
		.amdhsa_system_vgpr_workitem_id 1
		.amdhsa_next_free_vgpr 6
		.amdhsa_next_free_sgpr 12
		.amdhsa_reserve_vcc 1
		.amdhsa_reserve_flat_scratch 0
		.amdhsa_float_round_mode_32 0
		.amdhsa_float_round_mode_16_64 0
		.amdhsa_float_denorm_mode_32 3
		.amdhsa_float_denorm_mode_16_64 3
		.amdhsa_dx10_clamp 1
		.amdhsa_ieee_mode 1
		.amdhsa_fp16_overflow 0
		.amdhsa_exception_fp_ieee_invalid_op 0
		.amdhsa_exception_fp_denorm_src 0
		.amdhsa_exception_fp_ieee_div_zero 0
		.amdhsa_exception_fp_ieee_overflow 0
		.amdhsa_exception_fp_ieee_underflow 0
		.amdhsa_exception_fp_ieee_inexact 0
		.amdhsa_exception_int_div_zero 0
	.end_amdhsa_kernel
	.section	.text._ZL23rocblas_set_matrix_trsmILi128ELi8E19rocblas_complex_numIdEPS1_EvlliT2_llT1_li,"axG",@progbits,_ZL23rocblas_set_matrix_trsmILi128ELi8E19rocblas_complex_numIdEPS1_EvlliT2_llT1_li,comdat
.Lfunc_end198:
	.size	_ZL23rocblas_set_matrix_trsmILi128ELi8E19rocblas_complex_numIdEPS1_EvlliT2_llT1_li, .Lfunc_end198-_ZL23rocblas_set_matrix_trsmILi128ELi8E19rocblas_complex_numIdEPS1_EvlliT2_llT1_li
                                        ; -- End function
	.set _ZL23rocblas_set_matrix_trsmILi128ELi8E19rocblas_complex_numIdEPS1_EvlliT2_llT1_li.num_vgpr, 6
	.set _ZL23rocblas_set_matrix_trsmILi128ELi8E19rocblas_complex_numIdEPS1_EvlliT2_llT1_li.num_agpr, 0
	.set _ZL23rocblas_set_matrix_trsmILi128ELi8E19rocblas_complex_numIdEPS1_EvlliT2_llT1_li.numbered_sgpr, 12
	.set _ZL23rocblas_set_matrix_trsmILi128ELi8E19rocblas_complex_numIdEPS1_EvlliT2_llT1_li.num_named_barrier, 0
	.set _ZL23rocblas_set_matrix_trsmILi128ELi8E19rocblas_complex_numIdEPS1_EvlliT2_llT1_li.private_seg_size, 0
	.set _ZL23rocblas_set_matrix_trsmILi128ELi8E19rocblas_complex_numIdEPS1_EvlliT2_llT1_li.uses_vcc, 1
	.set _ZL23rocblas_set_matrix_trsmILi128ELi8E19rocblas_complex_numIdEPS1_EvlliT2_llT1_li.uses_flat_scratch, 0
	.set _ZL23rocblas_set_matrix_trsmILi128ELi8E19rocblas_complex_numIdEPS1_EvlliT2_llT1_li.has_dyn_sized_stack, 0
	.set _ZL23rocblas_set_matrix_trsmILi128ELi8E19rocblas_complex_numIdEPS1_EvlliT2_llT1_li.has_recursion, 0
	.set _ZL23rocblas_set_matrix_trsmILi128ELi8E19rocblas_complex_numIdEPS1_EvlliT2_llT1_li.has_indirect_call, 0
	.section	.AMDGPU.csdata,"",@progbits
; Kernel info:
; codeLenInByte = 212
; TotalNumSgprs: 16
; NumVgprs: 6
; ScratchSize: 0
; MemoryBound: 0
; FloatMode: 240
; IeeeMode: 1
; LDSByteSize: 0 bytes/workgroup (compile time only)
; SGPRBlocks: 1
; VGPRBlocks: 1
; NumSGPRsForWavesPerEU: 16
; NumVGPRsForWavesPerEU: 6
; Occupancy: 10
; WaveLimiterHint : 0
; COMPUTE_PGM_RSRC2:SCRATCH_EN: 0
; COMPUTE_PGM_RSRC2:USER_SGPR: 6
; COMPUTE_PGM_RSRC2:TRAP_HANDLER: 0
; COMPUTE_PGM_RSRC2:TGID_X_EN: 1
; COMPUTE_PGM_RSRC2:TGID_Y_EN: 1
; COMPUTE_PGM_RSRC2:TGID_Z_EN: 1
; COMPUTE_PGM_RSRC2:TIDIG_COMP_CNT: 1
	.section	.text._ZL38rocblas_trsm_small_left_device_sharedBILi4ELi4ELb0E19rocblas_complex_numIdES1_PKS1_PS1_Ev13rocblas_fill_18rocblas_operation_17rocblas_diagonal_iiT3_T4_lilT5_lili,"axG",@progbits,_ZL38rocblas_trsm_small_left_device_sharedBILi4ELi4ELb0E19rocblas_complex_numIdES1_PKS1_PS1_Ev13rocblas_fill_18rocblas_operation_17rocblas_diagonal_iiT3_T4_lilT5_lili,comdat
	.globl	_ZL38rocblas_trsm_small_left_device_sharedBILi4ELi4ELb0E19rocblas_complex_numIdES1_PKS1_PS1_Ev13rocblas_fill_18rocblas_operation_17rocblas_diagonal_iiT3_T4_lilT5_lili ; -- Begin function _ZL38rocblas_trsm_small_left_device_sharedBILi4ELi4ELb0E19rocblas_complex_numIdES1_PKS1_PS1_Ev13rocblas_fill_18rocblas_operation_17rocblas_diagonal_iiT3_T4_lilT5_lili
	.p2align	8
	.type	_ZL38rocblas_trsm_small_left_device_sharedBILi4ELi4ELb0E19rocblas_complex_numIdES1_PKS1_PS1_Ev13rocblas_fill_18rocblas_operation_17rocblas_diagonal_iiT3_T4_lilT5_lili,@function
_ZL38rocblas_trsm_small_left_device_sharedBILi4ELi4ELb0E19rocblas_complex_numIdES1_PKS1_PS1_Ev13rocblas_fill_18rocblas_operation_17rocblas_diagonal_iiT3_T4_lilT5_lili: ; @_ZL38rocblas_trsm_small_left_device_sharedBILi4ELi4ELb0E19rocblas_complex_numIdES1_PKS1_PS1_Ev13rocblas_fill_18rocblas_operation_17rocblas_diagonal_iiT3_T4_lilT5_lili
; %bb.0:
	s_load_dwordx4 s[20:23], s[6:7], 0x4
	s_load_dwordx8 s[12:19], s[6:7], 0x18
	s_load_dwordx4 s[0:3], s[6:7], 0x40
	s_load_dwordx2 s[10:11], s[6:7], 0x50
	s_load_dword s27, s[6:7], 0x70
	s_waitcnt lgkmcnt(0)
	s_min_i32 s26, s22, 4
	v_cmp_gt_i32_e32 vcc, s26, v0
	s_and_saveexec_b64 s[24:25], vcc
	s_cbranch_execz .LBB199_11
; %bb.1:
	s_load_dword s28, s[6:7], 0x38
	s_mul_i32 s1, s1, s9
	s_mul_hi_u32 s30, s0, s9
	s_mul_i32 s0, s0, s9
	v_lshlrev_b32_e32 v5, 4, v0
	s_waitcnt lgkmcnt(0)
	s_ashr_i32 s29, s28, 31
	s_cmpk_eq_i32 s20, 0x71
	s_cselect_b64 vcc, -1, 0
	s_add_i32 s1, s30, s1
	s_lshl_b64 s[0:1], s[0:1], 4
	s_lshl_b64 s[18:19], s[18:19], 4
	s_add_u32 s0, s0, s18
	s_addc_u32 s1, s1, s19
	s_add_u32 s0, s16, s0
	s_addc_u32 s1, s17, s1
	v_mov_b32_e32 v3, s1
	v_add_co_u32_e64 v4, s[0:1], s0, v5
	v_addc_co_u32_e64 v6, s[0:1], 0, v3, s[0:1]
	v_add_co_u32_e64 v3, s[0:1], 8, v4
	s_lshl_b64 s[16:17], s[28:29], 4
	v_addc_co_u32_e64 v4, s[0:1], 0, v6, s[0:1]
	v_mov_b32_e32 v6, s17
	v_mov_b32_e32 v7, v5
	s_mov_b32 s17, s26
.LBB199_2:                              ; =>This Inner Loop Header: Depth=1
	global_load_dwordx4 v[8:11], v[3:4], off offset:-8
	s_add_i32 s17, s17, -1
	v_add_co_u32_e64 v3, s[0:1], s16, v3
	v_addc_co_u32_e64 v4, s[0:1], v4, v6, s[0:1]
	s_cmp_eq_u32 s17, 0
	s_waitcnt vmcnt(0)
	v_xor_b32_e32 v12, 0x80000000, v11
	v_cndmask_b32_e32 v11, v11, v12, vcc
	ds_write_b128 v7, v[8:11]
	v_add_u32_e32 v7, 64, v7
	s_cbranch_scc0 .LBB199_2
; %bb.3:
	v_lshlrev_b32_e32 v3, 6, v0
	s_cmpk_lg_i32 s21, 0x84
	v_add_u32_e32 v11, v5, v3
	s_cbranch_scc0 .LBB199_9
; %bb.4:
	ds_read_b128 v[3:6], v11
                                        ; implicit-def: $vgpr9_vgpr10
	s_waitcnt lgkmcnt(0)
	v_cmp_ngt_f64_e64 s[0:1], |v[3:4]|, |v[5:6]|
	s_and_saveexec_b64 s[16:17], s[0:1]
	s_xor_b64 s[0:1], exec, s[16:17]
	s_cbranch_execz .LBB199_6
; %bb.5:
	v_div_scale_f64 v[7:8], s[16:17], v[5:6], v[5:6], v[3:4]
	v_rcp_f64_e32 v[9:10], v[7:8]
	v_fma_f64 v[12:13], -v[7:8], v[9:10], 1.0
	v_fma_f64 v[9:10], v[9:10], v[12:13], v[9:10]
	v_div_scale_f64 v[12:13], vcc, v[3:4], v[5:6], v[3:4]
	v_fma_f64 v[14:15], -v[7:8], v[9:10], 1.0
	v_fma_f64 v[9:10], v[9:10], v[14:15], v[9:10]
	v_mul_f64 v[14:15], v[12:13], v[9:10]
	v_fma_f64 v[7:8], -v[7:8], v[14:15], v[12:13]
	v_div_fmas_f64 v[7:8], v[7:8], v[9:10], v[14:15]
	v_div_fixup_f64 v[7:8], v[7:8], v[5:6], v[3:4]
	v_fma_f64 v[3:4], v[3:4], v[7:8], v[5:6]
	v_div_scale_f64 v[5:6], s[16:17], v[3:4], v[3:4], 1.0
	v_rcp_f64_e32 v[9:10], v[5:6]
	v_fma_f64 v[12:13], -v[5:6], v[9:10], 1.0
	v_fma_f64 v[9:10], v[9:10], v[12:13], v[9:10]
	v_div_scale_f64 v[12:13], vcc, 1.0, v[3:4], 1.0
	v_fma_f64 v[14:15], -v[5:6], v[9:10], 1.0
	v_fma_f64 v[9:10], v[9:10], v[14:15], v[9:10]
	v_mul_f64 v[14:15], v[12:13], v[9:10]
	v_fma_f64 v[5:6], -v[5:6], v[14:15], v[12:13]
	v_div_fmas_f64 v[5:6], v[5:6], v[9:10], v[14:15]
	v_add_f64 v[9:10], v[7:8], 0
	v_div_fixup_f64 v[3:4], v[5:6], v[3:4], 1.0
	v_fma_f64 v[5:6], v[7:8], 0, -1.0
	v_mul_f64 v[7:8], v[9:10], v[3:4]
	v_mul_f64 v[9:10], v[5:6], v[3:4]
                                        ; implicit-def: $vgpr3_vgpr4
.LBB199_6:
	s_andn2_saveexec_b64 s[0:1], s[0:1]
	s_cbranch_execz .LBB199_8
; %bb.7:
	v_div_scale_f64 v[7:8], s[16:17], v[3:4], v[3:4], v[5:6]
	v_rcp_f64_e32 v[9:10], v[7:8]
	v_fma_f64 v[12:13], -v[7:8], v[9:10], 1.0
	v_fma_f64 v[9:10], v[9:10], v[12:13], v[9:10]
	v_div_scale_f64 v[12:13], vcc, v[5:6], v[3:4], v[5:6]
	v_fma_f64 v[14:15], -v[7:8], v[9:10], 1.0
	v_fma_f64 v[9:10], v[9:10], v[14:15], v[9:10]
	v_mul_f64 v[14:15], v[12:13], v[9:10]
	v_fma_f64 v[7:8], -v[7:8], v[14:15], v[12:13]
	v_div_fmas_f64 v[7:8], v[7:8], v[9:10], v[14:15]
	v_div_fixup_f64 v[7:8], v[7:8], v[3:4], v[5:6]
	v_fma_f64 v[3:4], v[5:6], v[7:8], v[3:4]
	v_div_scale_f64 v[5:6], s[16:17], v[3:4], v[3:4], 1.0
	v_rcp_f64_e32 v[9:10], v[5:6]
	v_fma_f64 v[12:13], -v[5:6], v[9:10], 1.0
	v_fma_f64 v[9:10], v[9:10], v[12:13], v[9:10]
	v_div_scale_f64 v[12:13], vcc, 1.0, v[3:4], 1.0
	v_fma_f64 v[14:15], -v[5:6], v[9:10], 1.0
	v_fma_f64 v[9:10], v[9:10], v[14:15], v[9:10]
	v_mul_f64 v[14:15], v[12:13], v[9:10]
	v_fma_f64 v[5:6], -v[5:6], v[14:15], v[12:13]
	v_div_fmas_f64 v[5:6], v[5:6], v[9:10], v[14:15]
	v_fma_f64 v[9:10], v[7:8], 0, 1.0
	v_div_fixup_f64 v[3:4], v[5:6], v[3:4], 1.0
	v_add_f64 v[5:6], -v[7:8], 0
	v_mul_f64 v[7:8], v[9:10], v[3:4]
	v_mul_f64 v[9:10], v[5:6], v[3:4]
.LBB199_8:
	s_or_b64 exec, exec, s[0:1]
	s_branch .LBB199_10
.LBB199_9:
	v_mov_b32_e32 v9, 0
	v_mov_b32_e32 v7, 0
	;; [unrolled: 1-line block ×4, first 2 shown]
.LBB199_10:
	ds_write_b128 v11, v[7:10]
.LBB199_11:
	s_or_b64 exec, exec, s[24:25]
	s_load_dword s21, s[6:7], 0x58
	s_load_dwordx2 s[0:1], s[6:7], 0x60
	s_add_i32 s27, s27, -1
	s_waitcnt lgkmcnt(0)
	s_ashr_i32 s24, s21, 31
	s_mul_i32 s1, s1, s9
	s_mul_hi_u32 s6, s0, s9
	s_add_i32 s17, s6, s1
	s_lshl_b32 s6, s8, 2
	s_mul_i32 s16, s0, s9
	s_sub_i32 s0, s23, s6
	s_cmp_ge_u32 s8, s27
	s_cselect_b32 s0, s0, 4
	s_ashr_i32 s7, s6, 31
	s_cmp_gt_i32 s22, 0
	v_cmp_gt_i32_e64 s[0:1], s0, v0
	s_cselect_b64 s[8:9], -1, 0
	s_and_b64 s[22:23], s[0:1], s[8:9]
	s_and_saveexec_b64 s[18:19], s[22:23]
	s_cbranch_execz .LBB199_14
; %bb.12:
	v_lshlrev_b32_e32 v5, 4, v0
	s_lshl_b64 s[28:29], s[6:7], 4
	s_lshl_b64 s[22:23], s[16:17], 4
	v_mov_b32_e32 v3, s29
	v_add_co_u32_e32 v6, vcc, s28, v5
	s_lshl_b64 s[28:29], s[10:11], 4
	s_add_u32 s7, s2, s28
	s_addc_u32 s25, s3, s29
	s_add_u32 s22, s7, s22
	v_addc_co_u32_e32 v7, vcc, 0, v3, vcc
	s_addc_u32 s23, s25, s23
	v_mov_b32_e32 v3, s22
	v_mov_b32_e32 v4, s23
	v_mad_u64_u32 v[3:4], s[22:23], v6, s21, v[3:4]
	v_mul_lo_u32 v6, v6, s24
	v_mul_lo_u32 v7, v7, s21
	v_add_co_u32_e32 v3, vcc, 8, v3
	v_or_b32_e32 v5, 0x100, v5
	v_add3_u32 v4, v7, v4, v6
	v_addc_co_u32_e32 v4, vcc, 0, v4, vcc
	s_mov_b32 s7, s26
.LBB199_13:                             ; =>This Inner Loop Header: Depth=1
	global_load_dwordx4 v[6:9], v[3:4], off offset:-8
	s_add_i32 s7, s7, -1
	v_add_co_u32_e32 v3, vcc, 16, v3
	v_addc_co_u32_e32 v4, vcc, 0, v4, vcc
	s_cmp_lg_u32 s7, 0
	s_waitcnt vmcnt(0)
	v_mul_f64 v[10:11], s[14:15], v[8:9]
	v_mul_f64 v[12:13], s[12:13], v[8:9]
	v_fma_f64 v[8:9], s[12:13], v[6:7], -v[10:11]
	v_fma_f64 v[10:11], s[14:15], v[6:7], v[12:13]
	ds_write_b128 v5, v[8:11]
	v_add_u32_e32 v5, 64, v5
	s_cbranch_scc1 .LBB199_13
.LBB199_14:
	s_or_b64 exec, exec, s[18:19]
	s_load_dwordx2 s[12:13], s[4:5], 0x4
	v_mov_b32_e32 v3, 0x200
	s_waitcnt lgkmcnt(0)
	; wave barrier
	s_lshr_b32 s4, s12, 16
	s_mul_i32 s4, s4, s13
	v_mul_u32_u24_e32 v1, s13, v1
	v_mul_u32_u24_e32 v4, s4, v0
	v_add3_u32 v1, v4, v1, v2
	v_lshl_add_u32 v5, v1, 6, v3
	v_mov_b32_e32 v1, 0x100
	s_cmpk_eq_i32 s20, 0x6f
	v_lshl_or_b32 v6, v0, 4, v1
	s_mov_b64 s[4:5], -1
	s_cbranch_scc1 .LBB199_36
; %bb.15:
	s_mov_b32 s5, 0
	s_mov_b32 s4, s5
	;; [unrolled: 1-line block ×3, first 2 shown]
	s_branch .LBB199_17
.LBB199_16:                             ;   in Loop: Header=BB199_17 Depth=1
	s_cmp_ge_i32 s7, s26
	s_cselect_b64 s[12:13], -1, 0
	s_add_i32 s4, s4, 1
	s_cmp_eq_u32 s4, 3
	s_cselect_b64 s[14:15], -1, 0
	s_or_b64 s[12:13], s[12:13], s[14:15]
	s_andn2_b64 vcc, exec, s[12:13]
	s_cbranch_vccz .LBB199_35
.LBB199_17:                             ; =>This Loop Header: Depth=1
                                        ;     Child Loop BB199_20 Depth 2
                                        ;       Child Loop BB199_21 Depth 3
                                        ;       Child Loop BB199_24 Depth 3
                                        ;         Child Loop BB199_25 Depth 4
                                        ;       Child Loop BB199_29 Depth 3
                                        ;         Child Loop BB199_31 Depth 4
	s_lshl_b64 s[12:13], s[4:5], 2
	s_getpc_b64 s[14:15]
	s_add_u32 s14, s14, __const._ZL38rocblas_trsm_small_left_device_sharedBILi4ELi4ELb0E19rocblas_complex_numIdES1_PKS1_PS1_Ev13rocblas_fill_18rocblas_operation_17rocblas_diagonal_iiT3_T4_lilT5_lili.step_sizes@rel32@lo+4
	s_addc_u32 s15, s15, __const._ZL38rocblas_trsm_small_left_device_sharedBILi4ELi4ELb0E19rocblas_complex_numIdES1_PKS1_PS1_Ev13rocblas_fill_18rocblas_operation_17rocblas_diagonal_iiT3_T4_lilT5_lili.step_sizes@rel32@hi+12
	s_add_u32 s12, s14, s12
	s_addc_u32 s13, s15, s13
	s_load_dword s14, s[12:13], 0x0
	s_waitcnt lgkmcnt(0)
	s_add_i32 s15, s14, -1
	s_add_i32 s12, s15, s7
	s_cmp_ge_i32 s12, s26
	s_cbranch_scc1 .LBB199_16
; %bb.18:                               ;   in Loop: Header=BB199_17 Depth=1
	s_lshl_b32 s19, s7, 6
	s_max_i32 s18, s14, 1
	v_add_u32_e32 v7, s19, v6
	s_lshl_b32 s20, s14, 6
	s_mul_i32 s22, s7, 0x50
	s_mul_i32 s23, s14, 0x50
	s_branch .LBB199_20
.LBB199_19:                             ;   in Loop: Header=BB199_20 Depth=2
	s_add_i32 s7, s7, s14
	s_add_i32 s12, s15, s7
	;; [unrolled: 1-line block ×4, first 2 shown]
	s_cmp_ge_i32 s12, s26
	v_add_u32_e32 v7, s20, v7
	s_cbranch_scc1 .LBB199_16
.LBB199_20:                             ;   Parent Loop BB199_17 Depth=1
                                        ; =>  This Loop Header: Depth=2
                                        ;       Child Loop BB199_21 Depth 3
                                        ;       Child Loop BB199_24 Depth 3
                                        ;         Child Loop BB199_25 Depth 4
                                        ;       Child Loop BB199_29 Depth 3
                                        ;         Child Loop BB199_31 Depth 4
	v_mov_b32_e32 v1, v5
	v_mov_b32_e32 v2, v7
	s_mov_b32 s12, s18
.LBB199_21:                             ;   Parent Loop BB199_17 Depth=1
                                        ;     Parent Loop BB199_20 Depth=2
                                        ; =>    This Inner Loop Header: Depth=3
	ds_read_b128 v[8:11], v2
	s_add_i32 s12, s12, -1
	v_add_u32_e32 v2, 64, v2
	s_cmp_eq_u32 s12, 0
	s_waitcnt lgkmcnt(0)
	ds_write_b128 v1, v[8:11]
	v_add_u32_e32 v1, 16, v1
	s_cbranch_scc0 .LBB199_21
; %bb.22:                               ;   in Loop: Header=BB199_20 Depth=2
	s_cmp_lt_i32 s7, 1
	s_cbranch_scc1 .LBB199_27
; %bb.23:                               ;   in Loop: Header=BB199_20 Depth=2
	s_mov_b32 s12, 0
	s_mov_b32 s13, s19
.LBB199_24:                             ;   Parent Loop BB199_17 Depth=1
                                        ;     Parent Loop BB199_20 Depth=2
                                        ; =>    This Loop Header: Depth=3
                                        ;         Child Loop BB199_25 Depth 4
	v_lshl_add_u32 v1, s12, 6, v6
	ds_read_b128 v[1:4], v1
	v_mov_b32_e32 v8, v5
	s_mov_b32 s24, s13
	s_mov_b32 s25, s18
.LBB199_25:                             ;   Parent Loop BB199_17 Depth=1
                                        ;     Parent Loop BB199_20 Depth=2
                                        ;       Parent Loop BB199_24 Depth=3
                                        ; =>      This Inner Loop Header: Depth=4
	v_mov_b32_e32 v9, s24
	ds_read_b128 v[9:12], v9
	s_add_i32 s25, s25, -1
	s_add_i32 s24, s24, 64
	s_cmp_eq_u32 s25, 0
	s_waitcnt lgkmcnt(0)
	v_mul_f64 v[13:14], v[3:4], v[11:12]
	v_mul_f64 v[11:12], v[1:2], v[11:12]
	v_fma_f64 v[13:14], v[1:2], v[9:10], -v[13:14]
	v_fma_f64 v[15:16], v[3:4], v[9:10], v[11:12]
	ds_read_b128 v[9:12], v8
	s_waitcnt lgkmcnt(0)
	v_add_f64 v[9:10], v[9:10], -v[13:14]
	v_add_f64 v[11:12], v[11:12], -v[15:16]
	ds_write_b128 v8, v[9:12]
	v_add_u32_e32 v8, 16, v8
	s_cbranch_scc0 .LBB199_25
; %bb.26:                               ;   in Loop: Header=BB199_24 Depth=3
	s_add_i32 s12, s12, 1
	s_add_i32 s13, s13, 16
	s_cmp_eq_u32 s12, s7
	s_cbranch_scc0 .LBB199_24
.LBB199_27:                             ;   in Loop: Header=BB199_20 Depth=2
	s_lshl_b32 s24, s7, 6
	s_mov_b32 s25, 0
	s_mov_b32 s27, s22
	s_branch .LBB199_29
.LBB199_28:                             ;   in Loop: Header=BB199_29 Depth=3
	s_mul_i32 s12, s29, 0x50
	v_mov_b32_e32 v9, s12
	ds_read_b128 v[9:12], v9
	s_add_i32 s25, s25, 1
	s_add_i32 s27, s27, 64
	s_cmp_eq_u32 s25, s18
	s_waitcnt lgkmcnt(0)
	v_mul_f64 v[13:14], v[11:12], v[3:4]
	v_mul_f64 v[3:4], v[9:10], v[3:4]
	v_fma_f64 v[9:10], v[9:10], v[1:2], -v[13:14]
	v_fma_f64 v[11:12], v[11:12], v[1:2], v[3:4]
	v_add_u32_e32 v1, s28, v6
	ds_write_b128 v8, v[9:12]
	ds_write_b128 v1, v[9:12]
	s_cbranch_scc1 .LBB199_19
.LBB199_29:                             ;   Parent Loop BB199_17 Depth=1
                                        ;     Parent Loop BB199_20 Depth=2
                                        ; =>    This Loop Header: Depth=3
                                        ;         Child Loop BB199_31 Depth 4
	s_cmp_lg_u32 s25, 0
	v_lshl_add_u32 v8, s25, 4, v5
	s_cbranch_scc0 .LBB199_33
; %bb.30:                               ;   in Loop: Header=BB199_29 Depth=3
	ds_read_b128 v[1:4], v8
	s_add_i32 s29, s25, s7
	s_lshl_b32 s28, s29, 6
	s_mov_b32 s12, s27
	v_mov_b32_e32 v9, v5
	s_mov_b32 s13, s25
.LBB199_31:                             ;   Parent Loop BB199_17 Depth=1
                                        ;     Parent Loop BB199_20 Depth=2
                                        ;       Parent Loop BB199_29 Depth=3
                                        ; =>      This Inner Loop Header: Depth=4
	v_mov_b32_e32 v14, s12
	ds_read_b128 v[10:13], v9
	ds_read_b128 v[14:17], v14
	s_add_i32 s13, s13, -1
	s_add_i32 s12, s12, 16
	v_add_u32_e32 v9, 16, v9
	s_cmp_eq_u32 s13, 0
	s_waitcnt lgkmcnt(0)
	v_mul_f64 v[18:19], v[16:17], v[12:13]
	v_mul_f64 v[12:13], v[14:15], v[12:13]
	v_fma_f64 v[14:15], v[14:15], v[10:11], -v[18:19]
	v_fma_f64 v[10:11], v[16:17], v[10:11], v[12:13]
	v_add_f64 v[1:2], v[1:2], -v[14:15]
	v_add_f64 v[3:4], v[3:4], -v[10:11]
	ds_write_b128 v8, v[1:4]
	s_cbranch_scc0 .LBB199_31
; %bb.32:                               ;   in Loop: Header=BB199_29 Depth=3
	s_branch .LBB199_28
.LBB199_33:                             ;   in Loop: Header=BB199_29 Depth=3
                                        ; implicit-def: $vgpr1_vgpr2
                                        ; implicit-def: $sgpr29
                                        ; implicit-def: $sgpr28
	s_cbranch_execz .LBB199_28
; %bb.34:                               ;   in Loop: Header=BB199_29 Depth=3
	ds_read_b128 v[1:4], v5
	s_mov_b32 s28, s24
	s_mov_b32 s29, s7
	s_branch .LBB199_28
.LBB199_35:
	s_mov_b64 s[4:5], 0
.LBB199_36:
	s_and_b64 vcc, exec, s[4:5]
	s_cbranch_vccz .LBB199_56
; %bb.37:
	s_add_i32 s7, s26, -1
	v_mov_b32_e32 v1, 0x100
	s_lshl_b32 s4, s26, 6
	s_mov_b32 s5, 0
	v_lshl_or_b32 v7, v0, 4, v1
	s_sub_i32 s14, s4, 64
	s_mov_b32 s4, s5
	s_mov_b32 s15, s7
	s_branch .LBB199_39
.LBB199_38:                             ;   in Loop: Header=BB199_39 Depth=1
	s_cmp_lt_i32 s15, 0
	s_cselect_b64 s[12:13], -1, 0
	s_add_i32 s4, s4, 1
	s_cmp_eq_u32 s4, 3
	s_cselect_b64 s[18:19], -1, 0
	s_or_b64 s[12:13], s[12:13], s[18:19]
	s_and_b64 vcc, exec, s[12:13]
	s_cbranch_vccnz .LBB199_56
.LBB199_39:                             ; =>This Loop Header: Depth=1
                                        ;     Child Loop BB199_42 Depth 2
                                        ;       Child Loop BB199_43 Depth 3
                                        ;       Child Loop BB199_45 Depth 3
                                        ;         Child Loop BB199_46 Depth 4
                                        ;       Child Loop BB199_50 Depth 3
                                        ;         Child Loop BB199_52 Depth 4
	s_lshl_b64 s[12:13], s[4:5], 2
	s_getpc_b64 s[18:19]
	s_add_u32 s18, s18, __const._ZL38rocblas_trsm_small_left_device_sharedBILi4ELi4ELb0E19rocblas_complex_numIdES1_PKS1_PS1_Ev13rocblas_fill_18rocblas_operation_17rocblas_diagonal_iiT3_T4_lilT5_lili.step_sizes@rel32@lo+4
	s_addc_u32 s19, s19, __const._ZL38rocblas_trsm_small_left_device_sharedBILi4ELi4ELb0E19rocblas_complex_numIdES1_PKS1_PS1_Ev13rocblas_fill_18rocblas_operation_17rocblas_diagonal_iiT3_T4_lilT5_lili.step_sizes@rel32@hi+12
	s_add_u32 s12, s18, s12
	s_addc_u32 s13, s19, s13
	s_load_dword s18, s[12:13], 0x0
	s_waitcnt lgkmcnt(0)
	s_add_i32 s19, s18, -1
	s_cmp_lt_i32 s15, s19
	s_cbranch_scc1 .LBB199_38
; %bb.40:                               ;   in Loop: Header=BB199_39 Depth=1
	s_lshl_b32 s12, s18, 6
	s_sub_i32 s22, 0, s12
	s_lshl_b32 s12, s15, 4
	s_add_i32 s23, s14, s12
	s_lshl_b32 s12, s18, 4
	s_max_i32 s20, s18, 1
	v_lshl_add_u32 v8, s15, 6, v7
	s_sub_i32 s24, 0, s12
	s_mul_i32 s25, s15, 0x50
	s_mul_i32 s27, s18, 0xffffffb0
	s_branch .LBB199_42
.LBB199_41:                             ;   in Loop: Header=BB199_42 Depth=2
	s_sub_i32 s15, s15, s18
	s_add_i32 s23, s23, s24
	s_add_i32 s25, s25, s27
	s_cmp_lt_i32 s15, s19
	v_add_u32_e32 v8, s22, v8
	s_cbranch_scc1 .LBB199_38
.LBB199_42:                             ;   Parent Loop BB199_39 Depth=1
                                        ; =>  This Loop Header: Depth=2
                                        ;       Child Loop BB199_43 Depth 3
                                        ;       Child Loop BB199_45 Depth 3
                                        ;         Child Loop BB199_46 Depth 4
                                        ;       Child Loop BB199_50 Depth 3
                                        ;         Child Loop BB199_52 Depth 4
	v_mov_b32_e32 v1, v5
	v_mov_b32_e32 v2, v8
	s_mov_b32 s12, s20
.LBB199_43:                             ;   Parent Loop BB199_39 Depth=1
                                        ;     Parent Loop BB199_42 Depth=2
                                        ; =>    This Inner Loop Header: Depth=3
	ds_read_b128 v[9:12], v2
	s_add_i32 s12, s12, -1
	v_subrev_u32_e32 v2, 64, v2
	s_cmp_eq_u32 s12, 0
	s_waitcnt lgkmcnt(0)
	ds_write_b128 v1, v[9:12]
	v_add_u32_e32 v1, 16, v1
	s_cbranch_scc0 .LBB199_43
; %bb.44:                               ;   in Loop: Header=BB199_42 Depth=2
	s_cmp_le_i32 s7, s15
	s_mov_b32 s12, s23
	s_mov_b32 s13, s7
	s_cbranch_scc1 .LBB199_48
.LBB199_45:                             ;   Parent Loop BB199_39 Depth=1
                                        ;     Parent Loop BB199_42 Depth=2
                                        ; =>    This Loop Header: Depth=3
                                        ;         Child Loop BB199_46 Depth 4
	v_lshl_add_u32 v1, s13, 6, v6
	ds_read_b128 v[1:4], v1
	v_mov_b32_e32 v9, v5
	s_mov_b32 s28, s12
	s_mov_b32 s29, s20
.LBB199_46:                             ;   Parent Loop BB199_39 Depth=1
                                        ;     Parent Loop BB199_42 Depth=2
                                        ;       Parent Loop BB199_45 Depth=3
                                        ; =>      This Inner Loop Header: Depth=4
	v_mov_b32_e32 v10, s28
	ds_read_b128 v[10:13], v10
	s_add_i32 s29, s29, -1
	s_add_i32 s28, s28, -16
	s_cmp_eq_u32 s29, 0
	s_waitcnt lgkmcnt(0)
	v_mul_f64 v[14:15], v[3:4], v[12:13]
	v_mul_f64 v[12:13], v[1:2], v[12:13]
	v_fma_f64 v[14:15], v[1:2], v[10:11], -v[14:15]
	v_fma_f64 v[16:17], v[3:4], v[10:11], v[12:13]
	ds_read_b128 v[10:13], v9
	s_waitcnt lgkmcnt(0)
	v_add_f64 v[10:11], v[10:11], -v[14:15]
	v_add_f64 v[12:13], v[12:13], -v[16:17]
	ds_write_b128 v9, v[10:13]
	v_add_u32_e32 v9, 16, v9
	s_cbranch_scc0 .LBB199_46
; %bb.47:                               ;   in Loop: Header=BB199_45 Depth=3
	s_add_i32 s13, s13, -1
	s_sub_i32 s12, s12, 64
	s_cmp_le_i32 s13, s15
	s_cbranch_scc0 .LBB199_45
.LBB199_48:                             ;   in Loop: Header=BB199_42 Depth=2
	s_mov_b32 s28, 0
	s_mov_b32 s29, s25
	s_branch .LBB199_50
.LBB199_49:                             ;   in Loop: Header=BB199_50 Depth=3
	s_mul_i32 s12, s30, 0x50
	v_mov_b32_e32 v10, s12
	ds_read_b128 v[10:13], v10
	s_add_i32 s28, s28, 1
	s_add_i32 s29, s29, -16
	s_cmp_eq_u32 s28, s20
	s_waitcnt lgkmcnt(0)
	v_mul_f64 v[14:15], v[12:13], v[3:4]
	v_mul_f64 v[3:4], v[10:11], v[3:4]
	v_fma_f64 v[10:11], v[10:11], v[1:2], -v[14:15]
	v_fma_f64 v[12:13], v[12:13], v[1:2], v[3:4]
	v_lshl_add_u32 v1, s30, 6, v6
	ds_write_b128 v9, v[10:13]
	ds_write_b128 v1, v[10:13]
	s_cbranch_scc1 .LBB199_41
.LBB199_50:                             ;   Parent Loop BB199_39 Depth=1
                                        ;     Parent Loop BB199_42 Depth=2
                                        ; =>    This Loop Header: Depth=3
                                        ;         Child Loop BB199_52 Depth 4
	s_cmp_lg_u32 s28, 0
	v_lshl_add_u32 v9, s28, 4, v5
	s_cbranch_scc0 .LBB199_54
; %bb.51:                               ;   in Loop: Header=BB199_50 Depth=3
	ds_read_b128 v[1:4], v9
	s_sub_i32 s30, s15, s28
	v_mov_b32_e32 v10, v5
	s_mov_b32 s12, s29
	s_mov_b32 s13, s28
.LBB199_52:                             ;   Parent Loop BB199_39 Depth=1
                                        ;     Parent Loop BB199_42 Depth=2
                                        ;       Parent Loop BB199_50 Depth=3
                                        ; =>      This Inner Loop Header: Depth=4
	v_mov_b32_e32 v15, s12
	ds_read_b128 v[11:14], v10
	ds_read_b128 v[15:18], v15
	s_add_i32 s13, s13, -1
	s_sub_i32 s12, s12, 64
	v_add_u32_e32 v10, 16, v10
	s_cmp_eq_u32 s13, 0
	s_waitcnt lgkmcnt(0)
	v_mul_f64 v[19:20], v[17:18], v[13:14]
	v_mul_f64 v[13:14], v[15:16], v[13:14]
	v_fma_f64 v[15:16], v[15:16], v[11:12], -v[19:20]
	v_fma_f64 v[11:12], v[17:18], v[11:12], v[13:14]
	v_add_f64 v[1:2], v[1:2], -v[15:16]
	v_add_f64 v[3:4], v[3:4], -v[11:12]
	ds_write_b128 v9, v[1:4]
	s_cbranch_scc0 .LBB199_52
; %bb.53:                               ;   in Loop: Header=BB199_50 Depth=3
	s_branch .LBB199_49
.LBB199_54:                             ;   in Loop: Header=BB199_50 Depth=3
                                        ; implicit-def: $vgpr1_vgpr2
                                        ; implicit-def: $sgpr30
	s_cbranch_execz .LBB199_49
; %bb.55:                               ;   in Loop: Header=BB199_50 Depth=3
	ds_read_b128 v[1:4], v5
	s_mov_b32 s30, s15
	s_branch .LBB199_49
.LBB199_56:
	s_waitcnt lgkmcnt(0)
	; wave barrier
	s_and_saveexec_b64 s[4:5], s[0:1]
	s_cbranch_execz .LBB199_60
; %bb.57:
	s_andn2_b64 vcc, exec, s[8:9]
	s_cbranch_vccnz .LBB199_60
; %bb.58:
	s_lshl_b64 s[0:1], s[16:17], 4
	s_add_u32 s2, s2, s0
	s_addc_u32 s3, s3, s1
	s_lshl_b64 s[0:1], s[10:11], 4
	s_add_u32 s4, s2, s0
	s_addc_u32 s5, s3, s1
	v_mad_i64_i32 v[1:2], s[2:3], s21, v0, 0
	s_mul_hi_i32 s1, s21, s6
	s_mul_i32 s0, s21, s6
	s_lshl_b64 s[0:1], s[0:1], 4
	s_add_u32 s0, s4, s0
	v_lshlrev_b64 v[1:2], 4, v[1:2]
	s_addc_u32 s1, s5, s1
	v_mov_b32_e32 v3, s1
	v_add_co_u32_e32 v1, vcc, s0, v1
	v_addc_co_u32_e32 v2, vcc, v3, v2, vcc
	v_mov_b32_e32 v3, 0x100
	v_lshl_or_b32 v0, v0, 4, v3
.LBB199_59:                             ; =>This Inner Loop Header: Depth=1
	ds_read2_b64 v[3:6], v0 offset1:1
	s_add_i32 s26, s26, -1
	v_add_u32_e32 v0, 64, v0
	s_cmp_lg_u32 s26, 0
	s_waitcnt lgkmcnt(0)
	global_store_dwordx4 v[1:2], v[3:6], off
	v_add_co_u32_e32 v1, vcc, 16, v1
	v_addc_co_u32_e32 v2, vcc, 0, v2, vcc
	s_cbranch_scc1 .LBB199_59
.LBB199_60:
	s_endpgm
	.section	.rodata,"a",@progbits
	.p2align	6, 0x0
	.amdhsa_kernel _ZL38rocblas_trsm_small_left_device_sharedBILi4ELi4ELb0E19rocblas_complex_numIdES1_PKS1_PS1_Ev13rocblas_fill_18rocblas_operation_17rocblas_diagonal_iiT3_T4_lilT5_lili
		.amdhsa_group_segment_fixed_size 768
		.amdhsa_private_segment_fixed_size 0
		.amdhsa_kernarg_size 368
		.amdhsa_user_sgpr_count 8
		.amdhsa_user_sgpr_private_segment_buffer 1
		.amdhsa_user_sgpr_dispatch_ptr 1
		.amdhsa_user_sgpr_queue_ptr 0
		.amdhsa_user_sgpr_kernarg_segment_ptr 1
		.amdhsa_user_sgpr_dispatch_id 0
		.amdhsa_user_sgpr_flat_scratch_init 0
		.amdhsa_user_sgpr_private_segment_size 0
		.amdhsa_uses_dynamic_stack 0
		.amdhsa_system_sgpr_private_segment_wavefront_offset 0
		.amdhsa_system_sgpr_workgroup_id_x 1
		.amdhsa_system_sgpr_workgroup_id_y 0
		.amdhsa_system_sgpr_workgroup_id_z 1
		.amdhsa_system_sgpr_workgroup_info 0
		.amdhsa_system_vgpr_workitem_id 2
		.amdhsa_next_free_vgpr 21
		.amdhsa_next_free_sgpr 31
		.amdhsa_reserve_vcc 1
		.amdhsa_reserve_flat_scratch 0
		.amdhsa_float_round_mode_32 0
		.amdhsa_float_round_mode_16_64 0
		.amdhsa_float_denorm_mode_32 3
		.amdhsa_float_denorm_mode_16_64 3
		.amdhsa_dx10_clamp 1
		.amdhsa_ieee_mode 1
		.amdhsa_fp16_overflow 0
		.amdhsa_exception_fp_ieee_invalid_op 0
		.amdhsa_exception_fp_denorm_src 0
		.amdhsa_exception_fp_ieee_div_zero 0
		.amdhsa_exception_fp_ieee_overflow 0
		.amdhsa_exception_fp_ieee_underflow 0
		.amdhsa_exception_fp_ieee_inexact 0
		.amdhsa_exception_int_div_zero 0
	.end_amdhsa_kernel
	.section	.text._ZL38rocblas_trsm_small_left_device_sharedBILi4ELi4ELb0E19rocblas_complex_numIdES1_PKS1_PS1_Ev13rocblas_fill_18rocblas_operation_17rocblas_diagonal_iiT3_T4_lilT5_lili,"axG",@progbits,_ZL38rocblas_trsm_small_left_device_sharedBILi4ELi4ELb0E19rocblas_complex_numIdES1_PKS1_PS1_Ev13rocblas_fill_18rocblas_operation_17rocblas_diagonal_iiT3_T4_lilT5_lili,comdat
.Lfunc_end199:
	.size	_ZL38rocblas_trsm_small_left_device_sharedBILi4ELi4ELb0E19rocblas_complex_numIdES1_PKS1_PS1_Ev13rocblas_fill_18rocblas_operation_17rocblas_diagonal_iiT3_T4_lilT5_lili, .Lfunc_end199-_ZL38rocblas_trsm_small_left_device_sharedBILi4ELi4ELb0E19rocblas_complex_numIdES1_PKS1_PS1_Ev13rocblas_fill_18rocblas_operation_17rocblas_diagonal_iiT3_T4_lilT5_lili
                                        ; -- End function
	.set _ZL38rocblas_trsm_small_left_device_sharedBILi4ELi4ELb0E19rocblas_complex_numIdES1_PKS1_PS1_Ev13rocblas_fill_18rocblas_operation_17rocblas_diagonal_iiT3_T4_lilT5_lili.num_vgpr, 21
	.set _ZL38rocblas_trsm_small_left_device_sharedBILi4ELi4ELb0E19rocblas_complex_numIdES1_PKS1_PS1_Ev13rocblas_fill_18rocblas_operation_17rocblas_diagonal_iiT3_T4_lilT5_lili.num_agpr, 0
	.set _ZL38rocblas_trsm_small_left_device_sharedBILi4ELi4ELb0E19rocblas_complex_numIdES1_PKS1_PS1_Ev13rocblas_fill_18rocblas_operation_17rocblas_diagonal_iiT3_T4_lilT5_lili.numbered_sgpr, 31
	.set _ZL38rocblas_trsm_small_left_device_sharedBILi4ELi4ELb0E19rocblas_complex_numIdES1_PKS1_PS1_Ev13rocblas_fill_18rocblas_operation_17rocblas_diagonal_iiT3_T4_lilT5_lili.num_named_barrier, 0
	.set _ZL38rocblas_trsm_small_left_device_sharedBILi4ELi4ELb0E19rocblas_complex_numIdES1_PKS1_PS1_Ev13rocblas_fill_18rocblas_operation_17rocblas_diagonal_iiT3_T4_lilT5_lili.private_seg_size, 0
	.set _ZL38rocblas_trsm_small_left_device_sharedBILi4ELi4ELb0E19rocblas_complex_numIdES1_PKS1_PS1_Ev13rocblas_fill_18rocblas_operation_17rocblas_diagonal_iiT3_T4_lilT5_lili.uses_vcc, 1
	.set _ZL38rocblas_trsm_small_left_device_sharedBILi4ELi4ELb0E19rocblas_complex_numIdES1_PKS1_PS1_Ev13rocblas_fill_18rocblas_operation_17rocblas_diagonal_iiT3_T4_lilT5_lili.uses_flat_scratch, 0
	.set _ZL38rocblas_trsm_small_left_device_sharedBILi4ELi4ELb0E19rocblas_complex_numIdES1_PKS1_PS1_Ev13rocblas_fill_18rocblas_operation_17rocblas_diagonal_iiT3_T4_lilT5_lili.has_dyn_sized_stack, 0
	.set _ZL38rocblas_trsm_small_left_device_sharedBILi4ELi4ELb0E19rocblas_complex_numIdES1_PKS1_PS1_Ev13rocblas_fill_18rocblas_operation_17rocblas_diagonal_iiT3_T4_lilT5_lili.has_recursion, 0
	.set _ZL38rocblas_trsm_small_left_device_sharedBILi4ELi4ELb0E19rocblas_complex_numIdES1_PKS1_PS1_Ev13rocblas_fill_18rocblas_operation_17rocblas_diagonal_iiT3_T4_lilT5_lili.has_indirect_call, 0
	.section	.AMDGPU.csdata,"",@progbits
; Kernel info:
; codeLenInByte = 2648
; TotalNumSgprs: 35
; NumVgprs: 21
; ScratchSize: 0
; MemoryBound: 0
; FloatMode: 240
; IeeeMode: 1
; LDSByteSize: 768 bytes/workgroup (compile time only)
; SGPRBlocks: 4
; VGPRBlocks: 5
; NumSGPRsForWavesPerEU: 35
; NumVGPRsForWavesPerEU: 21
; Occupancy: 10
; WaveLimiterHint : 0
; COMPUTE_PGM_RSRC2:SCRATCH_EN: 0
; COMPUTE_PGM_RSRC2:USER_SGPR: 8
; COMPUTE_PGM_RSRC2:TRAP_HANDLER: 0
; COMPUTE_PGM_RSRC2:TGID_X_EN: 1
; COMPUTE_PGM_RSRC2:TGID_Y_EN: 0
; COMPUTE_PGM_RSRC2:TGID_Z_EN: 1
; COMPUTE_PGM_RSRC2:TIDIG_COMP_CNT: 2
	.section	.text._ZL30rocblas_trsm_small_left_deviceILi4ELi4ELb0E19rocblas_complex_numIdES1_PKS1_PS1_Ev13rocblas_fill_18rocblas_operation_17rocblas_diagonal_iiT3_T4_lilT5_lili,"axG",@progbits,_ZL30rocblas_trsm_small_left_deviceILi4ELi4ELb0E19rocblas_complex_numIdES1_PKS1_PS1_Ev13rocblas_fill_18rocblas_operation_17rocblas_diagonal_iiT3_T4_lilT5_lili,comdat
	.globl	_ZL30rocblas_trsm_small_left_deviceILi4ELi4ELb0E19rocblas_complex_numIdES1_PKS1_PS1_Ev13rocblas_fill_18rocblas_operation_17rocblas_diagonal_iiT3_T4_lilT5_lili ; -- Begin function _ZL30rocblas_trsm_small_left_deviceILi4ELi4ELb0E19rocblas_complex_numIdES1_PKS1_PS1_Ev13rocblas_fill_18rocblas_operation_17rocblas_diagonal_iiT3_T4_lilT5_lili
	.p2align	8
	.type	_ZL30rocblas_trsm_small_left_deviceILi4ELi4ELb0E19rocblas_complex_numIdES1_PKS1_PS1_Ev13rocblas_fill_18rocblas_operation_17rocblas_diagonal_iiT3_T4_lilT5_lili,@function
_ZL30rocblas_trsm_small_left_deviceILi4ELi4ELb0E19rocblas_complex_numIdES1_PKS1_PS1_Ev13rocblas_fill_18rocblas_operation_17rocblas_diagonal_iiT3_T4_lilT5_lili: ; @_ZL30rocblas_trsm_small_left_deviceILi4ELi4ELb0E19rocblas_complex_numIdES1_PKS1_PS1_Ev13rocblas_fill_18rocblas_operation_17rocblas_diagonal_iiT3_T4_lilT5_lili
; %bb.0:
	s_load_dwordx4 s[20:23], s[6:7], 0x4
	s_load_dwordx8 s[12:19], s[6:7], 0x18
	s_load_dwordx4 s[0:3], s[6:7], 0x40
	s_load_dwordx2 s[10:11], s[6:7], 0x50
	s_load_dword s27, s[6:7], 0x70
	s_waitcnt lgkmcnt(0)
	s_min_i32 s26, s22, 4
	v_cmp_gt_i32_e32 vcc, s26, v0
	s_and_saveexec_b64 s[24:25], vcc
	s_cbranch_execz .LBB200_11
; %bb.1:
	s_load_dword s28, s[6:7], 0x38
	s_mul_i32 s1, s1, s9
	s_mul_hi_u32 s22, s0, s9
	s_mul_i32 s0, s0, s9
	v_lshlrev_b32_e32 v5, 4, v0
	s_waitcnt lgkmcnt(0)
	s_ashr_i32 s29, s28, 31
	s_cmpk_eq_i32 s20, 0x71
	s_cselect_b64 vcc, -1, 0
	s_add_i32 s1, s22, s1
	s_lshl_b64 s[0:1], s[0:1], 4
	s_lshl_b64 s[18:19], s[18:19], 4
	s_add_u32 s0, s0, s18
	s_addc_u32 s1, s1, s19
	s_add_u32 s0, s16, s0
	s_addc_u32 s1, s17, s1
	v_mov_b32_e32 v3, s1
	v_add_co_u32_e64 v4, s[0:1], s0, v5
	v_addc_co_u32_e64 v6, s[0:1], 0, v3, s[0:1]
	v_add_co_u32_e64 v3, s[0:1], 8, v4
	s_lshl_b64 s[16:17], s[28:29], 4
	v_addc_co_u32_e64 v4, s[0:1], 0, v6, s[0:1]
	v_mov_b32_e32 v6, s17
	v_mov_b32_e32 v7, v5
	s_mov_b32 s17, s26
.LBB200_2:                              ; =>This Inner Loop Header: Depth=1
	global_load_dwordx4 v[8:11], v[3:4], off offset:-8
	s_add_i32 s17, s17, -1
	v_add_co_u32_e64 v3, s[0:1], s16, v3
	v_addc_co_u32_e64 v4, s[0:1], v4, v6, s[0:1]
	s_cmp_eq_u32 s17, 0
	s_waitcnt vmcnt(0)
	v_xor_b32_e32 v12, 0x80000000, v11
	v_cndmask_b32_e32 v11, v11, v12, vcc
	ds_write_b128 v7, v[8:11]
	v_add_u32_e32 v7, 64, v7
	s_cbranch_scc0 .LBB200_2
; %bb.3:
	v_lshlrev_b32_e32 v3, 6, v0
	s_cmpk_lg_i32 s21, 0x84
	v_add_u32_e32 v11, v5, v3
	s_cbranch_scc0 .LBB200_9
; %bb.4:
	ds_read_b128 v[3:6], v11
                                        ; implicit-def: $vgpr9_vgpr10
	s_waitcnt lgkmcnt(0)
	v_cmp_ngt_f64_e64 s[0:1], |v[3:4]|, |v[5:6]|
	s_and_saveexec_b64 s[16:17], s[0:1]
	s_xor_b64 s[0:1], exec, s[16:17]
	s_cbranch_execz .LBB200_6
; %bb.5:
	v_div_scale_f64 v[7:8], s[16:17], v[5:6], v[5:6], v[3:4]
	v_rcp_f64_e32 v[9:10], v[7:8]
	v_fma_f64 v[12:13], -v[7:8], v[9:10], 1.0
	v_fma_f64 v[9:10], v[9:10], v[12:13], v[9:10]
	v_div_scale_f64 v[12:13], vcc, v[3:4], v[5:6], v[3:4]
	v_fma_f64 v[14:15], -v[7:8], v[9:10], 1.0
	v_fma_f64 v[9:10], v[9:10], v[14:15], v[9:10]
	v_mul_f64 v[14:15], v[12:13], v[9:10]
	v_fma_f64 v[7:8], -v[7:8], v[14:15], v[12:13]
	v_div_fmas_f64 v[7:8], v[7:8], v[9:10], v[14:15]
	v_div_fixup_f64 v[7:8], v[7:8], v[5:6], v[3:4]
	v_fma_f64 v[3:4], v[3:4], v[7:8], v[5:6]
	v_div_scale_f64 v[5:6], s[16:17], v[3:4], v[3:4], 1.0
	v_rcp_f64_e32 v[9:10], v[5:6]
	v_fma_f64 v[12:13], -v[5:6], v[9:10], 1.0
	v_fma_f64 v[9:10], v[9:10], v[12:13], v[9:10]
	v_div_scale_f64 v[12:13], vcc, 1.0, v[3:4], 1.0
	v_fma_f64 v[14:15], -v[5:6], v[9:10], 1.0
	v_fma_f64 v[9:10], v[9:10], v[14:15], v[9:10]
	v_mul_f64 v[14:15], v[12:13], v[9:10]
	v_fma_f64 v[5:6], -v[5:6], v[14:15], v[12:13]
	v_div_fmas_f64 v[5:6], v[5:6], v[9:10], v[14:15]
	v_add_f64 v[9:10], v[7:8], 0
	v_div_fixup_f64 v[3:4], v[5:6], v[3:4], 1.0
	v_fma_f64 v[5:6], v[7:8], 0, -1.0
	v_mul_f64 v[7:8], v[9:10], v[3:4]
	v_mul_f64 v[9:10], v[5:6], v[3:4]
                                        ; implicit-def: $vgpr3_vgpr4
.LBB200_6:
	s_andn2_saveexec_b64 s[0:1], s[0:1]
	s_cbranch_execz .LBB200_8
; %bb.7:
	v_div_scale_f64 v[7:8], s[16:17], v[3:4], v[3:4], v[5:6]
	v_rcp_f64_e32 v[9:10], v[7:8]
	v_fma_f64 v[12:13], -v[7:8], v[9:10], 1.0
	v_fma_f64 v[9:10], v[9:10], v[12:13], v[9:10]
	v_div_scale_f64 v[12:13], vcc, v[5:6], v[3:4], v[5:6]
	v_fma_f64 v[14:15], -v[7:8], v[9:10], 1.0
	v_fma_f64 v[9:10], v[9:10], v[14:15], v[9:10]
	v_mul_f64 v[14:15], v[12:13], v[9:10]
	v_fma_f64 v[7:8], -v[7:8], v[14:15], v[12:13]
	v_div_fmas_f64 v[7:8], v[7:8], v[9:10], v[14:15]
	v_div_fixup_f64 v[7:8], v[7:8], v[3:4], v[5:6]
	v_fma_f64 v[3:4], v[5:6], v[7:8], v[3:4]
	v_div_scale_f64 v[5:6], s[16:17], v[3:4], v[3:4], 1.0
	v_rcp_f64_e32 v[9:10], v[5:6]
	v_fma_f64 v[12:13], -v[5:6], v[9:10], 1.0
	v_fma_f64 v[9:10], v[9:10], v[12:13], v[9:10]
	v_div_scale_f64 v[12:13], vcc, 1.0, v[3:4], 1.0
	v_fma_f64 v[14:15], -v[5:6], v[9:10], 1.0
	v_fma_f64 v[9:10], v[9:10], v[14:15], v[9:10]
	v_mul_f64 v[14:15], v[12:13], v[9:10]
	v_fma_f64 v[5:6], -v[5:6], v[14:15], v[12:13]
	v_div_fmas_f64 v[5:6], v[5:6], v[9:10], v[14:15]
	v_fma_f64 v[9:10], v[7:8], 0, 1.0
	v_div_fixup_f64 v[3:4], v[5:6], v[3:4], 1.0
	v_add_f64 v[5:6], -v[7:8], 0
	v_mul_f64 v[7:8], v[9:10], v[3:4]
	v_mul_f64 v[9:10], v[5:6], v[3:4]
.LBB200_8:
	s_or_b64 exec, exec, s[0:1]
	s_branch .LBB200_10
.LBB200_9:
	v_mov_b32_e32 v9, 0
	v_mov_b32_e32 v7, 0
	;; [unrolled: 1-line block ×4, first 2 shown]
.LBB200_10:
	ds_write_b128 v11, v[7:10]
.LBB200_11:
	s_or_b64 exec, exec, s[24:25]
	s_lshl_b32 s16, s8, 2
	s_add_i32 s27, s27, -1
	s_sub_i32 s0, s23, s16
	s_cmp_ge_u32 s8, s27
	s_cselect_b32 s0, s0, 4
	v_cmp_gt_i32_e32 vcc, s0, v0
	s_waitcnt lgkmcnt(0)
	; wave barrier
	s_and_saveexec_b64 s[0:1], vcc
	s_cbranch_execz .LBB200_54
; %bb.12:
	s_load_dwordx2 s[0:1], s[4:5], 0x4
	s_load_dword s8, s[6:7], 0x58
	s_load_dwordx2 s[18:19], s[6:7], 0x60
	v_mov_b32_e32 v3, 0x100
	s_waitcnt lgkmcnt(0)
	s_lshr_b32 s0, s0, 16
	s_mul_i32 s0, s0, s1
	v_mul_u32_u24_e32 v1, s1, v1
	v_mul_u32_u24_e32 v4, s0, v0
	v_add3_u32 v1, v4, v1, v2
	s_mul_i32 s0, s19, s9
	s_mul_hi_u32 s1, s18, s9
	v_add_u32_e32 v0, s16, v0
	v_lshl_add_u32 v8, v1, 6, v3
	s_add_i32 s1, s1, s0
	s_mul_i32 s0, s18, s9
	v_mad_i64_i32 v[0:1], s[4:5], s8, v0, 0
	s_lshl_b64 s[0:1], s[0:1], 4
	s_add_u32 s6, s2, s0
	s_addc_u32 s7, s3, s1
	s_lshl_b64 s[4:5], s[10:11], 4
	s_add_u32 s6, s6, s4
	v_lshlrev_b64 v[4:5], 4, v[0:1]
	s_addc_u32 s7, s7, s5
	v_mov_b32_e32 v0, s7
	v_add_co_u32_e32 v9, vcc, s6, v4
	v_addc_co_u32_e32 v10, vcc, v0, v5, vcc
	s_cmpk_eq_i32 s20, 0x6f
	s_mov_b64 s[6:7], -1
	s_cbranch_scc1 .LBB200_34
; %bb.13:
	s_add_u32 s6, s2, s4
	s_addc_u32 s7, s3, s5
	s_add_u32 s6, s6, s0
	s_addc_u32 s7, s7, s1
	v_mov_b32_e32 v0, s7
	v_add_co_u32_e32 v1, vcc, s6, v4
	v_addc_co_u32_e32 v0, vcc, v0, v5, vcc
	v_add_co_u32_e32 v11, vcc, 8, v1
	s_mov_b32 s7, 0
	v_addc_co_u32_e32 v12, vcc, 0, v0, vcc
	s_mov_b32 s8, s7
	s_mov_b32 s10, s7
	s_branch .LBB200_15
.LBB200_14:                             ;   in Loop: Header=BB200_15 Depth=1
	s_cmp_ge_i32 s10, s26
	s_cselect_b64 s[16:17], -1, 0
	s_add_i32 s8, s8, 1
	s_cmp_eq_u32 s8, 3
	s_cselect_b64 s[18:19], -1, 0
	s_or_b64 s[16:17], s[16:17], s[18:19]
	s_andn2_b64 vcc, exec, s[16:17]
	s_cbranch_vccz .LBB200_33
.LBB200_15:                             ; =>This Loop Header: Depth=1
                                        ;     Child Loop BB200_18 Depth 2
                                        ;       Child Loop BB200_19 Depth 3
                                        ;       Child Loop BB200_22 Depth 3
                                        ;         Child Loop BB200_23 Depth 4
                                        ;       Child Loop BB200_27 Depth 3
                                        ;         Child Loop BB200_29 Depth 4
	s_mov_b32 s9, s7
	s_lshl_b64 s[16:17], s[8:9], 2
	s_getpc_b64 s[18:19]
	s_add_u32 s18, s18, __const._ZL30rocblas_trsm_small_left_deviceILi4ELi4ELb0E19rocblas_complex_numIdES1_PKS1_PS1_Ev13rocblas_fill_18rocblas_operation_17rocblas_diagonal_iiT3_T4_lilT5_lili.step_sizes@rel32@lo+4
	s_addc_u32 s19, s19, __const._ZL30rocblas_trsm_small_left_deviceILi4ELi4ELb0E19rocblas_complex_numIdES1_PKS1_PS1_Ev13rocblas_fill_18rocblas_operation_17rocblas_diagonal_iiT3_T4_lilT5_lili.step_sizes@rel32@hi+12
	s_add_u32 s16, s18, s16
	s_addc_u32 s17, s19, s17
	s_load_dword s16, s[16:17], 0x0
	s_waitcnt lgkmcnt(0)
	s_add_i32 s9, s16, -1
	s_add_i32 s6, s9, s10
	s_cmp_ge_i32 s6, s26
	s_cbranch_scc1 .LBB200_14
; %bb.16:                               ;   in Loop: Header=BB200_15 Depth=1
	s_ashr_i32 s11, s10, 31
	s_lshl_b64 s[18:19], s[10:11], 4
	v_mov_b32_e32 v0, s19
	v_add_co_u32_e32 v6, vcc, s18, v11
	s_ashr_i32 s17, s16, 31
	s_max_i32 s24, s16, 1
	v_addc_co_u32_e32 v7, vcc, v12, v0, vcc
	s_lshl_b64 s[18:19], s[16:17], 4
	s_lshl_b32 s11, s10, 6
	s_lshl_b32 s17, s16, 6
	s_mul_i32 s25, s10, 0x50
	s_mul_i32 s27, s16, 0x50
	s_branch .LBB200_18
.LBB200_17:                             ;   in Loop: Header=BB200_18 Depth=2
	s_add_i32 s10, s10, s16
	s_add_i32 s6, s9, s10
	v_mov_b32_e32 v0, s19
	s_add_i32 s11, s11, s17
	s_add_i32 s25, s25, s27
	v_add_co_u32_e32 v6, vcc, s18, v6
	s_cmp_ge_i32 s6, s26
	v_addc_co_u32_e32 v7, vcc, v7, v0, vcc
	s_cbranch_scc1 .LBB200_14
.LBB200_18:                             ;   Parent Loop BB200_15 Depth=1
                                        ; =>  This Loop Header: Depth=2
                                        ;       Child Loop BB200_19 Depth 3
                                        ;       Child Loop BB200_22 Depth 3
                                        ;         Child Loop BB200_23 Depth 4
                                        ;       Child Loop BB200_27 Depth 3
                                        ;         Child Loop BB200_29 Depth 4
	v_mov_b32_e32 v0, v6
	v_mov_b32_e32 v2, v8
	;; [unrolled: 1-line block ×3, first 2 shown]
	s_mov_b32 s6, s24
.LBB200_19:                             ;   Parent Loop BB200_15 Depth=1
                                        ;     Parent Loop BB200_18 Depth=2
                                        ; =>    This Inner Loop Header: Depth=3
	global_load_dwordx4 v[13:16], v[0:1], off offset:-8
	s_add_i32 s6, s6, -1
	v_add_co_u32_e32 v0, vcc, 16, v0
	v_addc_co_u32_e32 v1, vcc, 0, v1, vcc
	s_cmp_eq_u32 s6, 0
	s_waitcnt vmcnt(0)
	v_mul_f64 v[17:18], s[14:15], v[15:16]
	v_mul_f64 v[19:20], s[12:13], v[15:16]
	v_fma_f64 v[15:16], s[12:13], v[13:14], -v[17:18]
	v_fma_f64 v[17:18], s[14:15], v[13:14], v[19:20]
	ds_write_b128 v2, v[15:18]
	v_add_u32_e32 v2, 16, v2
	s_cbranch_scc0 .LBB200_19
; %bb.20:                               ;   in Loop: Header=BB200_18 Depth=2
	s_cmp_lt_i32 s10, 1
	s_cbranch_scc1 .LBB200_25
; %bb.21:                               ;   in Loop: Header=BB200_18 Depth=2
	s_mov_b32 s6, 0
	s_mov_b32 s20, s11
.LBB200_22:                             ;   Parent Loop BB200_15 Depth=1
                                        ;     Parent Loop BB200_18 Depth=2
                                        ; =>    This Loop Header: Depth=3
                                        ;         Child Loop BB200_23 Depth 4
	s_lshl_b64 s[22:23], s[6:7], 4
	v_mov_b32_e32 v1, s23
	v_add_co_u32_e32 v0, vcc, s22, v9
	v_addc_co_u32_e32 v1, vcc, v10, v1, vcc
	global_load_dwordx4 v[0:3], v[0:1], off
	v_mov_b32_e32 v13, v8
	s_mov_b32 s21, s20
	s_mov_b32 s22, s24
.LBB200_23:                             ;   Parent Loop BB200_15 Depth=1
                                        ;     Parent Loop BB200_18 Depth=2
                                        ;       Parent Loop BB200_22 Depth=3
                                        ; =>      This Inner Loop Header: Depth=4
	v_mov_b32_e32 v14, s21
	ds_read_b128 v[14:17], v14
	s_add_i32 s22, s22, -1
	s_add_i32 s21, s21, 64
	s_cmp_eq_u32 s22, 0
	s_waitcnt vmcnt(0) lgkmcnt(0)
	v_mul_f64 v[18:19], v[2:3], v[16:17]
	v_mul_f64 v[16:17], v[0:1], v[16:17]
	v_fma_f64 v[18:19], v[0:1], v[14:15], -v[18:19]
	v_fma_f64 v[20:21], v[2:3], v[14:15], v[16:17]
	ds_read_b128 v[14:17], v13
	s_waitcnt lgkmcnt(0)
	v_add_f64 v[14:15], v[14:15], -v[18:19]
	v_add_f64 v[16:17], v[16:17], -v[20:21]
	ds_write_b128 v13, v[14:17]
	v_add_u32_e32 v13, 16, v13
	s_cbranch_scc0 .LBB200_23
; %bb.24:                               ;   in Loop: Header=BB200_22 Depth=3
	s_add_i32 s6, s6, 1
	s_add_i32 s20, s20, 16
	s_cmp_eq_u32 s6, s10
	s_cbranch_scc0 .LBB200_22
.LBB200_25:                             ;   in Loop: Header=BB200_18 Depth=2
	s_mov_b32 s6, 0
	s_mov_b32 s28, s25
	s_branch .LBB200_27
.LBB200_26:                             ;   in Loop: Header=BB200_27 Depth=3
	s_mul_i32 s21, s20, 0x50
	v_mov_b32_e32 v14, s21
	ds_read_b128 v[14:17], v14
	s_ashr_i32 s21, s20, 31
	s_lshl_b64 s[20:21], s[20:21], 4
	s_add_i32 s6, s6, 1
	s_add_i32 s28, s28, 64
	s_waitcnt lgkmcnt(0)
	v_mul_f64 v[18:19], v[16:17], v[2:3]
	v_mul_f64 v[2:3], v[14:15], v[2:3]
	s_cmp_eq_u32 s6, s24
	v_fma_f64 v[14:15], v[14:15], v[0:1], -v[18:19]
	v_fma_f64 v[16:17], v[16:17], v[0:1], v[2:3]
	v_mov_b32_e32 v1, s21
	v_add_co_u32_e32 v0, vcc, s20, v9
	v_addc_co_u32_e32 v1, vcc, v10, v1, vcc
	ds_write_b128 v13, v[14:17]
	global_store_dwordx4 v[0:1], v[14:17], off
	s_cbranch_scc1 .LBB200_17
.LBB200_27:                             ;   Parent Loop BB200_15 Depth=1
                                        ;     Parent Loop BB200_18 Depth=2
                                        ; =>    This Loop Header: Depth=3
                                        ;         Child Loop BB200_29 Depth 4
	s_cmp_lg_u32 s6, 0
	v_lshl_add_u32 v13, s6, 4, v8
	s_cbranch_scc0 .LBB200_31
; %bb.28:                               ;   in Loop: Header=BB200_27 Depth=3
	ds_read_b128 v[0:3], v13
	s_add_i32 s20, s6, s10
	s_mov_b32 s21, s28
	v_mov_b32_e32 v14, v8
	s_mov_b32 s22, s6
.LBB200_29:                             ;   Parent Loop BB200_15 Depth=1
                                        ;     Parent Loop BB200_18 Depth=2
                                        ;       Parent Loop BB200_27 Depth=3
                                        ; =>      This Inner Loop Header: Depth=4
	v_mov_b32_e32 v19, s21
	ds_read_b128 v[15:18], v14
	ds_read_b128 v[19:22], v19
	s_add_i32 s22, s22, -1
	s_add_i32 s21, s21, 16
	v_add_u32_e32 v14, 16, v14
	s_cmp_eq_u32 s22, 0
	s_waitcnt lgkmcnt(0)
	v_mul_f64 v[23:24], v[21:22], v[17:18]
	v_mul_f64 v[17:18], v[19:20], v[17:18]
	v_fma_f64 v[19:20], v[19:20], v[15:16], -v[23:24]
	v_fma_f64 v[15:16], v[21:22], v[15:16], v[17:18]
	v_add_f64 v[0:1], v[0:1], -v[19:20]
	v_add_f64 v[2:3], v[2:3], -v[15:16]
	ds_write_b128 v13, v[0:3]
	s_cbranch_scc0 .LBB200_29
; %bb.30:                               ;   in Loop: Header=BB200_27 Depth=3
	s_branch .LBB200_26
.LBB200_31:                             ;   in Loop: Header=BB200_27 Depth=3
                                        ; implicit-def: $vgpr0_vgpr1
                                        ; implicit-def: $sgpr20
	s_cbranch_execz .LBB200_26
; %bb.32:                               ;   in Loop: Header=BB200_27 Depth=3
	ds_read_b128 v[0:3], v8
	s_mov_b32 s20, s10
	s_branch .LBB200_26
.LBB200_33:
	s_mov_b64 s[6:7], 0
.LBB200_34:
	s_and_b64 vcc, exec, s[6:7]
	s_cbranch_vccz .LBB200_54
; %bb.35:
	s_add_i32 s10, s26, -1
	s_add_u32 s2, s2, s4
	s_addc_u32 s3, s3, s5
	s_add_u32 s0, s2, s0
	s_addc_u32 s1, s3, s1
	v_mov_b32_e32 v0, s1
	v_add_co_u32_e32 v1, vcc, s0, v4
	v_addc_co_u32_e32 v0, vcc, v0, v5, vcc
	v_add_co_u32_e32 v4, vcc, 8, v1
	s_lshl_b32 s0, s26, 6
	s_mov_b32 s1, 0
	v_addc_co_u32_e32 v5, vcc, 0, v0, vcc
	s_sub_i32 s11, s0, 64
	s_mov_b32 s2, s10
	s_mov_b32 s0, s1
	s_branch .LBB200_37
.LBB200_36:                             ;   in Loop: Header=BB200_37 Depth=1
	s_cmp_lt_i32 s2, 0
	s_cselect_b64 s[4:5], -1, 0
	s_add_i32 s0, s0, 1
	s_cmp_eq_u32 s0, 3
	s_cselect_b64 s[6:7], -1, 0
	s_or_b64 s[4:5], s[4:5], s[6:7]
	s_and_b64 vcc, exec, s[4:5]
	s_cbranch_vccnz .LBB200_54
.LBB200_37:                             ; =>This Loop Header: Depth=1
                                        ;     Child Loop BB200_40 Depth 2
                                        ;       Child Loop BB200_41 Depth 3
                                        ;       Child Loop BB200_43 Depth 3
                                        ;         Child Loop BB200_44 Depth 4
                                        ;       Child Loop BB200_48 Depth 3
                                        ;         Child Loop BB200_50 Depth 4
	s_lshl_b64 s[4:5], s[0:1], 2
	s_getpc_b64 s[6:7]
	s_add_u32 s6, s6, __const._ZL30rocblas_trsm_small_left_deviceILi4ELi4ELb0E19rocblas_complex_numIdES1_PKS1_PS1_Ev13rocblas_fill_18rocblas_operation_17rocblas_diagonal_iiT3_T4_lilT5_lili.step_sizes@rel32@lo+4
	s_addc_u32 s7, s7, __const._ZL30rocblas_trsm_small_left_deviceILi4ELi4ELb0E19rocblas_complex_numIdES1_PKS1_PS1_Ev13rocblas_fill_18rocblas_operation_17rocblas_diagonal_iiT3_T4_lilT5_lili.step_sizes@rel32@hi+12
	s_add_u32 s4, s6, s4
	s_addc_u32 s5, s7, s5
	s_load_dword s16, s[4:5], 0x0
	s_waitcnt lgkmcnt(0)
	s_add_i32 s17, s16, -1
	s_cmp_lt_i32 s2, s17
	s_cbranch_scc1 .LBB200_36
; %bb.38:                               ;   in Loop: Header=BB200_37 Depth=1
	s_lshl_b32 s3, s2, 4
	s_add_i32 s19, s11, s3
	s_lshl_b32 s3, s16, 4
	s_max_i32 s18, s16, 1
	s_sub_i32 s20, 0, s3
	s_mul_i32 s21, s2, 0x50
	s_mul_i32 s22, s16, 0xffffffb0
	s_branch .LBB200_40
.LBB200_39:                             ;   in Loop: Header=BB200_40 Depth=2
	s_sub_i32 s2, s2, s16
	s_add_i32 s19, s19, s20
	s_add_i32 s21, s21, s22
	s_cmp_lt_i32 s2, s17
	s_cbranch_scc1 .LBB200_36
.LBB200_40:                             ;   Parent Loop BB200_37 Depth=1
                                        ; =>  This Loop Header: Depth=2
                                        ;       Child Loop BB200_41 Depth 3
                                        ;       Child Loop BB200_43 Depth 3
                                        ;         Child Loop BB200_44 Depth 4
                                        ;       Child Loop BB200_48 Depth 3
                                        ;         Child Loop BB200_50 Depth 4
	s_ashr_i32 s3, s2, 31
	s_lshl_b64 s[4:5], s[2:3], 4
	v_mov_b32_e32 v1, s5
	v_add_co_u32_e32 v0, vcc, s4, v4
	v_addc_co_u32_e32 v1, vcc, v5, v1, vcc
	v_mov_b32_e32 v2, v8
	s_mov_b32 s4, s18
.LBB200_41:                             ;   Parent Loop BB200_37 Depth=1
                                        ;     Parent Loop BB200_40 Depth=2
                                        ; =>    This Inner Loop Header: Depth=3
	global_load_dwordx4 v[11:14], v[0:1], off offset:-8
	s_add_i32 s4, s4, -1
	v_add_co_u32_e32 v0, vcc, -16, v0
	v_addc_co_u32_e32 v1, vcc, -1, v1, vcc
	s_cmp_eq_u32 s4, 0
	s_waitcnt vmcnt(0)
	v_mul_f64 v[6:7], s[14:15], v[13:14]
	v_mul_f64 v[15:16], s[12:13], v[13:14]
	v_fma_f64 v[13:14], s[12:13], v[11:12], -v[6:7]
	v_fma_f64 v[15:16], s[14:15], v[11:12], v[15:16]
	ds_write_b128 v2, v[13:16]
	v_add_u32_e32 v2, 16, v2
	s_cbranch_scc0 .LBB200_41
; %bb.42:                               ;   in Loop: Header=BB200_40 Depth=2
	s_cmp_le_i32 s10, s2
	s_mov_b32 s6, s19
	s_mov_b32 s4, s10
	s_cbranch_scc1 .LBB200_46
.LBB200_43:                             ;   Parent Loop BB200_37 Depth=1
                                        ;     Parent Loop BB200_40 Depth=2
                                        ; =>    This Loop Header: Depth=3
                                        ;         Child Loop BB200_44 Depth 4
	s_ashr_i32 s5, s4, 31
	s_lshl_b64 s[8:9], s[4:5], 4
	v_mov_b32_e32 v1, s9
	v_add_co_u32_e32 v0, vcc, s8, v9
	v_addc_co_u32_e32 v1, vcc, v10, v1, vcc
	global_load_dwordx4 v[0:3], v[0:1], off
	v_mov_b32_e32 v6, v8
	s_mov_b32 s5, s6
	s_mov_b32 s7, s18
.LBB200_44:                             ;   Parent Loop BB200_37 Depth=1
                                        ;     Parent Loop BB200_40 Depth=2
                                        ;       Parent Loop BB200_43 Depth=3
                                        ; =>      This Inner Loop Header: Depth=4
	v_mov_b32_e32 v7, s5
	ds_read_b128 v[11:14], v7
	s_add_i32 s7, s7, -1
	s_add_i32 s5, s5, -16
	s_cmp_eq_u32 s7, 0
	s_waitcnt vmcnt(0) lgkmcnt(0)
	v_mul_f64 v[15:16], v[2:3], v[13:14]
	v_mul_f64 v[13:14], v[0:1], v[13:14]
	v_fma_f64 v[15:16], v[0:1], v[11:12], -v[15:16]
	v_fma_f64 v[17:18], v[2:3], v[11:12], v[13:14]
	ds_read_b128 v[11:14], v6
	s_waitcnt lgkmcnt(0)
	v_add_f64 v[11:12], v[11:12], -v[15:16]
	v_add_f64 v[13:14], v[13:14], -v[17:18]
	ds_write_b128 v6, v[11:14]
	v_add_u32_e32 v6, 16, v6
	s_cbranch_scc0 .LBB200_44
; %bb.45:                               ;   in Loop: Header=BB200_43 Depth=3
	s_add_i32 s4, s4, -1
	s_sub_i32 s6, s6, 64
	s_cmp_le_i32 s4, s2
	s_cbranch_scc0 .LBB200_43
.LBB200_46:                             ;   in Loop: Header=BB200_40 Depth=2
	s_mov_b32 s23, 0
	s_mov_b32 s24, s21
	s_branch .LBB200_48
.LBB200_47:                             ;   in Loop: Header=BB200_48 Depth=3
	s_mulk_i32 s6, 0x50
	v_mov_b32_e32 v7, s6
	ds_read_b128 v[11:14], v7
	s_lshl_b64 s[4:5], s[4:5], 4
	s_add_i32 s23, s23, 1
	s_add_i32 s24, s24, -16
	s_cmp_eq_u32 s23, s18
	s_waitcnt lgkmcnt(0)
	v_mul_f64 v[15:16], v[13:14], v[2:3]
	v_mul_f64 v[2:3], v[11:12], v[2:3]
	v_fma_f64 v[11:12], v[11:12], v[0:1], -v[15:16]
	v_fma_f64 v[13:14], v[13:14], v[0:1], v[2:3]
	v_mov_b32_e32 v1, s5
	v_add_co_u32_e32 v0, vcc, s4, v9
	v_addc_co_u32_e32 v1, vcc, v10, v1, vcc
	ds_write_b128 v6, v[11:14]
	global_store_dwordx4 v[0:1], v[11:14], off
	s_cbranch_scc1 .LBB200_39
.LBB200_48:                             ;   Parent Loop BB200_37 Depth=1
                                        ;     Parent Loop BB200_40 Depth=2
                                        ; =>    This Loop Header: Depth=3
                                        ;         Child Loop BB200_50 Depth 4
	s_cmp_lg_u32 s23, 0
	v_lshl_add_u32 v6, s23, 4, v8
	s_cbranch_scc0 .LBB200_52
; %bb.49:                               ;   in Loop: Header=BB200_48 Depth=3
	ds_read_b128 v[0:3], v6
	v_mov_b32_e32 v7, v8
	s_mov_b32 s4, s24
	s_mov_b32 s5, s23
.LBB200_50:                             ;   Parent Loop BB200_37 Depth=1
                                        ;     Parent Loop BB200_40 Depth=2
                                        ;       Parent Loop BB200_48 Depth=3
                                        ; =>      This Inner Loop Header: Depth=4
	v_mov_b32_e32 v15, s4
	ds_read_b128 v[11:14], v7
	ds_read_b128 v[15:18], v15
	s_add_i32 s5, s5, -1
	s_sub_i32 s4, s4, 64
	v_add_u32_e32 v7, 16, v7
	s_cmp_eq_u32 s5, 0
	s_waitcnt lgkmcnt(0)
	v_mul_f64 v[19:20], v[17:18], v[13:14]
	v_mul_f64 v[13:14], v[15:16], v[13:14]
	v_fma_f64 v[15:16], v[15:16], v[11:12], -v[19:20]
	v_fma_f64 v[11:12], v[17:18], v[11:12], v[13:14]
	v_add_f64 v[0:1], v[0:1], -v[15:16]
	v_add_f64 v[2:3], v[2:3], -v[11:12]
	ds_write_b128 v6, v[0:3]
	s_cbranch_scc0 .LBB200_50
; %bb.51:                               ;   in Loop: Header=BB200_48 Depth=3
	s_sub_i32 s6, s2, s23
	s_ashr_i32 s7, s6, 31
	s_mov_b64 s[4:5], s[6:7]
	s_branch .LBB200_47
.LBB200_52:                             ;   in Loop: Header=BB200_48 Depth=3
                                        ; implicit-def: $vgpr0_vgpr1
                                        ; implicit-def: $sgpr6
                                        ; implicit-def: $sgpr4_sgpr5
	s_cbranch_execz .LBB200_47
; %bb.53:                               ;   in Loop: Header=BB200_48 Depth=3
	ds_read_b128 v[0:3], v8
	s_mov_b64 s[4:5], s[2:3]
	s_mov_b32 s6, s2
	s_branch .LBB200_47
.LBB200_54:
	s_endpgm
	.section	.rodata,"a",@progbits
	.p2align	6, 0x0
	.amdhsa_kernel _ZL30rocblas_trsm_small_left_deviceILi4ELi4ELb0E19rocblas_complex_numIdES1_PKS1_PS1_Ev13rocblas_fill_18rocblas_operation_17rocblas_diagonal_iiT3_T4_lilT5_lili
		.amdhsa_group_segment_fixed_size 512
		.amdhsa_private_segment_fixed_size 0
		.amdhsa_kernarg_size 368
		.amdhsa_user_sgpr_count 8
		.amdhsa_user_sgpr_private_segment_buffer 1
		.amdhsa_user_sgpr_dispatch_ptr 1
		.amdhsa_user_sgpr_queue_ptr 0
		.amdhsa_user_sgpr_kernarg_segment_ptr 1
		.amdhsa_user_sgpr_dispatch_id 0
		.amdhsa_user_sgpr_flat_scratch_init 0
		.amdhsa_user_sgpr_private_segment_size 0
		.amdhsa_uses_dynamic_stack 0
		.amdhsa_system_sgpr_private_segment_wavefront_offset 0
		.amdhsa_system_sgpr_workgroup_id_x 1
		.amdhsa_system_sgpr_workgroup_id_y 0
		.amdhsa_system_sgpr_workgroup_id_z 1
		.amdhsa_system_sgpr_workgroup_info 0
		.amdhsa_system_vgpr_workitem_id 2
		.amdhsa_next_free_vgpr 25
		.amdhsa_next_free_sgpr 30
		.amdhsa_reserve_vcc 1
		.amdhsa_reserve_flat_scratch 0
		.amdhsa_float_round_mode_32 0
		.amdhsa_float_round_mode_16_64 0
		.amdhsa_float_denorm_mode_32 3
		.amdhsa_float_denorm_mode_16_64 3
		.amdhsa_dx10_clamp 1
		.amdhsa_ieee_mode 1
		.amdhsa_fp16_overflow 0
		.amdhsa_exception_fp_ieee_invalid_op 0
		.amdhsa_exception_fp_denorm_src 0
		.amdhsa_exception_fp_ieee_div_zero 0
		.amdhsa_exception_fp_ieee_overflow 0
		.amdhsa_exception_fp_ieee_underflow 0
		.amdhsa_exception_fp_ieee_inexact 0
		.amdhsa_exception_int_div_zero 0
	.end_amdhsa_kernel
	.section	.text._ZL30rocblas_trsm_small_left_deviceILi4ELi4ELb0E19rocblas_complex_numIdES1_PKS1_PS1_Ev13rocblas_fill_18rocblas_operation_17rocblas_diagonal_iiT3_T4_lilT5_lili,"axG",@progbits,_ZL30rocblas_trsm_small_left_deviceILi4ELi4ELb0E19rocblas_complex_numIdES1_PKS1_PS1_Ev13rocblas_fill_18rocblas_operation_17rocblas_diagonal_iiT3_T4_lilT5_lili,comdat
.Lfunc_end200:
	.size	_ZL30rocblas_trsm_small_left_deviceILi4ELi4ELb0E19rocblas_complex_numIdES1_PKS1_PS1_Ev13rocblas_fill_18rocblas_operation_17rocblas_diagonal_iiT3_T4_lilT5_lili, .Lfunc_end200-_ZL30rocblas_trsm_small_left_deviceILi4ELi4ELb0E19rocblas_complex_numIdES1_PKS1_PS1_Ev13rocblas_fill_18rocblas_operation_17rocblas_diagonal_iiT3_T4_lilT5_lili
                                        ; -- End function
	.set _ZL30rocblas_trsm_small_left_deviceILi4ELi4ELb0E19rocblas_complex_numIdES1_PKS1_PS1_Ev13rocblas_fill_18rocblas_operation_17rocblas_diagonal_iiT3_T4_lilT5_lili.num_vgpr, 25
	.set _ZL30rocblas_trsm_small_left_deviceILi4ELi4ELb0E19rocblas_complex_numIdES1_PKS1_PS1_Ev13rocblas_fill_18rocblas_operation_17rocblas_diagonal_iiT3_T4_lilT5_lili.num_agpr, 0
	.set _ZL30rocblas_trsm_small_left_deviceILi4ELi4ELb0E19rocblas_complex_numIdES1_PKS1_PS1_Ev13rocblas_fill_18rocblas_operation_17rocblas_diagonal_iiT3_T4_lilT5_lili.numbered_sgpr, 30
	.set _ZL30rocblas_trsm_small_left_deviceILi4ELi4ELb0E19rocblas_complex_numIdES1_PKS1_PS1_Ev13rocblas_fill_18rocblas_operation_17rocblas_diagonal_iiT3_T4_lilT5_lili.num_named_barrier, 0
	.set _ZL30rocblas_trsm_small_left_deviceILi4ELi4ELb0E19rocblas_complex_numIdES1_PKS1_PS1_Ev13rocblas_fill_18rocblas_operation_17rocblas_diagonal_iiT3_T4_lilT5_lili.private_seg_size, 0
	.set _ZL30rocblas_trsm_small_left_deviceILi4ELi4ELb0E19rocblas_complex_numIdES1_PKS1_PS1_Ev13rocblas_fill_18rocblas_operation_17rocblas_diagonal_iiT3_T4_lilT5_lili.uses_vcc, 1
	.set _ZL30rocblas_trsm_small_left_deviceILi4ELi4ELb0E19rocblas_complex_numIdES1_PKS1_PS1_Ev13rocblas_fill_18rocblas_operation_17rocblas_diagonal_iiT3_T4_lilT5_lili.uses_flat_scratch, 0
	.set _ZL30rocblas_trsm_small_left_deviceILi4ELi4ELb0E19rocblas_complex_numIdES1_PKS1_PS1_Ev13rocblas_fill_18rocblas_operation_17rocblas_diagonal_iiT3_T4_lilT5_lili.has_dyn_sized_stack, 0
	.set _ZL30rocblas_trsm_small_left_deviceILi4ELi4ELb0E19rocblas_complex_numIdES1_PKS1_PS1_Ev13rocblas_fill_18rocblas_operation_17rocblas_diagonal_iiT3_T4_lilT5_lili.has_recursion, 0
	.set _ZL30rocblas_trsm_small_left_deviceILi4ELi4ELb0E19rocblas_complex_numIdES1_PKS1_PS1_Ev13rocblas_fill_18rocblas_operation_17rocblas_diagonal_iiT3_T4_lilT5_lili.has_indirect_call, 0
	.section	.AMDGPU.csdata,"",@progbits
; Kernel info:
; codeLenInByte = 2532
; TotalNumSgprs: 34
; NumVgprs: 25
; ScratchSize: 0
; MemoryBound: 0
; FloatMode: 240
; IeeeMode: 1
; LDSByteSize: 512 bytes/workgroup (compile time only)
; SGPRBlocks: 4
; VGPRBlocks: 6
; NumSGPRsForWavesPerEU: 34
; NumVGPRsForWavesPerEU: 25
; Occupancy: 9
; WaveLimiterHint : 0
; COMPUTE_PGM_RSRC2:SCRATCH_EN: 0
; COMPUTE_PGM_RSRC2:USER_SGPR: 8
; COMPUTE_PGM_RSRC2:TRAP_HANDLER: 0
; COMPUTE_PGM_RSRC2:TGID_X_EN: 1
; COMPUTE_PGM_RSRC2:TGID_Y_EN: 0
; COMPUTE_PGM_RSRC2:TGID_Z_EN: 1
; COMPUTE_PGM_RSRC2:TIDIG_COMP_CNT: 2
	.section	.text._ZL38rocblas_trsm_small_left_device_sharedBILi4ELi4ELb1E19rocblas_complex_numIdES1_PKS1_PS1_Ev13rocblas_fill_18rocblas_operation_17rocblas_diagonal_iiT3_T4_lilT5_lili,"axG",@progbits,_ZL38rocblas_trsm_small_left_device_sharedBILi4ELi4ELb1E19rocblas_complex_numIdES1_PKS1_PS1_Ev13rocblas_fill_18rocblas_operation_17rocblas_diagonal_iiT3_T4_lilT5_lili,comdat
	.globl	_ZL38rocblas_trsm_small_left_device_sharedBILi4ELi4ELb1E19rocblas_complex_numIdES1_PKS1_PS1_Ev13rocblas_fill_18rocblas_operation_17rocblas_diagonal_iiT3_T4_lilT5_lili ; -- Begin function _ZL38rocblas_trsm_small_left_device_sharedBILi4ELi4ELb1E19rocblas_complex_numIdES1_PKS1_PS1_Ev13rocblas_fill_18rocblas_operation_17rocblas_diagonal_iiT3_T4_lilT5_lili
	.p2align	8
	.type	_ZL38rocblas_trsm_small_left_device_sharedBILi4ELi4ELb1E19rocblas_complex_numIdES1_PKS1_PS1_Ev13rocblas_fill_18rocblas_operation_17rocblas_diagonal_iiT3_T4_lilT5_lili,@function
_ZL38rocblas_trsm_small_left_device_sharedBILi4ELi4ELb1E19rocblas_complex_numIdES1_PKS1_PS1_Ev13rocblas_fill_18rocblas_operation_17rocblas_diagonal_iiT3_T4_lilT5_lili: ; @_ZL38rocblas_trsm_small_left_device_sharedBILi4ELi4ELb1E19rocblas_complex_numIdES1_PKS1_PS1_Ev13rocblas_fill_18rocblas_operation_17rocblas_diagonal_iiT3_T4_lilT5_lili
; %bb.0:
	s_load_dwordx4 s[20:23], s[6:7], 0x4
	s_load_dwordx8 s[12:19], s[6:7], 0x18
	s_load_dwordx4 s[0:3], s[6:7], 0x40
	s_load_dwordx2 s[10:11], s[6:7], 0x50
	s_load_dword s27, s[6:7], 0x70
	s_waitcnt lgkmcnt(0)
	s_min_i32 s26, s22, 4
	v_cmp_gt_i32_e32 vcc, s26, v0
	s_and_saveexec_b64 s[24:25], vcc
	s_cbranch_execz .LBB201_11
; %bb.1:
	s_load_dword s28, s[6:7], 0x38
	s_mul_i32 s1, s1, s9
	s_mul_hi_u32 s30, s0, s9
	s_mul_i32 s0, s0, s9
	v_lshlrev_b32_e32 v5, 4, v0
	s_waitcnt lgkmcnt(0)
	s_ashr_i32 s29, s28, 31
	s_cmpk_eq_i32 s20, 0x71
	s_cselect_b64 vcc, -1, 0
	s_add_i32 s1, s30, s1
	s_lshl_b64 s[0:1], s[0:1], 4
	s_lshl_b64 s[18:19], s[18:19], 4
	s_add_u32 s0, s0, s18
	s_addc_u32 s1, s1, s19
	s_add_u32 s0, s16, s0
	s_addc_u32 s1, s17, s1
	v_mov_b32_e32 v3, s1
	v_add_co_u32_e64 v4, s[0:1], s0, v5
	v_addc_co_u32_e64 v6, s[0:1], 0, v3, s[0:1]
	v_add_co_u32_e64 v3, s[0:1], 8, v4
	s_lshl_b64 s[16:17], s[28:29], 4
	v_addc_co_u32_e64 v4, s[0:1], 0, v6, s[0:1]
	v_mov_b32_e32 v6, s17
	v_mov_b32_e32 v7, v5
	s_mov_b32 s17, s26
.LBB201_2:                              ; =>This Inner Loop Header: Depth=1
	global_load_dwordx4 v[8:11], v[3:4], off offset:-8
	s_add_i32 s17, s17, -1
	v_add_co_u32_e64 v3, s[0:1], s16, v3
	v_addc_co_u32_e64 v4, s[0:1], v4, v6, s[0:1]
	s_cmp_eq_u32 s17, 0
	s_waitcnt vmcnt(0)
	v_xor_b32_e32 v12, 0x80000000, v11
	v_cndmask_b32_e32 v11, v11, v12, vcc
	ds_write_b128 v7, v[8:11]
	v_add_u32_e32 v7, 64, v7
	s_cbranch_scc0 .LBB201_2
; %bb.3:
	v_lshlrev_b32_e32 v3, 6, v0
	s_cmpk_lg_i32 s21, 0x84
	v_add_u32_e32 v11, v5, v3
	s_cbranch_scc0 .LBB201_9
; %bb.4:
	ds_read_b128 v[3:6], v11
                                        ; implicit-def: $vgpr9_vgpr10
	s_waitcnt lgkmcnt(0)
	v_cmp_ngt_f64_e64 s[0:1], |v[3:4]|, |v[5:6]|
	s_and_saveexec_b64 s[16:17], s[0:1]
	s_xor_b64 s[0:1], exec, s[16:17]
	s_cbranch_execz .LBB201_6
; %bb.5:
	v_div_scale_f64 v[7:8], s[16:17], v[5:6], v[5:6], v[3:4]
	v_rcp_f64_e32 v[9:10], v[7:8]
	v_fma_f64 v[12:13], -v[7:8], v[9:10], 1.0
	v_fma_f64 v[9:10], v[9:10], v[12:13], v[9:10]
	v_div_scale_f64 v[12:13], vcc, v[3:4], v[5:6], v[3:4]
	v_fma_f64 v[14:15], -v[7:8], v[9:10], 1.0
	v_fma_f64 v[9:10], v[9:10], v[14:15], v[9:10]
	v_mul_f64 v[14:15], v[12:13], v[9:10]
	v_fma_f64 v[7:8], -v[7:8], v[14:15], v[12:13]
	v_div_fmas_f64 v[7:8], v[7:8], v[9:10], v[14:15]
	v_div_fixup_f64 v[7:8], v[7:8], v[5:6], v[3:4]
	v_fma_f64 v[3:4], v[3:4], v[7:8], v[5:6]
	v_div_scale_f64 v[5:6], s[16:17], v[3:4], v[3:4], 1.0
	v_rcp_f64_e32 v[9:10], v[5:6]
	v_fma_f64 v[12:13], -v[5:6], v[9:10], 1.0
	v_fma_f64 v[9:10], v[9:10], v[12:13], v[9:10]
	v_div_scale_f64 v[12:13], vcc, 1.0, v[3:4], 1.0
	v_fma_f64 v[14:15], -v[5:6], v[9:10], 1.0
	v_fma_f64 v[9:10], v[9:10], v[14:15], v[9:10]
	v_mul_f64 v[14:15], v[12:13], v[9:10]
	v_fma_f64 v[5:6], -v[5:6], v[14:15], v[12:13]
	v_div_fmas_f64 v[5:6], v[5:6], v[9:10], v[14:15]
	v_add_f64 v[9:10], v[7:8], 0
	v_div_fixup_f64 v[3:4], v[5:6], v[3:4], 1.0
	v_fma_f64 v[5:6], v[7:8], 0, -1.0
	v_mul_f64 v[7:8], v[9:10], v[3:4]
	v_mul_f64 v[9:10], v[5:6], v[3:4]
                                        ; implicit-def: $vgpr3_vgpr4
.LBB201_6:
	s_andn2_saveexec_b64 s[0:1], s[0:1]
	s_cbranch_execz .LBB201_8
; %bb.7:
	v_div_scale_f64 v[7:8], s[16:17], v[3:4], v[3:4], v[5:6]
	v_rcp_f64_e32 v[9:10], v[7:8]
	v_fma_f64 v[12:13], -v[7:8], v[9:10], 1.0
	v_fma_f64 v[9:10], v[9:10], v[12:13], v[9:10]
	v_div_scale_f64 v[12:13], vcc, v[5:6], v[3:4], v[5:6]
	v_fma_f64 v[14:15], -v[7:8], v[9:10], 1.0
	v_fma_f64 v[9:10], v[9:10], v[14:15], v[9:10]
	v_mul_f64 v[14:15], v[12:13], v[9:10]
	v_fma_f64 v[7:8], -v[7:8], v[14:15], v[12:13]
	v_div_fmas_f64 v[7:8], v[7:8], v[9:10], v[14:15]
	v_div_fixup_f64 v[7:8], v[7:8], v[3:4], v[5:6]
	v_fma_f64 v[3:4], v[5:6], v[7:8], v[3:4]
	v_div_scale_f64 v[5:6], s[16:17], v[3:4], v[3:4], 1.0
	v_rcp_f64_e32 v[9:10], v[5:6]
	v_fma_f64 v[12:13], -v[5:6], v[9:10], 1.0
	v_fma_f64 v[9:10], v[9:10], v[12:13], v[9:10]
	v_div_scale_f64 v[12:13], vcc, 1.0, v[3:4], 1.0
	v_fma_f64 v[14:15], -v[5:6], v[9:10], 1.0
	v_fma_f64 v[9:10], v[9:10], v[14:15], v[9:10]
	v_mul_f64 v[14:15], v[12:13], v[9:10]
	v_fma_f64 v[5:6], -v[5:6], v[14:15], v[12:13]
	v_div_fmas_f64 v[5:6], v[5:6], v[9:10], v[14:15]
	v_fma_f64 v[9:10], v[7:8], 0, 1.0
	v_div_fixup_f64 v[3:4], v[5:6], v[3:4], 1.0
	v_add_f64 v[5:6], -v[7:8], 0
	v_mul_f64 v[7:8], v[9:10], v[3:4]
	v_mul_f64 v[9:10], v[5:6], v[3:4]
.LBB201_8:
	s_or_b64 exec, exec, s[0:1]
	s_branch .LBB201_10
.LBB201_9:
	v_mov_b32_e32 v9, 0
	v_mov_b32_e32 v7, 0
	;; [unrolled: 1-line block ×4, first 2 shown]
.LBB201_10:
	ds_write_b128 v11, v[7:10]
.LBB201_11:
	s_or_b64 exec, exec, s[24:25]
	s_load_dword s21, s[6:7], 0x58
	s_load_dwordx2 s[0:1], s[6:7], 0x60
	s_add_i32 s27, s27, -1
	s_waitcnt lgkmcnt(0)
	s_ashr_i32 s24, s21, 31
	s_mul_i32 s1, s1, s9
	s_mul_hi_u32 s6, s0, s9
	s_add_i32 s17, s6, s1
	s_lshl_b32 s6, s8, 2
	s_mul_i32 s16, s0, s9
	s_sub_i32 s0, s23, s6
	s_cmp_ge_u32 s8, s27
	s_cselect_b32 s0, s0, 4
	s_ashr_i32 s7, s6, 31
	s_cmp_gt_i32 s22, 0
	v_cmp_gt_i32_e64 s[0:1], s0, v0
	s_cselect_b64 s[8:9], -1, 0
	s_and_b64 s[22:23], s[0:1], s[8:9]
	s_and_saveexec_b64 s[18:19], s[22:23]
	s_cbranch_execz .LBB201_14
; %bb.12:
	v_lshlrev_b32_e32 v5, 4, v0
	s_lshl_b64 s[28:29], s[6:7], 4
	s_lshl_b64 s[22:23], s[16:17], 4
	v_mov_b32_e32 v3, s29
	v_add_co_u32_e32 v6, vcc, s28, v5
	s_lshl_b64 s[28:29], s[10:11], 4
	s_add_u32 s7, s2, s28
	s_addc_u32 s25, s3, s29
	s_add_u32 s22, s7, s22
	v_addc_co_u32_e32 v7, vcc, 0, v3, vcc
	s_addc_u32 s23, s25, s23
	v_mov_b32_e32 v3, s22
	v_mov_b32_e32 v4, s23
	v_mad_u64_u32 v[3:4], s[22:23], v6, s21, v[3:4]
	v_mul_lo_u32 v6, v6, s24
	v_mul_lo_u32 v7, v7, s21
	v_add_co_u32_e32 v3, vcc, 8, v3
	v_or_b32_e32 v5, 0x100, v5
	v_add3_u32 v4, v7, v4, v6
	v_addc_co_u32_e32 v4, vcc, 0, v4, vcc
	s_mov_b32 s7, s26
.LBB201_13:                             ; =>This Inner Loop Header: Depth=1
	global_load_dwordx4 v[6:9], v[3:4], off offset:-8
	s_add_i32 s7, s7, -1
	v_add_co_u32_e32 v3, vcc, 16, v3
	v_addc_co_u32_e32 v4, vcc, 0, v4, vcc
	s_cmp_lg_u32 s7, 0
	s_waitcnt vmcnt(0)
	v_mul_f64 v[10:11], s[14:15], v[8:9]
	v_mul_f64 v[12:13], s[12:13], v[8:9]
	v_fma_f64 v[8:9], s[12:13], v[6:7], -v[10:11]
	v_fma_f64 v[10:11], s[14:15], v[6:7], v[12:13]
	ds_write_b128 v5, v[8:11]
	v_add_u32_e32 v5, 64, v5
	s_cbranch_scc1 .LBB201_13
.LBB201_14:
	s_or_b64 exec, exec, s[18:19]
	s_load_dwordx2 s[12:13], s[4:5], 0x4
	v_mov_b32_e32 v3, 0x200
	s_waitcnt lgkmcnt(0)
	; wave barrier
	s_lshr_b32 s4, s12, 16
	s_mul_i32 s4, s4, s13
	v_mul_u32_u24_e32 v1, s13, v1
	v_mul_u32_u24_e32 v4, s4, v0
	v_add3_u32 v1, v4, v1, v2
	v_lshl_add_u32 v5, v1, 6, v3
	v_mov_b32_e32 v1, 0x100
	s_cmpk_eq_i32 s20, 0x6f
	v_lshl_or_b32 v6, v0, 4, v1
	s_mov_b64 s[4:5], -1
	s_cbranch_scc1 .LBB201_35
; %bb.15:
	s_add_i32 s7, s26, -1
	s_lshl_b32 s14, s26, 4
	s_mov_b32 s5, 0
	s_add_i32 s14, s14, -16
	s_mov_b32 s4, s5
	s_mov_b32 s15, s7
	s_branch .LBB201_17
.LBB201_16:                             ;   in Loop: Header=BB201_17 Depth=1
	s_cmp_lt_i32 s15, 0
	s_cselect_b64 s[12:13], -1, 0
	s_add_i32 s4, s4, 1
	s_cmp_eq_u32 s4, 3
	s_cselect_b64 s[18:19], -1, 0
	s_or_b64 s[12:13], s[12:13], s[18:19]
	s_andn2_b64 vcc, exec, s[12:13]
	s_cbranch_vccz .LBB201_34
.LBB201_17:                             ; =>This Loop Header: Depth=1
                                        ;     Child Loop BB201_20 Depth 2
                                        ;       Child Loop BB201_21 Depth 3
                                        ;       Child Loop BB201_23 Depth 3
                                        ;         Child Loop BB201_24 Depth 4
                                        ;       Child Loop BB201_28 Depth 3
                                        ;         Child Loop BB201_30 Depth 4
	s_lshl_b64 s[12:13], s[4:5], 2
	s_getpc_b64 s[18:19]
	s_add_u32 s18, s18, __const._ZL38rocblas_trsm_small_left_device_sharedBILi4ELi4ELb1E19rocblas_complex_numIdES1_PKS1_PS1_Ev13rocblas_fill_18rocblas_operation_17rocblas_diagonal_iiT3_T4_lilT5_lili.step_sizes@rel32@lo+4
	s_addc_u32 s19, s19, __const._ZL38rocblas_trsm_small_left_device_sharedBILi4ELi4ELb1E19rocblas_complex_numIdES1_PKS1_PS1_Ev13rocblas_fill_18rocblas_operation_17rocblas_diagonal_iiT3_T4_lilT5_lili.step_sizes@rel32@hi+12
	s_add_u32 s12, s18, s12
	s_addc_u32 s13, s19, s13
	s_load_dword s18, s[12:13], 0x0
	s_waitcnt lgkmcnt(0)
	s_add_i32 s19, s18, -1
	s_cmp_lt_i32 s15, s19
	s_cbranch_scc1 .LBB201_16
; %bb.18:                               ;   in Loop: Header=BB201_17 Depth=1
	s_lshl_b32 s12, s15, 6
	s_lshl_b32 s13, s18, 6
	s_max_i32 s20, s18, 1
	v_add_u32_e32 v7, s12, v6
	s_sub_i32 s22, 0, s13
	s_add_i32 s23, s14, s12
	s_mul_i32 s24, s15, 0x50
	s_mul_i32 s25, s18, 0xffffffb0
	s_branch .LBB201_20
.LBB201_19:                             ;   in Loop: Header=BB201_20 Depth=2
	s_sub_i32 s15, s15, s18
	s_add_i32 s23, s23, s22
	s_add_i32 s24, s24, s25
	s_cmp_lt_i32 s15, s19
	v_add_u32_e32 v7, s22, v7
	s_cbranch_scc1 .LBB201_16
.LBB201_20:                             ;   Parent Loop BB201_17 Depth=1
                                        ; =>  This Loop Header: Depth=2
                                        ;       Child Loop BB201_21 Depth 3
                                        ;       Child Loop BB201_23 Depth 3
                                        ;         Child Loop BB201_24 Depth 4
                                        ;       Child Loop BB201_28 Depth 3
                                        ;         Child Loop BB201_30 Depth 4
	v_mov_b32_e32 v1, v5
	v_mov_b32_e32 v2, v7
	s_mov_b32 s12, s20
.LBB201_21:                             ;   Parent Loop BB201_17 Depth=1
                                        ;     Parent Loop BB201_20 Depth=2
                                        ; =>    This Inner Loop Header: Depth=3
	ds_read_b128 v[8:11], v2
	s_add_i32 s12, s12, -1
	v_subrev_u32_e32 v2, 64, v2
	s_cmp_eq_u32 s12, 0
	s_waitcnt lgkmcnt(0)
	ds_write_b128 v1, v[8:11]
	v_add_u32_e32 v1, 16, v1
	s_cbranch_scc0 .LBB201_21
; %bb.22:                               ;   in Loop: Header=BB201_20 Depth=2
	s_cmp_le_i32 s7, s15
	s_mov_b32 s12, s23
	s_mov_b32 s13, s7
	s_cbranch_scc1 .LBB201_26
.LBB201_23:                             ;   Parent Loop BB201_17 Depth=1
                                        ;     Parent Loop BB201_20 Depth=2
                                        ; =>    This Loop Header: Depth=3
                                        ;         Child Loop BB201_24 Depth 4
	v_lshl_add_u32 v1, s13, 6, v6
	ds_read_b128 v[1:4], v1
	v_mov_b32_e32 v8, v5
	s_mov_b32 s27, s12
	s_mov_b32 s28, s20
.LBB201_24:                             ;   Parent Loop BB201_17 Depth=1
                                        ;     Parent Loop BB201_20 Depth=2
                                        ;       Parent Loop BB201_23 Depth=3
                                        ; =>      This Inner Loop Header: Depth=4
	v_mov_b32_e32 v9, s27
	ds_read_b128 v[9:12], v9
	s_add_i32 s28, s28, -1
	s_sub_i32 s27, s27, 64
	s_cmp_eq_u32 s28, 0
	s_waitcnt lgkmcnt(0)
	v_mul_f64 v[13:14], v[3:4], v[11:12]
	v_mul_f64 v[11:12], v[1:2], v[11:12]
	v_fma_f64 v[13:14], v[1:2], v[9:10], -v[13:14]
	v_fma_f64 v[15:16], v[3:4], v[9:10], v[11:12]
	ds_read_b128 v[9:12], v8
	s_waitcnt lgkmcnt(0)
	v_add_f64 v[9:10], v[9:10], -v[13:14]
	v_add_f64 v[11:12], v[11:12], -v[15:16]
	ds_write_b128 v8, v[9:12]
	v_add_u32_e32 v8, 16, v8
	s_cbranch_scc0 .LBB201_24
; %bb.25:                               ;   in Loop: Header=BB201_23 Depth=3
	s_add_i32 s13, s13, -1
	s_add_i32 s12, s12, -16
	s_cmp_le_i32 s13, s15
	s_cbranch_scc0 .LBB201_23
.LBB201_26:                             ;   in Loop: Header=BB201_20 Depth=2
	s_lshl_b32 s27, s15, 6
	s_mov_b32 s28, 0
	s_mov_b32 s29, s24
	s_branch .LBB201_28
.LBB201_27:                             ;   in Loop: Header=BB201_28 Depth=3
	s_mul_i32 s12, s31, 0x50
	v_mov_b32_e32 v9, s12
	ds_read_b128 v[9:12], v9
	s_add_i32 s28, s28, 1
	s_sub_i32 s29, s29, 64
	s_cmp_eq_u32 s28, s20
	s_waitcnt lgkmcnt(0)
	v_mul_f64 v[13:14], v[11:12], v[3:4]
	v_mul_f64 v[3:4], v[9:10], v[3:4]
	v_fma_f64 v[9:10], v[9:10], v[1:2], -v[13:14]
	v_fma_f64 v[11:12], v[11:12], v[1:2], v[3:4]
	v_add_u32_e32 v1, s30, v6
	ds_write_b128 v8, v[9:12]
	ds_write_b128 v1, v[9:12]
	s_cbranch_scc1 .LBB201_19
.LBB201_28:                             ;   Parent Loop BB201_17 Depth=1
                                        ;     Parent Loop BB201_20 Depth=2
                                        ; =>    This Loop Header: Depth=3
                                        ;         Child Loop BB201_30 Depth 4
	s_cmp_lg_u32 s28, 0
	v_lshl_add_u32 v8, s28, 4, v5
	s_cbranch_scc0 .LBB201_32
; %bb.29:                               ;   in Loop: Header=BB201_28 Depth=3
	ds_read_b128 v[1:4], v8
	s_sub_i32 s31, s15, s28
	s_lshl_b32 s30, s31, 6
	v_mov_b32_e32 v9, v5
	s_mov_b32 s12, s29
	s_mov_b32 s13, s28
.LBB201_30:                             ;   Parent Loop BB201_17 Depth=1
                                        ;     Parent Loop BB201_20 Depth=2
                                        ;       Parent Loop BB201_28 Depth=3
                                        ; =>      This Inner Loop Header: Depth=4
	v_mov_b32_e32 v14, s12
	ds_read_b128 v[10:13], v9
	ds_read_b128 v[14:17], v14
	s_add_i32 s13, s13, -1
	s_add_i32 s12, s12, -16
	v_add_u32_e32 v9, 16, v9
	s_cmp_eq_u32 s13, 0
	s_waitcnt lgkmcnt(0)
	v_mul_f64 v[18:19], v[16:17], v[12:13]
	v_mul_f64 v[12:13], v[14:15], v[12:13]
	v_fma_f64 v[14:15], v[14:15], v[10:11], -v[18:19]
	v_fma_f64 v[10:11], v[16:17], v[10:11], v[12:13]
	v_add_f64 v[1:2], v[1:2], -v[14:15]
	v_add_f64 v[3:4], v[3:4], -v[10:11]
	ds_write_b128 v8, v[1:4]
	s_cbranch_scc0 .LBB201_30
; %bb.31:                               ;   in Loop: Header=BB201_28 Depth=3
	s_branch .LBB201_27
.LBB201_32:                             ;   in Loop: Header=BB201_28 Depth=3
                                        ; implicit-def: $vgpr1_vgpr2
                                        ; implicit-def: $sgpr31
                                        ; implicit-def: $sgpr30
	s_cbranch_execz .LBB201_27
; %bb.33:                               ;   in Loop: Header=BB201_28 Depth=3
	ds_read_b128 v[1:4], v5
	s_mov_b32 s30, s27
	s_mov_b32 s31, s15
	s_branch .LBB201_27
.LBB201_34:
	s_mov_b64 s[4:5], 0
.LBB201_35:
	s_and_b64 vcc, exec, s[4:5]
	s_cbranch_vccz .LBB201_56
; %bb.36:
	v_mov_b32_e32 v1, 0x100
	s_mov_b32 s5, 0
	v_lshl_or_b32 v7, v0, 4, v1
	s_mov_b32 s4, s5
	s_mov_b32 s7, s5
	s_branch .LBB201_38
.LBB201_37:                             ;   in Loop: Header=BB201_38 Depth=1
	s_cmp_ge_i32 s7, s26
	s_cselect_b64 s[12:13], -1, 0
	s_add_i32 s4, s4, 1
	s_cmp_eq_u32 s4, 3
	s_cselect_b64 s[14:15], -1, 0
	s_or_b64 s[12:13], s[12:13], s[14:15]
	s_and_b64 vcc, exec, s[12:13]
	s_cbranch_vccnz .LBB201_56
.LBB201_38:                             ; =>This Loop Header: Depth=1
                                        ;     Child Loop BB201_41 Depth 2
                                        ;       Child Loop BB201_42 Depth 3
                                        ;       Child Loop BB201_45 Depth 3
                                        ;         Child Loop BB201_46 Depth 4
                                        ;       Child Loop BB201_50 Depth 3
                                        ;         Child Loop BB201_52 Depth 4
	s_lshl_b64 s[12:13], s[4:5], 2
	s_getpc_b64 s[14:15]
	s_add_u32 s14, s14, __const._ZL38rocblas_trsm_small_left_device_sharedBILi4ELi4ELb1E19rocblas_complex_numIdES1_PKS1_PS1_Ev13rocblas_fill_18rocblas_operation_17rocblas_diagonal_iiT3_T4_lilT5_lili.step_sizes@rel32@lo+4
	s_addc_u32 s15, s15, __const._ZL38rocblas_trsm_small_left_device_sharedBILi4ELi4ELb1E19rocblas_complex_numIdES1_PKS1_PS1_Ev13rocblas_fill_18rocblas_operation_17rocblas_diagonal_iiT3_T4_lilT5_lili.step_sizes@rel32@hi+12
	s_add_u32 s12, s14, s12
	s_addc_u32 s13, s15, s13
	s_load_dword s14, s[12:13], 0x0
	s_waitcnt lgkmcnt(0)
	s_add_i32 s15, s14, -1
	s_add_i32 s12, s15, s7
	s_cmp_ge_i32 s12, s26
	s_cbranch_scc1 .LBB201_37
; %bb.39:                               ;   in Loop: Header=BB201_38 Depth=1
	s_max_i32 s18, s14, 1
	v_lshl_add_u32 v8, s7, 6, v7
	s_lshl_b32 s19, s14, 6
	s_lshl_b32 s20, s7, 4
	;; [unrolled: 1-line block ×3, first 2 shown]
	s_mul_i32 s23, s7, 0x50
	s_mul_i32 s24, s14, 0x50
	s_branch .LBB201_41
.LBB201_40:                             ;   in Loop: Header=BB201_41 Depth=2
	s_add_i32 s7, s7, s14
	s_add_i32 s12, s15, s7
	;; [unrolled: 1-line block ×4, first 2 shown]
	s_cmp_ge_i32 s12, s26
	v_add_u32_e32 v8, s19, v8
	s_cbranch_scc1 .LBB201_37
.LBB201_41:                             ;   Parent Loop BB201_38 Depth=1
                                        ; =>  This Loop Header: Depth=2
                                        ;       Child Loop BB201_42 Depth 3
                                        ;       Child Loop BB201_45 Depth 3
                                        ;         Child Loop BB201_46 Depth 4
                                        ;       Child Loop BB201_50 Depth 3
                                        ;         Child Loop BB201_52 Depth 4
	v_mov_b32_e32 v1, v5
	v_mov_b32_e32 v2, v8
	s_mov_b32 s12, s18
.LBB201_42:                             ;   Parent Loop BB201_38 Depth=1
                                        ;     Parent Loop BB201_41 Depth=2
                                        ; =>    This Inner Loop Header: Depth=3
	ds_read_b128 v[9:12], v2
	s_add_i32 s12, s12, -1
	v_add_u32_e32 v2, 64, v2
	s_cmp_eq_u32 s12, 0
	s_waitcnt lgkmcnt(0)
	ds_write_b128 v1, v[9:12]
	v_add_u32_e32 v1, 16, v1
	s_cbranch_scc0 .LBB201_42
; %bb.43:                               ;   in Loop: Header=BB201_41 Depth=2
	s_cmp_lt_i32 s7, 1
	s_cbranch_scc1 .LBB201_48
; %bb.44:                               ;   in Loop: Header=BB201_41 Depth=2
	s_mov_b32 s12, 0
	s_mov_b32 s13, s20
.LBB201_45:                             ;   Parent Loop BB201_38 Depth=1
                                        ;     Parent Loop BB201_41 Depth=2
                                        ; =>    This Loop Header: Depth=3
                                        ;         Child Loop BB201_46 Depth 4
	v_lshl_add_u32 v1, s12, 6, v6
	ds_read_b128 v[1:4], v1
	v_mov_b32_e32 v9, v5
	s_mov_b32 s25, s13
	s_mov_b32 s27, s18
.LBB201_46:                             ;   Parent Loop BB201_38 Depth=1
                                        ;     Parent Loop BB201_41 Depth=2
                                        ;       Parent Loop BB201_45 Depth=3
                                        ; =>      This Inner Loop Header: Depth=4
	v_mov_b32_e32 v10, s25
	ds_read_b128 v[10:13], v10
	s_add_i32 s27, s27, -1
	s_add_i32 s25, s25, 16
	s_cmp_eq_u32 s27, 0
	s_waitcnt lgkmcnt(0)
	v_mul_f64 v[14:15], v[3:4], v[12:13]
	v_mul_f64 v[12:13], v[1:2], v[12:13]
	v_fma_f64 v[14:15], v[1:2], v[10:11], -v[14:15]
	v_fma_f64 v[16:17], v[3:4], v[10:11], v[12:13]
	ds_read_b128 v[10:13], v9
	s_waitcnt lgkmcnt(0)
	v_add_f64 v[10:11], v[10:11], -v[14:15]
	v_add_f64 v[12:13], v[12:13], -v[16:17]
	ds_write_b128 v9, v[10:13]
	v_add_u32_e32 v9, 16, v9
	s_cbranch_scc0 .LBB201_46
; %bb.47:                               ;   in Loop: Header=BB201_45 Depth=3
	s_add_i32 s12, s12, 1
	s_add_i32 s13, s13, 64
	s_cmp_eq_u32 s12, s7
	s_cbranch_scc0 .LBB201_45
.LBB201_48:                             ;   in Loop: Header=BB201_41 Depth=2
	s_mov_b32 s25, 0
	s_mov_b32 s27, s23
	s_branch .LBB201_50
.LBB201_49:                             ;   in Loop: Header=BB201_50 Depth=3
	s_add_i32 s12, s25, s7
	s_mul_i32 s13, s12, 0x50
	v_mov_b32_e32 v10, s13
	ds_read_b128 v[10:13], v10
	s_add_i32 s25, s25, 1
	s_add_i32 s27, s27, 16
	s_cmp_eq_u32 s25, s18
	s_waitcnt lgkmcnt(0)
	v_mul_f64 v[14:15], v[12:13], v[3:4]
	v_mul_f64 v[3:4], v[10:11], v[3:4]
	v_fma_f64 v[10:11], v[10:11], v[1:2], -v[14:15]
	v_fma_f64 v[12:13], v[12:13], v[1:2], v[3:4]
	v_lshl_add_u32 v1, s12, 6, v6
	ds_write_b128 v9, v[10:13]
	ds_write_b128 v1, v[10:13]
	s_cbranch_scc1 .LBB201_40
.LBB201_50:                             ;   Parent Loop BB201_38 Depth=1
                                        ;     Parent Loop BB201_41 Depth=2
                                        ; =>    This Loop Header: Depth=3
                                        ;         Child Loop BB201_52 Depth 4
	s_cmp_lg_u32 s25, 0
	v_lshl_add_u32 v9, s25, 4, v5
	s_cbranch_scc0 .LBB201_54
; %bb.51:                               ;   in Loop: Header=BB201_50 Depth=3
	ds_read_b128 v[1:4], v9
	v_mov_b32_e32 v10, v5
	s_mov_b32 s12, s27
	s_mov_b32 s13, s25
.LBB201_52:                             ;   Parent Loop BB201_38 Depth=1
                                        ;     Parent Loop BB201_41 Depth=2
                                        ;       Parent Loop BB201_50 Depth=3
                                        ; =>      This Inner Loop Header: Depth=4
	v_mov_b32_e32 v15, s12
	ds_read_b128 v[11:14], v10
	ds_read_b128 v[15:18], v15
	s_add_i32 s13, s13, -1
	s_add_i32 s12, s12, 64
	v_add_u32_e32 v10, 16, v10
	s_cmp_eq_u32 s13, 0
	s_waitcnt lgkmcnt(0)
	v_mul_f64 v[19:20], v[17:18], v[13:14]
	v_mul_f64 v[13:14], v[15:16], v[13:14]
	v_fma_f64 v[15:16], v[15:16], v[11:12], -v[19:20]
	v_fma_f64 v[11:12], v[17:18], v[11:12], v[13:14]
	v_add_f64 v[1:2], v[1:2], -v[15:16]
	v_add_f64 v[3:4], v[3:4], -v[11:12]
	ds_write_b128 v9, v[1:4]
	s_cbranch_scc0 .LBB201_52
; %bb.53:                               ;   in Loop: Header=BB201_50 Depth=3
	s_branch .LBB201_49
.LBB201_54:                             ;   in Loop: Header=BB201_50 Depth=3
                                        ; implicit-def: $vgpr1_vgpr2
	s_cbranch_execz .LBB201_49
; %bb.55:                               ;   in Loop: Header=BB201_50 Depth=3
	ds_read_b128 v[1:4], v5
	s_branch .LBB201_49
.LBB201_56:
	s_waitcnt lgkmcnt(0)
	; wave barrier
	s_and_saveexec_b64 s[4:5], s[0:1]
	s_cbranch_execz .LBB201_60
; %bb.57:
	s_andn2_b64 vcc, exec, s[8:9]
	s_cbranch_vccnz .LBB201_60
; %bb.58:
	s_lshl_b64 s[0:1], s[16:17], 4
	s_add_u32 s2, s2, s0
	s_addc_u32 s3, s3, s1
	s_lshl_b64 s[0:1], s[10:11], 4
	s_add_u32 s4, s2, s0
	s_addc_u32 s5, s3, s1
	v_mad_i64_i32 v[1:2], s[2:3], s21, v0, 0
	s_mul_hi_i32 s1, s21, s6
	s_mul_i32 s0, s21, s6
	s_lshl_b64 s[0:1], s[0:1], 4
	s_add_u32 s0, s4, s0
	v_lshlrev_b64 v[1:2], 4, v[1:2]
	s_addc_u32 s1, s5, s1
	v_mov_b32_e32 v3, s1
	v_add_co_u32_e32 v1, vcc, s0, v1
	v_addc_co_u32_e32 v2, vcc, v3, v2, vcc
	v_mov_b32_e32 v3, 0x100
	v_lshl_or_b32 v0, v0, 4, v3
.LBB201_59:                             ; =>This Inner Loop Header: Depth=1
	ds_read2_b64 v[3:6], v0 offset1:1
	s_add_i32 s26, s26, -1
	v_add_u32_e32 v0, 64, v0
	s_cmp_lg_u32 s26, 0
	s_waitcnt lgkmcnt(0)
	global_store_dwordx4 v[1:2], v[3:6], off
	v_add_co_u32_e32 v1, vcc, 16, v1
	v_addc_co_u32_e32 v2, vcc, 0, v2, vcc
	s_cbranch_scc1 .LBB201_59
.LBB201_60:
	s_endpgm
	.section	.rodata,"a",@progbits
	.p2align	6, 0x0
	.amdhsa_kernel _ZL38rocblas_trsm_small_left_device_sharedBILi4ELi4ELb1E19rocblas_complex_numIdES1_PKS1_PS1_Ev13rocblas_fill_18rocblas_operation_17rocblas_diagonal_iiT3_T4_lilT5_lili
		.amdhsa_group_segment_fixed_size 768
		.amdhsa_private_segment_fixed_size 0
		.amdhsa_kernarg_size 368
		.amdhsa_user_sgpr_count 8
		.amdhsa_user_sgpr_private_segment_buffer 1
		.amdhsa_user_sgpr_dispatch_ptr 1
		.amdhsa_user_sgpr_queue_ptr 0
		.amdhsa_user_sgpr_kernarg_segment_ptr 1
		.amdhsa_user_sgpr_dispatch_id 0
		.amdhsa_user_sgpr_flat_scratch_init 0
		.amdhsa_user_sgpr_private_segment_size 0
		.amdhsa_uses_dynamic_stack 0
		.amdhsa_system_sgpr_private_segment_wavefront_offset 0
		.amdhsa_system_sgpr_workgroup_id_x 1
		.amdhsa_system_sgpr_workgroup_id_y 0
		.amdhsa_system_sgpr_workgroup_id_z 1
		.amdhsa_system_sgpr_workgroup_info 0
		.amdhsa_system_vgpr_workitem_id 2
		.amdhsa_next_free_vgpr 21
		.amdhsa_next_free_sgpr 32
		.amdhsa_reserve_vcc 1
		.amdhsa_reserve_flat_scratch 0
		.amdhsa_float_round_mode_32 0
		.amdhsa_float_round_mode_16_64 0
		.amdhsa_float_denorm_mode_32 3
		.amdhsa_float_denorm_mode_16_64 3
		.amdhsa_dx10_clamp 1
		.amdhsa_ieee_mode 1
		.amdhsa_fp16_overflow 0
		.amdhsa_exception_fp_ieee_invalid_op 0
		.amdhsa_exception_fp_denorm_src 0
		.amdhsa_exception_fp_ieee_div_zero 0
		.amdhsa_exception_fp_ieee_overflow 0
		.amdhsa_exception_fp_ieee_underflow 0
		.amdhsa_exception_fp_ieee_inexact 0
		.amdhsa_exception_int_div_zero 0
	.end_amdhsa_kernel
	.section	.text._ZL38rocblas_trsm_small_left_device_sharedBILi4ELi4ELb1E19rocblas_complex_numIdES1_PKS1_PS1_Ev13rocblas_fill_18rocblas_operation_17rocblas_diagonal_iiT3_T4_lilT5_lili,"axG",@progbits,_ZL38rocblas_trsm_small_left_device_sharedBILi4ELi4ELb1E19rocblas_complex_numIdES1_PKS1_PS1_Ev13rocblas_fill_18rocblas_operation_17rocblas_diagonal_iiT3_T4_lilT5_lili,comdat
.Lfunc_end201:
	.size	_ZL38rocblas_trsm_small_left_device_sharedBILi4ELi4ELb1E19rocblas_complex_numIdES1_PKS1_PS1_Ev13rocblas_fill_18rocblas_operation_17rocblas_diagonal_iiT3_T4_lilT5_lili, .Lfunc_end201-_ZL38rocblas_trsm_small_left_device_sharedBILi4ELi4ELb1E19rocblas_complex_numIdES1_PKS1_PS1_Ev13rocblas_fill_18rocblas_operation_17rocblas_diagonal_iiT3_T4_lilT5_lili
                                        ; -- End function
	.set _ZL38rocblas_trsm_small_left_device_sharedBILi4ELi4ELb1E19rocblas_complex_numIdES1_PKS1_PS1_Ev13rocblas_fill_18rocblas_operation_17rocblas_diagonal_iiT3_T4_lilT5_lili.num_vgpr, 21
	.set _ZL38rocblas_trsm_small_left_device_sharedBILi4ELi4ELb1E19rocblas_complex_numIdES1_PKS1_PS1_Ev13rocblas_fill_18rocblas_operation_17rocblas_diagonal_iiT3_T4_lilT5_lili.num_agpr, 0
	.set _ZL38rocblas_trsm_small_left_device_sharedBILi4ELi4ELb1E19rocblas_complex_numIdES1_PKS1_PS1_Ev13rocblas_fill_18rocblas_operation_17rocblas_diagonal_iiT3_T4_lilT5_lili.numbered_sgpr, 32
	.set _ZL38rocblas_trsm_small_left_device_sharedBILi4ELi4ELb1E19rocblas_complex_numIdES1_PKS1_PS1_Ev13rocblas_fill_18rocblas_operation_17rocblas_diagonal_iiT3_T4_lilT5_lili.num_named_barrier, 0
	.set _ZL38rocblas_trsm_small_left_device_sharedBILi4ELi4ELb1E19rocblas_complex_numIdES1_PKS1_PS1_Ev13rocblas_fill_18rocblas_operation_17rocblas_diagonal_iiT3_T4_lilT5_lili.private_seg_size, 0
	.set _ZL38rocblas_trsm_small_left_device_sharedBILi4ELi4ELb1E19rocblas_complex_numIdES1_PKS1_PS1_Ev13rocblas_fill_18rocblas_operation_17rocblas_diagonal_iiT3_T4_lilT5_lili.uses_vcc, 1
	.set _ZL38rocblas_trsm_small_left_device_sharedBILi4ELi4ELb1E19rocblas_complex_numIdES1_PKS1_PS1_Ev13rocblas_fill_18rocblas_operation_17rocblas_diagonal_iiT3_T4_lilT5_lili.uses_flat_scratch, 0
	.set _ZL38rocblas_trsm_small_left_device_sharedBILi4ELi4ELb1E19rocblas_complex_numIdES1_PKS1_PS1_Ev13rocblas_fill_18rocblas_operation_17rocblas_diagonal_iiT3_T4_lilT5_lili.has_dyn_sized_stack, 0
	.set _ZL38rocblas_trsm_small_left_device_sharedBILi4ELi4ELb1E19rocblas_complex_numIdES1_PKS1_PS1_Ev13rocblas_fill_18rocblas_operation_17rocblas_diagonal_iiT3_T4_lilT5_lili.has_recursion, 0
	.set _ZL38rocblas_trsm_small_left_device_sharedBILi4ELi4ELb1E19rocblas_complex_numIdES1_PKS1_PS1_Ev13rocblas_fill_18rocblas_operation_17rocblas_diagonal_iiT3_T4_lilT5_lili.has_indirect_call, 0
	.section	.AMDGPU.csdata,"",@progbits
; Kernel info:
; codeLenInByte = 2640
; TotalNumSgprs: 36
; NumVgprs: 21
; ScratchSize: 0
; MemoryBound: 0
; FloatMode: 240
; IeeeMode: 1
; LDSByteSize: 768 bytes/workgroup (compile time only)
; SGPRBlocks: 4
; VGPRBlocks: 5
; NumSGPRsForWavesPerEU: 36
; NumVGPRsForWavesPerEU: 21
; Occupancy: 10
; WaveLimiterHint : 0
; COMPUTE_PGM_RSRC2:SCRATCH_EN: 0
; COMPUTE_PGM_RSRC2:USER_SGPR: 8
; COMPUTE_PGM_RSRC2:TRAP_HANDLER: 0
; COMPUTE_PGM_RSRC2:TGID_X_EN: 1
; COMPUTE_PGM_RSRC2:TGID_Y_EN: 0
; COMPUTE_PGM_RSRC2:TGID_Z_EN: 1
; COMPUTE_PGM_RSRC2:TIDIG_COMP_CNT: 2
	.section	.text._ZL30rocblas_trsm_small_left_deviceILi4ELi4ELb1E19rocblas_complex_numIdES1_PKS1_PS1_Ev13rocblas_fill_18rocblas_operation_17rocblas_diagonal_iiT3_T4_lilT5_lili,"axG",@progbits,_ZL30rocblas_trsm_small_left_deviceILi4ELi4ELb1E19rocblas_complex_numIdES1_PKS1_PS1_Ev13rocblas_fill_18rocblas_operation_17rocblas_diagonal_iiT3_T4_lilT5_lili,comdat
	.globl	_ZL30rocblas_trsm_small_left_deviceILi4ELi4ELb1E19rocblas_complex_numIdES1_PKS1_PS1_Ev13rocblas_fill_18rocblas_operation_17rocblas_diagonal_iiT3_T4_lilT5_lili ; -- Begin function _ZL30rocblas_trsm_small_left_deviceILi4ELi4ELb1E19rocblas_complex_numIdES1_PKS1_PS1_Ev13rocblas_fill_18rocblas_operation_17rocblas_diagonal_iiT3_T4_lilT5_lili
	.p2align	8
	.type	_ZL30rocblas_trsm_small_left_deviceILi4ELi4ELb1E19rocblas_complex_numIdES1_PKS1_PS1_Ev13rocblas_fill_18rocblas_operation_17rocblas_diagonal_iiT3_T4_lilT5_lili,@function
_ZL30rocblas_trsm_small_left_deviceILi4ELi4ELb1E19rocblas_complex_numIdES1_PKS1_PS1_Ev13rocblas_fill_18rocblas_operation_17rocblas_diagonal_iiT3_T4_lilT5_lili: ; @_ZL30rocblas_trsm_small_left_deviceILi4ELi4ELb1E19rocblas_complex_numIdES1_PKS1_PS1_Ev13rocblas_fill_18rocblas_operation_17rocblas_diagonal_iiT3_T4_lilT5_lili
; %bb.0:
	s_load_dwordx4 s[20:23], s[6:7], 0x4
	s_load_dwordx8 s[12:19], s[6:7], 0x18
	s_load_dwordx4 s[0:3], s[6:7], 0x40
	s_load_dwordx2 s[10:11], s[6:7], 0x50
	s_load_dword s26, s[6:7], 0x70
	s_waitcnt lgkmcnt(0)
	s_min_i32 s22, s22, 4
	v_cmp_gt_i32_e32 vcc, s22, v0
	s_and_saveexec_b64 s[24:25], vcc
	s_cbranch_execz .LBB202_11
; %bb.1:
	s_load_dword s28, s[6:7], 0x38
	s_mul_i32 s1, s1, s9
	s_mul_hi_u32 s27, s0, s9
	s_mul_i32 s0, s0, s9
	v_lshlrev_b32_e32 v5, 4, v0
	s_waitcnt lgkmcnt(0)
	s_ashr_i32 s29, s28, 31
	s_cmpk_eq_i32 s20, 0x71
	s_cselect_b64 vcc, -1, 0
	s_add_i32 s1, s27, s1
	s_lshl_b64 s[0:1], s[0:1], 4
	s_lshl_b64 s[18:19], s[18:19], 4
	s_add_u32 s0, s0, s18
	s_addc_u32 s1, s1, s19
	s_add_u32 s0, s16, s0
	s_addc_u32 s1, s17, s1
	v_mov_b32_e32 v3, s1
	v_add_co_u32_e64 v4, s[0:1], s0, v5
	v_addc_co_u32_e64 v6, s[0:1], 0, v3, s[0:1]
	v_add_co_u32_e64 v3, s[0:1], 8, v4
	s_lshl_b64 s[16:17], s[28:29], 4
	v_addc_co_u32_e64 v4, s[0:1], 0, v6, s[0:1]
	v_mov_b32_e32 v6, s17
	v_mov_b32_e32 v7, v5
	s_mov_b32 s17, s22
.LBB202_2:                              ; =>This Inner Loop Header: Depth=1
	global_load_dwordx4 v[8:11], v[3:4], off offset:-8
	s_add_i32 s17, s17, -1
	v_add_co_u32_e64 v3, s[0:1], s16, v3
	v_addc_co_u32_e64 v4, s[0:1], v4, v6, s[0:1]
	s_cmp_eq_u32 s17, 0
	s_waitcnt vmcnt(0)
	v_xor_b32_e32 v12, 0x80000000, v11
	v_cndmask_b32_e32 v11, v11, v12, vcc
	ds_write_b128 v7, v[8:11]
	v_add_u32_e32 v7, 64, v7
	s_cbranch_scc0 .LBB202_2
; %bb.3:
	v_lshlrev_b32_e32 v3, 6, v0
	s_cmpk_lg_i32 s21, 0x84
	v_add_u32_e32 v11, v5, v3
	s_cbranch_scc0 .LBB202_9
; %bb.4:
	ds_read_b128 v[3:6], v11
                                        ; implicit-def: $vgpr9_vgpr10
	s_waitcnt lgkmcnt(0)
	v_cmp_ngt_f64_e64 s[0:1], |v[3:4]|, |v[5:6]|
	s_and_saveexec_b64 s[16:17], s[0:1]
	s_xor_b64 s[0:1], exec, s[16:17]
	s_cbranch_execz .LBB202_6
; %bb.5:
	v_div_scale_f64 v[7:8], s[16:17], v[5:6], v[5:6], v[3:4]
	v_rcp_f64_e32 v[9:10], v[7:8]
	v_fma_f64 v[12:13], -v[7:8], v[9:10], 1.0
	v_fma_f64 v[9:10], v[9:10], v[12:13], v[9:10]
	v_div_scale_f64 v[12:13], vcc, v[3:4], v[5:6], v[3:4]
	v_fma_f64 v[14:15], -v[7:8], v[9:10], 1.0
	v_fma_f64 v[9:10], v[9:10], v[14:15], v[9:10]
	v_mul_f64 v[14:15], v[12:13], v[9:10]
	v_fma_f64 v[7:8], -v[7:8], v[14:15], v[12:13]
	v_div_fmas_f64 v[7:8], v[7:8], v[9:10], v[14:15]
	v_div_fixup_f64 v[7:8], v[7:8], v[5:6], v[3:4]
	v_fma_f64 v[3:4], v[3:4], v[7:8], v[5:6]
	v_div_scale_f64 v[5:6], s[16:17], v[3:4], v[3:4], 1.0
	v_rcp_f64_e32 v[9:10], v[5:6]
	v_fma_f64 v[12:13], -v[5:6], v[9:10], 1.0
	v_fma_f64 v[9:10], v[9:10], v[12:13], v[9:10]
	v_div_scale_f64 v[12:13], vcc, 1.0, v[3:4], 1.0
	v_fma_f64 v[14:15], -v[5:6], v[9:10], 1.0
	v_fma_f64 v[9:10], v[9:10], v[14:15], v[9:10]
	v_mul_f64 v[14:15], v[12:13], v[9:10]
	v_fma_f64 v[5:6], -v[5:6], v[14:15], v[12:13]
	v_div_fmas_f64 v[5:6], v[5:6], v[9:10], v[14:15]
	v_add_f64 v[9:10], v[7:8], 0
	v_div_fixup_f64 v[3:4], v[5:6], v[3:4], 1.0
	v_fma_f64 v[5:6], v[7:8], 0, -1.0
	v_mul_f64 v[7:8], v[9:10], v[3:4]
	v_mul_f64 v[9:10], v[5:6], v[3:4]
                                        ; implicit-def: $vgpr3_vgpr4
.LBB202_6:
	s_andn2_saveexec_b64 s[0:1], s[0:1]
	s_cbranch_execz .LBB202_8
; %bb.7:
	v_div_scale_f64 v[7:8], s[16:17], v[3:4], v[3:4], v[5:6]
	v_rcp_f64_e32 v[9:10], v[7:8]
	v_fma_f64 v[12:13], -v[7:8], v[9:10], 1.0
	v_fma_f64 v[9:10], v[9:10], v[12:13], v[9:10]
	v_div_scale_f64 v[12:13], vcc, v[5:6], v[3:4], v[5:6]
	v_fma_f64 v[14:15], -v[7:8], v[9:10], 1.0
	v_fma_f64 v[9:10], v[9:10], v[14:15], v[9:10]
	v_mul_f64 v[14:15], v[12:13], v[9:10]
	v_fma_f64 v[7:8], -v[7:8], v[14:15], v[12:13]
	v_div_fmas_f64 v[7:8], v[7:8], v[9:10], v[14:15]
	v_div_fixup_f64 v[7:8], v[7:8], v[3:4], v[5:6]
	v_fma_f64 v[3:4], v[5:6], v[7:8], v[3:4]
	v_div_scale_f64 v[5:6], s[16:17], v[3:4], v[3:4], 1.0
	v_rcp_f64_e32 v[9:10], v[5:6]
	v_fma_f64 v[12:13], -v[5:6], v[9:10], 1.0
	v_fma_f64 v[9:10], v[9:10], v[12:13], v[9:10]
	v_div_scale_f64 v[12:13], vcc, 1.0, v[3:4], 1.0
	v_fma_f64 v[14:15], -v[5:6], v[9:10], 1.0
	v_fma_f64 v[9:10], v[9:10], v[14:15], v[9:10]
	v_mul_f64 v[14:15], v[12:13], v[9:10]
	v_fma_f64 v[5:6], -v[5:6], v[14:15], v[12:13]
	v_div_fmas_f64 v[5:6], v[5:6], v[9:10], v[14:15]
	v_fma_f64 v[9:10], v[7:8], 0, 1.0
	v_div_fixup_f64 v[3:4], v[5:6], v[3:4], 1.0
	v_add_f64 v[5:6], -v[7:8], 0
	v_mul_f64 v[7:8], v[9:10], v[3:4]
	v_mul_f64 v[9:10], v[5:6], v[3:4]
.LBB202_8:
	s_or_b64 exec, exec, s[0:1]
	s_branch .LBB202_10
.LBB202_9:
	v_mov_b32_e32 v9, 0
	v_mov_b32_e32 v7, 0
	;; [unrolled: 1-line block ×4, first 2 shown]
.LBB202_10:
	ds_write_b128 v11, v[7:10]
.LBB202_11:
	s_or_b64 exec, exec, s[24:25]
	s_lshl_b32 s16, s8, 2
	s_add_i32 s26, s26, -1
	s_sub_i32 s0, s23, s16
	s_cmp_ge_u32 s8, s26
	s_cselect_b32 s0, s0, 4
	v_cmp_gt_i32_e32 vcc, s0, v0
	s_waitcnt lgkmcnt(0)
	; wave barrier
	s_and_saveexec_b64 s[0:1], vcc
	s_cbranch_execz .LBB202_54
; %bb.12:
	s_load_dwordx2 s[0:1], s[4:5], 0x4
	s_load_dword s8, s[6:7], 0x58
	s_load_dwordx2 s[18:19], s[6:7], 0x60
	v_mov_b32_e32 v3, 0x100
	s_waitcnt lgkmcnt(0)
	s_lshr_b32 s0, s0, 16
	s_mul_i32 s0, s0, s1
	v_mul_u32_u24_e32 v1, s1, v1
	v_mul_u32_u24_e32 v4, s0, v0
	v_add3_u32 v1, v4, v1, v2
	s_mul_i32 s0, s19, s9
	s_mul_hi_u32 s1, s18, s9
	v_add_u32_e32 v0, s16, v0
	v_lshl_add_u32 v6, v1, 6, v3
	s_add_i32 s1, s1, s0
	s_mul_i32 s0, s18, s9
	v_mad_i64_i32 v[0:1], s[4:5], s8, v0, 0
	s_lshl_b64 s[0:1], s[0:1], 4
	s_add_u32 s6, s2, s0
	s_addc_u32 s7, s3, s1
	s_lshl_b64 s[4:5], s[10:11], 4
	s_add_u32 s6, s6, s4
	v_lshlrev_b64 v[4:5], 4, v[0:1]
	s_addc_u32 s7, s7, s5
	v_mov_b32_e32 v0, s7
	v_add_co_u32_e32 v7, vcc, s6, v4
	v_addc_co_u32_e32 v8, vcc, v0, v5, vcc
	s_cmpk_eq_i32 s20, 0x6f
	s_mov_b64 s[6:7], -1
	s_cbranch_scc1 .LBB202_33
; %bb.13:
	s_add_i32 s20, s22, -1
	s_add_u32 s6, s2, s4
	s_addc_u32 s7, s3, s5
	s_add_u32 s6, s6, s0
	s_addc_u32 s7, s7, s1
	v_mov_b32_e32 v0, s7
	v_add_co_u32_e32 v1, vcc, s6, v4
	v_addc_co_u32_e32 v0, vcc, v0, v5, vcc
	v_add_co_u32_e32 v9, vcc, 8, v1
	s_lshl_b32 s21, s22, 4
	s_mov_b32 s7, 0
	v_addc_co_u32_e32 v10, vcc, 0, v0, vcc
	s_add_i32 s21, s21, -16
	s_mov_b32 s6, s7
	s_mov_b32 s8, s20
	s_branch .LBB202_15
.LBB202_14:                             ;   in Loop: Header=BB202_15 Depth=1
	s_cmp_lt_i32 s8, 0
	s_cselect_b64 s[10:11], -1, 0
	s_add_i32 s6, s6, 1
	s_cmp_eq_u32 s6, 3
	s_cselect_b64 s[16:17], -1, 0
	s_or_b64 s[10:11], s[10:11], s[16:17]
	s_andn2_b64 vcc, exec, s[10:11]
	s_cbranch_vccz .LBB202_32
.LBB202_15:                             ; =>This Loop Header: Depth=1
                                        ;     Child Loop BB202_18 Depth 2
                                        ;       Child Loop BB202_19 Depth 3
                                        ;       Child Loop BB202_21 Depth 3
                                        ;         Child Loop BB202_22 Depth 4
                                        ;       Child Loop BB202_26 Depth 3
                                        ;         Child Loop BB202_28 Depth 4
	s_lshl_b64 s[10:11], s[6:7], 2
	s_getpc_b64 s[16:17]
	s_add_u32 s16, s16, __const._ZL30rocblas_trsm_small_left_deviceILi4ELi4ELb1E19rocblas_complex_numIdES1_PKS1_PS1_Ev13rocblas_fill_18rocblas_operation_17rocblas_diagonal_iiT3_T4_lilT5_lili.step_sizes@rel32@lo+4
	s_addc_u32 s17, s17, __const._ZL30rocblas_trsm_small_left_deviceILi4ELi4ELb1E19rocblas_complex_numIdES1_PKS1_PS1_Ev13rocblas_fill_18rocblas_operation_17rocblas_diagonal_iiT3_T4_lilT5_lili.step_sizes@rel32@hi+12
	s_add_u32 s10, s16, s10
	s_addc_u32 s11, s17, s11
	s_load_dword s23, s[10:11], 0x0
	s_waitcnt lgkmcnt(0)
	s_add_i32 s24, s23, -1
	s_cmp_lt_i32 s8, s24
	s_cbranch_scc1 .LBB202_14
; %bb.16:                               ;   in Loop: Header=BB202_15 Depth=1
	s_lshl_b32 s9, s8, 6
	s_add_i32 s26, s21, s9
	s_lshl_b32 s9, s23, 6
	s_max_i32 s25, s23, 1
	s_sub_i32 s27, 0, s9
	s_mul_i32 s28, s8, 0x50
	s_mul_i32 s29, s23, 0xffffffb0
	s_branch .LBB202_18
.LBB202_17:                             ;   in Loop: Header=BB202_18 Depth=2
	s_sub_i32 s8, s8, s23
	s_add_i32 s26, s26, s27
	s_add_i32 s28, s28, s29
	s_cmp_lt_i32 s8, s24
	s_cbranch_scc1 .LBB202_14
.LBB202_18:                             ;   Parent Loop BB202_15 Depth=1
                                        ; =>  This Loop Header: Depth=2
                                        ;       Child Loop BB202_19 Depth 3
                                        ;       Child Loop BB202_21 Depth 3
                                        ;         Child Loop BB202_22 Depth 4
                                        ;       Child Loop BB202_26 Depth 3
                                        ;         Child Loop BB202_28 Depth 4
	s_ashr_i32 s9, s8, 31
	s_lshl_b64 s[10:11], s[8:9], 4
	v_mov_b32_e32 v1, s11
	v_add_co_u32_e32 v0, vcc, s10, v9
	v_addc_co_u32_e32 v1, vcc, v10, v1, vcc
	v_mov_b32_e32 v2, v6
	s_mov_b32 s10, s25
.LBB202_19:                             ;   Parent Loop BB202_15 Depth=1
                                        ;     Parent Loop BB202_18 Depth=2
                                        ; =>    This Inner Loop Header: Depth=3
	global_load_dwordx4 v[11:14], v[0:1], off offset:-8
	s_add_i32 s10, s10, -1
	v_add_co_u32_e32 v0, vcc, -16, v0
	v_addc_co_u32_e32 v1, vcc, -1, v1, vcc
	s_cmp_eq_u32 s10, 0
	s_waitcnt vmcnt(0)
	v_mul_f64 v[15:16], s[14:15], v[13:14]
	v_mul_f64 v[17:18], s[12:13], v[13:14]
	v_fma_f64 v[13:14], s[12:13], v[11:12], -v[15:16]
	v_fma_f64 v[15:16], s[14:15], v[11:12], v[17:18]
	ds_write_b128 v2, v[13:16]
	v_add_u32_e32 v2, 16, v2
	s_cbranch_scc0 .LBB202_19
; %bb.20:                               ;   in Loop: Header=BB202_18 Depth=2
	s_cmp_le_i32 s20, s8
	s_mov_b32 s16, s26
	s_mov_b32 s10, s20
	s_cbranch_scc1 .LBB202_24
.LBB202_21:                             ;   Parent Loop BB202_15 Depth=1
                                        ;     Parent Loop BB202_18 Depth=2
                                        ; =>    This Loop Header: Depth=3
                                        ;         Child Loop BB202_22 Depth 4
	s_ashr_i32 s11, s10, 31
	s_lshl_b64 s[18:19], s[10:11], 4
	v_mov_b32_e32 v1, s19
	v_add_co_u32_e32 v0, vcc, s18, v7
	v_addc_co_u32_e32 v1, vcc, v8, v1, vcc
	global_load_dwordx4 v[0:3], v[0:1], off
	v_mov_b32_e32 v11, v6
	s_mov_b32 s11, s16
	s_mov_b32 s17, s25
.LBB202_22:                             ;   Parent Loop BB202_15 Depth=1
                                        ;     Parent Loop BB202_18 Depth=2
                                        ;       Parent Loop BB202_21 Depth=3
                                        ; =>      This Inner Loop Header: Depth=4
	v_mov_b32_e32 v12, s11
	ds_read_b128 v[12:15], v12
	s_add_i32 s17, s17, -1
	s_sub_i32 s11, s11, 64
	s_cmp_eq_u32 s17, 0
	s_waitcnt vmcnt(0) lgkmcnt(0)
	v_mul_f64 v[16:17], v[2:3], v[14:15]
	v_mul_f64 v[14:15], v[0:1], v[14:15]
	v_fma_f64 v[16:17], v[0:1], v[12:13], -v[16:17]
	v_fma_f64 v[18:19], v[2:3], v[12:13], v[14:15]
	ds_read_b128 v[12:15], v11
	s_waitcnt lgkmcnt(0)
	v_add_f64 v[12:13], v[12:13], -v[16:17]
	v_add_f64 v[14:15], v[14:15], -v[18:19]
	ds_write_b128 v11, v[12:15]
	v_add_u32_e32 v11, 16, v11
	s_cbranch_scc0 .LBB202_22
; %bb.23:                               ;   in Loop: Header=BB202_21 Depth=3
	s_add_i32 s10, s10, -1
	s_add_i32 s16, s16, -16
	s_cmp_le_i32 s10, s8
	s_cbranch_scc0 .LBB202_21
.LBB202_24:                             ;   in Loop: Header=BB202_18 Depth=2
	s_mov_b32 s30, 0
	s_mov_b32 s31, s28
	s_branch .LBB202_26
.LBB202_25:                             ;   in Loop: Header=BB202_26 Depth=3
	s_mulk_i32 s16, 0x50
	v_mov_b32_e32 v12, s16
	ds_read_b128 v[12:15], v12
	s_lshl_b64 s[10:11], s[10:11], 4
	s_add_i32 s30, s30, 1
	s_sub_i32 s31, s31, 64
	s_cmp_eq_u32 s30, s25
	s_waitcnt lgkmcnt(0)
	v_mul_f64 v[16:17], v[14:15], v[2:3]
	v_mul_f64 v[2:3], v[12:13], v[2:3]
	v_fma_f64 v[12:13], v[12:13], v[0:1], -v[16:17]
	v_fma_f64 v[14:15], v[14:15], v[0:1], v[2:3]
	v_mov_b32_e32 v1, s11
	v_add_co_u32_e32 v0, vcc, s10, v7
	v_addc_co_u32_e32 v1, vcc, v8, v1, vcc
	ds_write_b128 v11, v[12:15]
	global_store_dwordx4 v[0:1], v[12:15], off
	s_cbranch_scc1 .LBB202_17
.LBB202_26:                             ;   Parent Loop BB202_15 Depth=1
                                        ;     Parent Loop BB202_18 Depth=2
                                        ; =>    This Loop Header: Depth=3
                                        ;         Child Loop BB202_28 Depth 4
	s_cmp_lg_u32 s30, 0
	v_lshl_add_u32 v11, s30, 4, v6
	s_cbranch_scc0 .LBB202_30
; %bb.27:                               ;   in Loop: Header=BB202_26 Depth=3
	ds_read_b128 v[0:3], v11
	v_mov_b32_e32 v12, v6
	s_mov_b32 s10, s31
	s_mov_b32 s11, s30
.LBB202_28:                             ;   Parent Loop BB202_15 Depth=1
                                        ;     Parent Loop BB202_18 Depth=2
                                        ;       Parent Loop BB202_26 Depth=3
                                        ; =>      This Inner Loop Header: Depth=4
	v_mov_b32_e32 v17, s10
	ds_read_b128 v[13:16], v12
	ds_read_b128 v[17:20], v17
	s_add_i32 s11, s11, -1
	s_add_i32 s10, s10, -16
	v_add_u32_e32 v12, 16, v12
	s_cmp_eq_u32 s11, 0
	s_waitcnt lgkmcnt(0)
	v_mul_f64 v[21:22], v[19:20], v[15:16]
	v_mul_f64 v[15:16], v[17:18], v[15:16]
	v_fma_f64 v[17:18], v[17:18], v[13:14], -v[21:22]
	v_fma_f64 v[13:14], v[19:20], v[13:14], v[15:16]
	v_add_f64 v[0:1], v[0:1], -v[17:18]
	v_add_f64 v[2:3], v[2:3], -v[13:14]
	ds_write_b128 v11, v[0:3]
	s_cbranch_scc0 .LBB202_28
; %bb.29:                               ;   in Loop: Header=BB202_26 Depth=3
	s_sub_i32 s16, s8, s30
	s_ashr_i32 s17, s16, 31
	s_mov_b64 s[10:11], s[16:17]
	s_branch .LBB202_25
.LBB202_30:                             ;   in Loop: Header=BB202_26 Depth=3
                                        ; implicit-def: $vgpr0_vgpr1
                                        ; implicit-def: $sgpr16
                                        ; implicit-def: $sgpr10_sgpr11
	s_cbranch_execz .LBB202_25
; %bb.31:                               ;   in Loop: Header=BB202_26 Depth=3
	ds_read_b128 v[0:3], v6
	s_mov_b64 s[10:11], s[8:9]
	s_mov_b32 s16, s8
	s_branch .LBB202_25
.LBB202_32:
	s_mov_b64 s[6:7], 0
.LBB202_33:
	s_and_b64 vcc, exec, s[6:7]
	s_cbranch_vccz .LBB202_54
; %bb.34:
	s_add_u32 s2, s2, s4
	s_addc_u32 s3, s3, s5
	s_add_u32 s0, s2, s0
	s_addc_u32 s1, s3, s1
	v_mov_b32_e32 v0, s1
	v_add_co_u32_e32 v1, vcc, s0, v4
	v_addc_co_u32_e32 v0, vcc, v0, v5, vcc
	v_add_co_u32_e32 v9, vcc, 8, v1
	s_mov_b32 s1, 0
	v_addc_co_u32_e32 v10, vcc, 0, v0, vcc
	s_mov_b32 s2, s1
	s_mov_b32 s4, s1
	s_branch .LBB202_36
.LBB202_35:                             ;   in Loop: Header=BB202_36 Depth=1
	s_cmp_ge_i32 s2, s22
	s_cselect_b64 s[6:7], -1, 0
	s_add_i32 s4, s4, 1
	s_cmp_eq_u32 s4, 3
	s_cselect_b64 s[8:9], -1, 0
	s_or_b64 s[6:7], s[6:7], s[8:9]
	s_and_b64 vcc, exec, s[6:7]
	s_cbranch_vccnz .LBB202_54
.LBB202_36:                             ; =>This Loop Header: Depth=1
                                        ;     Child Loop BB202_39 Depth 2
                                        ;       Child Loop BB202_40 Depth 3
                                        ;       Child Loop BB202_43 Depth 3
                                        ;         Child Loop BB202_44 Depth 4
                                        ;       Child Loop BB202_48 Depth 3
                                        ;         Child Loop BB202_50 Depth 4
	s_mov_b32 s5, s1
	s_lshl_b64 s[6:7], s[4:5], 2
	s_getpc_b64 s[8:9]
	s_add_u32 s8, s8, __const._ZL30rocblas_trsm_small_left_deviceILi4ELi4ELb1E19rocblas_complex_numIdES1_PKS1_PS1_Ev13rocblas_fill_18rocblas_operation_17rocblas_diagonal_iiT3_T4_lilT5_lili.step_sizes@rel32@lo+4
	s_addc_u32 s9, s9, __const._ZL30rocblas_trsm_small_left_deviceILi4ELi4ELb1E19rocblas_complex_numIdES1_PKS1_PS1_Ev13rocblas_fill_18rocblas_operation_17rocblas_diagonal_iiT3_T4_lilT5_lili.step_sizes@rel32@hi+12
	s_add_u32 s6, s8, s6
	s_addc_u32 s7, s9, s7
	s_load_dword s6, s[6:7], 0x0
	s_waitcnt lgkmcnt(0)
	s_add_i32 s5, s6, -1
	s_add_i32 s0, s5, s2
	s_cmp_ge_i32 s0, s22
	s_cbranch_scc1 .LBB202_35
; %bb.37:                               ;   in Loop: Header=BB202_36 Depth=1
	s_ashr_i32 s3, s2, 31
	s_lshl_b64 s[8:9], s[2:3], 4
	v_mov_b32_e32 v0, s9
	v_add_co_u32_e32 v4, vcc, s8, v9
	s_ashr_i32 s7, s6, 31
	s_max_i32 s16, s6, 1
	v_addc_co_u32_e32 v5, vcc, v10, v0, vcc
	s_lshl_b64 s[8:9], s[6:7], 4
	s_lshl_b32 s3, s2, 4
	s_lshl_b32 s7, s6, 4
	s_mul_i32 s17, s2, 0x50
	s_mul_i32 s18, s6, 0x50
	s_branch .LBB202_39
.LBB202_38:                             ;   in Loop: Header=BB202_39 Depth=2
	s_add_i32 s2, s2, s6
	s_add_i32 s0, s5, s2
	v_mov_b32_e32 v0, s9
	s_add_i32 s3, s3, s7
	s_add_i32 s17, s17, s18
	v_add_co_u32_e32 v4, vcc, s8, v4
	s_cmp_ge_i32 s0, s22
	v_addc_co_u32_e32 v5, vcc, v5, v0, vcc
	s_cbranch_scc1 .LBB202_35
.LBB202_39:                             ;   Parent Loop BB202_36 Depth=1
                                        ; =>  This Loop Header: Depth=2
                                        ;       Child Loop BB202_40 Depth 3
                                        ;       Child Loop BB202_43 Depth 3
                                        ;         Child Loop BB202_44 Depth 4
                                        ;       Child Loop BB202_48 Depth 3
                                        ;         Child Loop BB202_50 Depth 4
	v_mov_b32_e32 v0, v4
	v_mov_b32_e32 v2, v6
	;; [unrolled: 1-line block ×3, first 2 shown]
	s_mov_b32 s0, s16
.LBB202_40:                             ;   Parent Loop BB202_36 Depth=1
                                        ;     Parent Loop BB202_39 Depth=2
                                        ; =>    This Inner Loop Header: Depth=3
	global_load_dwordx4 v[11:14], v[0:1], off offset:-8
	s_add_i32 s0, s0, -1
	v_add_co_u32_e32 v0, vcc, 16, v0
	v_addc_co_u32_e32 v1, vcc, 0, v1, vcc
	s_cmp_eq_u32 s0, 0
	s_waitcnt vmcnt(0)
	v_mul_f64 v[15:16], s[14:15], v[13:14]
	v_mul_f64 v[17:18], s[12:13], v[13:14]
	v_fma_f64 v[13:14], s[12:13], v[11:12], -v[15:16]
	v_fma_f64 v[15:16], s[14:15], v[11:12], v[17:18]
	ds_write_b128 v2, v[13:16]
	v_add_u32_e32 v2, 16, v2
	s_cbranch_scc0 .LBB202_40
; %bb.41:                               ;   in Loop: Header=BB202_39 Depth=2
	s_cmp_lt_i32 s2, 1
	s_cbranch_scc1 .LBB202_46
; %bb.42:                               ;   in Loop: Header=BB202_39 Depth=2
	s_mov_b32 s0, 0
	s_mov_b32 s10, s3
.LBB202_43:                             ;   Parent Loop BB202_36 Depth=1
                                        ;     Parent Loop BB202_39 Depth=2
                                        ; =>    This Loop Header: Depth=3
                                        ;         Child Loop BB202_44 Depth 4
	s_lshl_b64 s[20:21], s[0:1], 4
	v_mov_b32_e32 v1, s21
	v_add_co_u32_e32 v0, vcc, s20, v7
	v_addc_co_u32_e32 v1, vcc, v8, v1, vcc
	global_load_dwordx4 v[0:3], v[0:1], off
	v_mov_b32_e32 v11, v6
	s_mov_b32 s11, s10
	s_mov_b32 s19, s16
.LBB202_44:                             ;   Parent Loop BB202_36 Depth=1
                                        ;     Parent Loop BB202_39 Depth=2
                                        ;       Parent Loop BB202_43 Depth=3
                                        ; =>      This Inner Loop Header: Depth=4
	v_mov_b32_e32 v12, s11
	ds_read_b128 v[12:15], v12
	s_add_i32 s19, s19, -1
	s_add_i32 s11, s11, 16
	s_cmp_eq_u32 s19, 0
	s_waitcnt vmcnt(0) lgkmcnt(0)
	v_mul_f64 v[16:17], v[2:3], v[14:15]
	v_mul_f64 v[14:15], v[0:1], v[14:15]
	v_fma_f64 v[16:17], v[0:1], v[12:13], -v[16:17]
	v_fma_f64 v[18:19], v[2:3], v[12:13], v[14:15]
	ds_read_b128 v[12:15], v11
	s_waitcnt lgkmcnt(0)
	v_add_f64 v[12:13], v[12:13], -v[16:17]
	v_add_f64 v[14:15], v[14:15], -v[18:19]
	ds_write_b128 v11, v[12:15]
	v_add_u32_e32 v11, 16, v11
	s_cbranch_scc0 .LBB202_44
; %bb.45:                               ;   in Loop: Header=BB202_43 Depth=3
	s_add_i32 s0, s0, 1
	s_add_i32 s10, s10, 64
	s_cmp_eq_u32 s0, s2
	s_cbranch_scc0 .LBB202_43
.LBB202_46:                             ;   in Loop: Header=BB202_39 Depth=2
	s_mov_b32 s0, 0
	s_mov_b32 s19, s17
	s_branch .LBB202_48
.LBB202_47:                             ;   in Loop: Header=BB202_48 Depth=3
	s_add_i32 s10, s0, s2
	s_mul_i32 s11, s10, 0x50
	v_mov_b32_e32 v12, s11
	ds_read_b128 v[12:15], v12
	s_ashr_i32 s11, s10, 31
	s_lshl_b64 s[10:11], s[10:11], 4
	s_add_i32 s0, s0, 1
	s_add_i32 s19, s19, 16
	s_waitcnt lgkmcnt(0)
	v_mul_f64 v[16:17], v[14:15], v[2:3]
	v_mul_f64 v[2:3], v[12:13], v[2:3]
	s_cmp_eq_u32 s0, s16
	v_fma_f64 v[12:13], v[12:13], v[0:1], -v[16:17]
	v_fma_f64 v[14:15], v[14:15], v[0:1], v[2:3]
	v_mov_b32_e32 v1, s11
	v_add_co_u32_e32 v0, vcc, s10, v7
	v_addc_co_u32_e32 v1, vcc, v8, v1, vcc
	ds_write_b128 v11, v[12:15]
	global_store_dwordx4 v[0:1], v[12:15], off
	s_cbranch_scc1 .LBB202_38
.LBB202_48:                             ;   Parent Loop BB202_36 Depth=1
                                        ;     Parent Loop BB202_39 Depth=2
                                        ; =>    This Loop Header: Depth=3
                                        ;         Child Loop BB202_50 Depth 4
	s_cmp_lg_u32 s0, 0
	v_lshl_add_u32 v11, s0, 4, v6
	s_cbranch_scc0 .LBB202_52
; %bb.49:                               ;   in Loop: Header=BB202_48 Depth=3
	ds_read_b128 v[0:3], v11
	v_mov_b32_e32 v12, v6
	s_mov_b32 s10, s19
	s_mov_b32 s11, s0
.LBB202_50:                             ;   Parent Loop BB202_36 Depth=1
                                        ;     Parent Loop BB202_39 Depth=2
                                        ;       Parent Loop BB202_48 Depth=3
                                        ; =>      This Inner Loop Header: Depth=4
	v_mov_b32_e32 v17, s10
	ds_read_b128 v[13:16], v12
	ds_read_b128 v[17:20], v17
	s_add_i32 s11, s11, -1
	s_add_i32 s10, s10, 64
	v_add_u32_e32 v12, 16, v12
	s_cmp_eq_u32 s11, 0
	s_waitcnt lgkmcnt(0)
	v_mul_f64 v[21:22], v[19:20], v[15:16]
	v_mul_f64 v[15:16], v[17:18], v[15:16]
	v_fma_f64 v[17:18], v[17:18], v[13:14], -v[21:22]
	v_fma_f64 v[13:14], v[19:20], v[13:14], v[15:16]
	v_add_f64 v[0:1], v[0:1], -v[17:18]
	v_add_f64 v[2:3], v[2:3], -v[13:14]
	ds_write_b128 v11, v[0:3]
	s_cbranch_scc0 .LBB202_50
; %bb.51:                               ;   in Loop: Header=BB202_48 Depth=3
	s_branch .LBB202_47
.LBB202_52:                             ;   in Loop: Header=BB202_48 Depth=3
                                        ; implicit-def: $vgpr0_vgpr1
	s_cbranch_execz .LBB202_47
; %bb.53:                               ;   in Loop: Header=BB202_48 Depth=3
	ds_read_b128 v[0:3], v6
	s_branch .LBB202_47
.LBB202_54:
	s_endpgm
	.section	.rodata,"a",@progbits
	.p2align	6, 0x0
	.amdhsa_kernel _ZL30rocblas_trsm_small_left_deviceILi4ELi4ELb1E19rocblas_complex_numIdES1_PKS1_PS1_Ev13rocblas_fill_18rocblas_operation_17rocblas_diagonal_iiT3_T4_lilT5_lili
		.amdhsa_group_segment_fixed_size 512
		.amdhsa_private_segment_fixed_size 0
		.amdhsa_kernarg_size 368
		.amdhsa_user_sgpr_count 8
		.amdhsa_user_sgpr_private_segment_buffer 1
		.amdhsa_user_sgpr_dispatch_ptr 1
		.amdhsa_user_sgpr_queue_ptr 0
		.amdhsa_user_sgpr_kernarg_segment_ptr 1
		.amdhsa_user_sgpr_dispatch_id 0
		.amdhsa_user_sgpr_flat_scratch_init 0
		.amdhsa_user_sgpr_private_segment_size 0
		.amdhsa_uses_dynamic_stack 0
		.amdhsa_system_sgpr_private_segment_wavefront_offset 0
		.amdhsa_system_sgpr_workgroup_id_x 1
		.amdhsa_system_sgpr_workgroup_id_y 0
		.amdhsa_system_sgpr_workgroup_id_z 1
		.amdhsa_system_sgpr_workgroup_info 0
		.amdhsa_system_vgpr_workitem_id 2
		.amdhsa_next_free_vgpr 23
		.amdhsa_next_free_sgpr 32
		.amdhsa_reserve_vcc 1
		.amdhsa_reserve_flat_scratch 0
		.amdhsa_float_round_mode_32 0
		.amdhsa_float_round_mode_16_64 0
		.amdhsa_float_denorm_mode_32 3
		.amdhsa_float_denorm_mode_16_64 3
		.amdhsa_dx10_clamp 1
		.amdhsa_ieee_mode 1
		.amdhsa_fp16_overflow 0
		.amdhsa_exception_fp_ieee_invalid_op 0
		.amdhsa_exception_fp_denorm_src 0
		.amdhsa_exception_fp_ieee_div_zero 0
		.amdhsa_exception_fp_ieee_overflow 0
		.amdhsa_exception_fp_ieee_underflow 0
		.amdhsa_exception_fp_ieee_inexact 0
		.amdhsa_exception_int_div_zero 0
	.end_amdhsa_kernel
	.section	.text._ZL30rocblas_trsm_small_left_deviceILi4ELi4ELb1E19rocblas_complex_numIdES1_PKS1_PS1_Ev13rocblas_fill_18rocblas_operation_17rocblas_diagonal_iiT3_T4_lilT5_lili,"axG",@progbits,_ZL30rocblas_trsm_small_left_deviceILi4ELi4ELb1E19rocblas_complex_numIdES1_PKS1_PS1_Ev13rocblas_fill_18rocblas_operation_17rocblas_diagonal_iiT3_T4_lilT5_lili,comdat
.Lfunc_end202:
	.size	_ZL30rocblas_trsm_small_left_deviceILi4ELi4ELb1E19rocblas_complex_numIdES1_PKS1_PS1_Ev13rocblas_fill_18rocblas_operation_17rocblas_diagonal_iiT3_T4_lilT5_lili, .Lfunc_end202-_ZL30rocblas_trsm_small_left_deviceILi4ELi4ELb1E19rocblas_complex_numIdES1_PKS1_PS1_Ev13rocblas_fill_18rocblas_operation_17rocblas_diagonal_iiT3_T4_lilT5_lili
                                        ; -- End function
	.set _ZL30rocblas_trsm_small_left_deviceILi4ELi4ELb1E19rocblas_complex_numIdES1_PKS1_PS1_Ev13rocblas_fill_18rocblas_operation_17rocblas_diagonal_iiT3_T4_lilT5_lili.num_vgpr, 23
	.set _ZL30rocblas_trsm_small_left_deviceILi4ELi4ELb1E19rocblas_complex_numIdES1_PKS1_PS1_Ev13rocblas_fill_18rocblas_operation_17rocblas_diagonal_iiT3_T4_lilT5_lili.num_agpr, 0
	.set _ZL30rocblas_trsm_small_left_deviceILi4ELi4ELb1E19rocblas_complex_numIdES1_PKS1_PS1_Ev13rocblas_fill_18rocblas_operation_17rocblas_diagonal_iiT3_T4_lilT5_lili.numbered_sgpr, 32
	.set _ZL30rocblas_trsm_small_left_deviceILi4ELi4ELb1E19rocblas_complex_numIdES1_PKS1_PS1_Ev13rocblas_fill_18rocblas_operation_17rocblas_diagonal_iiT3_T4_lilT5_lili.num_named_barrier, 0
	.set _ZL30rocblas_trsm_small_left_deviceILi4ELi4ELb1E19rocblas_complex_numIdES1_PKS1_PS1_Ev13rocblas_fill_18rocblas_operation_17rocblas_diagonal_iiT3_T4_lilT5_lili.private_seg_size, 0
	.set _ZL30rocblas_trsm_small_left_deviceILi4ELi4ELb1E19rocblas_complex_numIdES1_PKS1_PS1_Ev13rocblas_fill_18rocblas_operation_17rocblas_diagonal_iiT3_T4_lilT5_lili.uses_vcc, 1
	.set _ZL30rocblas_trsm_small_left_deviceILi4ELi4ELb1E19rocblas_complex_numIdES1_PKS1_PS1_Ev13rocblas_fill_18rocblas_operation_17rocblas_diagonal_iiT3_T4_lilT5_lili.uses_flat_scratch, 0
	.set _ZL30rocblas_trsm_small_left_deviceILi4ELi4ELb1E19rocblas_complex_numIdES1_PKS1_PS1_Ev13rocblas_fill_18rocblas_operation_17rocblas_diagonal_iiT3_T4_lilT5_lili.has_dyn_sized_stack, 0
	.set _ZL30rocblas_trsm_small_left_deviceILi4ELi4ELb1E19rocblas_complex_numIdES1_PKS1_PS1_Ev13rocblas_fill_18rocblas_operation_17rocblas_diagonal_iiT3_T4_lilT5_lili.has_recursion, 0
	.set _ZL30rocblas_trsm_small_left_deviceILi4ELi4ELb1E19rocblas_complex_numIdES1_PKS1_PS1_Ev13rocblas_fill_18rocblas_operation_17rocblas_diagonal_iiT3_T4_lilT5_lili.has_indirect_call, 0
	.section	.AMDGPU.csdata,"",@progbits
; Kernel info:
; codeLenInByte = 2528
; TotalNumSgprs: 36
; NumVgprs: 23
; ScratchSize: 0
; MemoryBound: 0
; FloatMode: 240
; IeeeMode: 1
; LDSByteSize: 512 bytes/workgroup (compile time only)
; SGPRBlocks: 4
; VGPRBlocks: 5
; NumSGPRsForWavesPerEU: 36
; NumVGPRsForWavesPerEU: 23
; Occupancy: 10
; WaveLimiterHint : 0
; COMPUTE_PGM_RSRC2:SCRATCH_EN: 0
; COMPUTE_PGM_RSRC2:USER_SGPR: 8
; COMPUTE_PGM_RSRC2:TRAP_HANDLER: 0
; COMPUTE_PGM_RSRC2:TGID_X_EN: 1
; COMPUTE_PGM_RSRC2:TGID_Y_EN: 0
; COMPUTE_PGM_RSRC2:TGID_Z_EN: 1
; COMPUTE_PGM_RSRC2:TIDIG_COMP_CNT: 2
	.section	.text._ZL31rocblas_trsm_small_right_deviceI19rocblas_complex_numIdES1_PKS1_PS1_Li4EEv13rocblas_fill_18rocblas_operation_17rocblas_diagonal_iiT0_T1_lilT2_lili,"axG",@progbits,_ZL31rocblas_trsm_small_right_deviceI19rocblas_complex_numIdES1_PKS1_PS1_Li4EEv13rocblas_fill_18rocblas_operation_17rocblas_diagonal_iiT0_T1_lilT2_lili,comdat
	.globl	_ZL31rocblas_trsm_small_right_deviceI19rocblas_complex_numIdES1_PKS1_PS1_Li4EEv13rocblas_fill_18rocblas_operation_17rocblas_diagonal_iiT0_T1_lilT2_lili ; -- Begin function _ZL31rocblas_trsm_small_right_deviceI19rocblas_complex_numIdES1_PKS1_PS1_Li4EEv13rocblas_fill_18rocblas_operation_17rocblas_diagonal_iiT0_T1_lilT2_lili
	.p2align	8
	.type	_ZL31rocblas_trsm_small_right_deviceI19rocblas_complex_numIdES1_PKS1_PS1_Li4EEv13rocblas_fill_18rocblas_operation_17rocblas_diagonal_iiT0_T1_lilT2_lili,@function
_ZL31rocblas_trsm_small_right_deviceI19rocblas_complex_numIdES1_PKS1_PS1_Li4EEv13rocblas_fill_18rocblas_operation_17rocblas_diagonal_iiT0_T1_lilT2_lili: ; @_ZL31rocblas_trsm_small_right_deviceI19rocblas_complex_numIdES1_PKS1_PS1_Li4EEv13rocblas_fill_18rocblas_operation_17rocblas_diagonal_iiT0_T1_lilT2_lili
; %bb.0:
	s_load_dwordx4 s[16:19], s[4:5], 0x0
	s_load_dword s24, s[4:5], 0x10
	s_load_dwordx8 s[8:15], s[4:5], 0x18
	s_load_dwordx2 s[20:21], s[4:5], 0x50
	s_load_dwordx4 s[0:3], s[4:5], 0x40
	s_waitcnt lgkmcnt(0)
	s_min_i32 s25, s24, 4
	v_cmp_gt_i32_e32 vcc, s25, v0
	s_and_saveexec_b64 s[22:23], vcc
	s_cbranch_execz .LBB203_5
; %bb.1:
	s_load_dword s26, s[4:5], 0x38
	s_mul_i32 s1, s1, s7
	s_mul_hi_u32 s28, s0, s7
	s_mul_i32 s0, s0, s7
	v_lshlrev_b32_e32 v3, 4, v0
	s_waitcnt lgkmcnt(0)
	s_ashr_i32 s27, s26, 31
	s_cmpk_eq_i32 s17, 0x71
	s_cselect_b64 vcc, -1, 0
	s_add_i32 s1, s28, s1
	s_lshl_b64 s[0:1], s[0:1], 4
	s_lshl_b64 s[14:15], s[14:15], 4
	s_add_u32 s0, s0, s14
	s_addc_u32 s1, s1, s15
	s_add_u32 s0, s12, s0
	s_addc_u32 s1, s13, s1
	v_mov_b32_e32 v1, s1
	v_add_co_u32_e64 v2, s[0:1], s0, v3
	v_addc_co_u32_e64 v4, s[0:1], 0, v1, s[0:1]
	v_add_co_u32_e64 v1, s[0:1], 8, v2
	s_lshl_b64 s[12:13], s[26:27], 4
	v_addc_co_u32_e64 v2, s[0:1], 0, v4, s[0:1]
	v_mov_b32_e32 v4, s13
	v_mov_b32_e32 v5, v3
	s_mov_b32 s13, s25
.LBB203_2:                              ; =>This Inner Loop Header: Depth=1
	global_load_dwordx4 v[6:9], v[1:2], off offset:-8
	s_add_i32 s13, s13, -1
	v_add_co_u32_e64 v1, s[0:1], s12, v1
	v_addc_co_u32_e64 v2, s[0:1], v2, v4, s[0:1]
	s_cmp_eq_u32 s13, 0
	s_waitcnt vmcnt(0)
	v_xor_b32_e32 v10, 0x80000000, v9
	v_cndmask_b32_e32 v9, v9, v10, vcc
	ds_write_b128 v5, v[6:9]
	v_add_u32_e32 v5, 64, v5
	s_cbranch_scc0 .LBB203_2
; %bb.3:
	s_cmpk_eq_i32 s18, 0x84
	s_cbranch_scc0 .LBB203_5
; %bb.4:
	v_mov_b32_e32 v1, 0
	v_lshl_or_b32 v5, v0, 6, v3
	v_mov_b32_e32 v2, 0x3ff00000
	v_mov_b32_e32 v3, v1
	;; [unrolled: 1-line block ×3, first 2 shown]
	ds_write_b128 v5, v[1:4]
.LBB203_5:
	s_or_b64 exec, exec, s[22:23]
	s_load_dword s0, s[4:5], 0x70
	s_load_dwordx2 s[14:15], s[4:5], 0x60
	s_load_dword s12, s[4:5], 0x58
	s_waitcnt lgkmcnt(0)
	s_add_i32 s0, s0, -1
	s_mul_i32 s1, s15, s7
	s_mul_hi_u32 s5, s14, s7
	s_add_i32 s5, s5, s1
	s_lshl_b32 s1, s6, 2
	s_sub_i32 s1, s19, s1
	s_cmp_ge_u32 s6, s0
	s_mul_i32 s4, s14, s7
	s_cselect_b32 s0, s1, 4
	s_ashr_i32 s7, s6, 31
	s_lshl_b64 s[6:7], s[6:7], 6
	v_cmp_gt_i32_e64 s[0:1], s0, v0
	s_and_saveexec_b64 s[14:15], s[0:1]
	s_cbranch_execz .LBB203_9
; %bb.6:
	s_cmp_lt_i32 s24, 1
	s_cbranch_scc1 .LBB203_9
; %bb.7:
	s_ashr_i32 s13, s12, 31
	s_lshl_b64 s[18:19], s[4:5], 4
	s_add_u32 s22, s18, s6
	s_addc_u32 s23, s19, s7
	s_lshl_b64 s[18:19], s[20:21], 4
	s_add_u32 s18, s22, s18
	s_addc_u32 s19, s23, s19
	s_add_u32 s18, s2, s18
	v_lshlrev_b32_e32 v3, 4, v0
	s_addc_u32 s19, s3, s19
	v_mov_b32_e32 v1, s19
	v_add_co_u32_e32 v2, vcc, s18, v3
	v_addc_co_u32_e32 v4, vcc, 0, v1, vcc
	v_add_co_u32_e32 v1, vcc, 8, v2
	s_lshl_b64 s[18:19], s[12:13], 4
	v_addc_co_u32_e32 v2, vcc, 0, v4, vcc
	v_or_b32_e32 v3, 0x100, v3
	v_mov_b32_e32 v4, s19
	s_mov_b32 s13, s24
.LBB203_8:                              ; =>This Inner Loop Header: Depth=1
	global_load_dwordx4 v[5:8], v[1:2], off offset:-8
	s_add_i32 s13, s13, -1
	v_add_co_u32_e32 v1, vcc, s18, v1
	v_addc_co_u32_e32 v2, vcc, v2, v4, vcc
	s_cmp_lg_u32 s13, 0
	s_waitcnt vmcnt(0)
	v_mul_f64 v[9:10], s[10:11], v[7:8]
	v_mul_f64 v[11:12], s[8:9], v[7:8]
	v_fma_f64 v[7:8], s[8:9], v[5:6], -v[9:10]
	v_fma_f64 v[9:10], s[10:11], v[5:6], v[11:12]
	ds_write_b128 v3, v[7:10]
	v_add_u32_e32 v3, 64, v3
	s_cbranch_scc1 .LBB203_8
.LBB203_9:
	s_or_b64 exec, exec, s[14:15]
	s_cmpk_eq_i32 s17, 0x6f
	s_cselect_b64 s[8:9], -1, 0
	s_cmpk_lg_i32 s16, 0x79
	s_cselect_b64 s[10:11], -1, 0
	s_cmpk_eq_i32 s16, 0x79
	s_cselect_b64 s[14:15], -1, 0
	s_and_b64 s[14:15], s[14:15], s[8:9]
	s_andn2_b64 vcc, exec, s[14:15]
	s_mov_b64 s[14:15], -1
	s_waitcnt lgkmcnt(0)
	; wave barrier
	s_cbranch_vccz .LBB203_106
; %bb.10:
	s_cmpk_lg_i32 s16, 0x7a
	s_cselect_b64 s[16:17], -1, 0
	s_xor_b64 s[8:9], s[8:9], -1
	s_add_i32 s13, s25, -1
	s_or_b64 s[16:17], s[16:17], s[8:9]
	v_mov_b32_e32 v1, 0x100
	s_cmp_gt_i32 s24, 3
	v_lshl_or_b32 v25, v0, 4, v1
	s_cselect_b64 s[8:9], -1, 0
	s_and_b64 vcc, exec, s[16:17]
	s_cbranch_vccz .LBB203_77
; %bb.11:
	s_andn2_b64 vcc, exec, s[10:11]
	s_mov_b64 s[10:11], -1
	s_cbranch_vccnz .LBB203_44
; %bb.12:
	s_andn2_b64 vcc, exec, s[8:9]
	s_mov_b32 s14, 0
	s_cbranch_vccnz .LBB203_34
; %bb.13:
	v_mov_b32_e32 v1, 0
	ds_read_b128 v[21:24], v1
	ds_read_b128 v[17:20], v25
	ds_read_b128 v[13:16], v25 offset:64
	ds_read_b128 v[9:12], v25 offset:128
	;; [unrolled: 1-line block ×3, first 2 shown]
	s_waitcnt lgkmcnt(4)
	v_cmp_ngt_f64_e64 s[10:11], |v[21:22]|, |v[23:24]|
	s_and_b64 vcc, exec, s[10:11]
	s_cbranch_vccz .LBB203_15
; %bb.14:
	v_div_scale_f64 v[5:6], s[10:11], v[23:24], v[23:24], v[21:22]
	v_rcp_f64_e32 v[7:8], v[5:6]
	v_fma_f64 v[26:27], -v[5:6], v[7:8], 1.0
	v_fma_f64 v[7:8], v[7:8], v[26:27], v[7:8]
	v_div_scale_f64 v[26:27], vcc, v[21:22], v[23:24], v[21:22]
	v_fma_f64 v[28:29], -v[5:6], v[7:8], 1.0
	v_fma_f64 v[7:8], v[7:8], v[28:29], v[7:8]
	v_mul_f64 v[28:29], v[26:27], v[7:8]
	v_fma_f64 v[5:6], -v[5:6], v[28:29], v[26:27]
	v_div_fmas_f64 v[5:6], v[5:6], v[7:8], v[28:29]
	v_div_fixup_f64 v[5:6], v[5:6], v[23:24], v[21:22]
	v_fma_f64 v[7:8], v[21:22], v[5:6], v[23:24]
	v_div_scale_f64 v[26:27], s[10:11], v[7:8], v[7:8], 1.0
	s_mov_b64 s[10:11], 0
	v_rcp_f64_e32 v[28:29], v[26:27]
	v_fma_f64 v[30:31], -v[26:27], v[28:29], 1.0
	v_fma_f64 v[28:29], v[28:29], v[30:31], v[28:29]
	v_div_scale_f64 v[30:31], vcc, 1.0, v[7:8], 1.0
	v_fma_f64 v[32:33], -v[26:27], v[28:29], 1.0
	v_fma_f64 v[28:29], v[28:29], v[32:33], v[28:29]
	v_mul_f64 v[32:33], v[30:31], v[28:29]
	v_fma_f64 v[26:27], -v[26:27], v[32:33], v[30:31]
	v_div_fmas_f64 v[26:27], v[26:27], v[28:29], v[32:33]
	s_waitcnt lgkmcnt(3)
	v_fma_f64 v[28:29], v[17:18], v[5:6], v[19:20]
	v_div_fixup_f64 v[7:8], v[26:27], v[7:8], 1.0
	v_fma_f64 v[26:27], v[19:20], v[5:6], -v[17:18]
	v_mul_f64 v[5:6], v[28:29], v[7:8]
	v_mul_f64 v[7:8], v[26:27], v[7:8]
	s_branch .LBB203_16
.LBB203_15:
	s_mov_b64 s[10:11], -1
                                        ; implicit-def: $vgpr7_vgpr8
.LBB203_16:
	s_andn2_b64 vcc, exec, s[10:11]
	s_cbranch_vccnz .LBB203_18
; %bb.17:
	v_div_scale_f64 v[5:6], s[10:11], v[21:22], v[21:22], v[23:24]
	v_rcp_f64_e32 v[7:8], v[5:6]
	v_fma_f64 v[26:27], -v[5:6], v[7:8], 1.0
	v_fma_f64 v[7:8], v[7:8], v[26:27], v[7:8]
	v_div_scale_f64 v[26:27], vcc, v[23:24], v[21:22], v[23:24]
	v_fma_f64 v[28:29], -v[5:6], v[7:8], 1.0
	v_fma_f64 v[7:8], v[7:8], v[28:29], v[7:8]
	v_mul_f64 v[28:29], v[26:27], v[7:8]
	v_fma_f64 v[5:6], -v[5:6], v[28:29], v[26:27]
	v_div_fmas_f64 v[5:6], v[5:6], v[7:8], v[28:29]
	v_div_fixup_f64 v[5:6], v[5:6], v[21:22], v[23:24]
	v_fma_f64 v[7:8], v[23:24], v[5:6], v[21:22]
	v_div_scale_f64 v[21:22], s[10:11], v[7:8], v[7:8], 1.0
	v_rcp_f64_e32 v[23:24], v[21:22]
	v_fma_f64 v[26:27], -v[21:22], v[23:24], 1.0
	v_fma_f64 v[23:24], v[23:24], v[26:27], v[23:24]
	v_div_scale_f64 v[26:27], vcc, 1.0, v[7:8], 1.0
	v_fma_f64 v[28:29], -v[21:22], v[23:24], 1.0
	v_fma_f64 v[23:24], v[23:24], v[28:29], v[23:24]
	v_mul_f64 v[28:29], v[26:27], v[23:24]
	v_fma_f64 v[21:22], -v[21:22], v[28:29], v[26:27]
	v_div_fmas_f64 v[21:22], v[21:22], v[23:24], v[28:29]
	s_waitcnt lgkmcnt(3)
	v_fma_f64 v[23:24], v[19:20], v[5:6], v[17:18]
	v_fma_f64 v[17:18], -v[17:18], v[5:6], v[19:20]
	v_div_fixup_f64 v[7:8], v[21:22], v[7:8], 1.0
	v_mul_f64 v[5:6], v[23:24], v[7:8]
	v_mul_f64 v[7:8], v[17:18], v[7:8]
.LBB203_18:
	s_waitcnt lgkmcnt(3)
	v_mov_b32_e32 v17, 0
	ds_read_b128 v[21:24], v17 offset:16
	ds_read_b128 v[17:20], v17 offset:80
	ds_write_b128 v25, v[5:8]
	s_waitcnt lgkmcnt(2)
	v_mul_f64 v[26:27], v[7:8], v[23:24]
	v_mul_f64 v[23:24], v[5:6], v[23:24]
	s_waitcnt lgkmcnt(1)
	v_cmp_ngt_f64_e64 s[10:11], |v[17:18]|, |v[19:20]|
	v_fma_f64 v[26:27], v[5:6], v[21:22], -v[26:27]
	v_fma_f64 v[23:24], v[7:8], v[21:22], v[23:24]
	s_and_b64 vcc, exec, s[10:11]
	v_add_f64 v[21:22], v[13:14], -v[26:27]
	v_add_f64 v[23:24], v[15:16], -v[23:24]
	s_cbranch_vccz .LBB203_20
; %bb.19:
	v_div_scale_f64 v[13:14], s[10:11], v[19:20], v[19:20], v[17:18]
	v_rcp_f64_e32 v[15:16], v[13:14]
	v_fma_f64 v[26:27], -v[13:14], v[15:16], 1.0
	v_fma_f64 v[15:16], v[15:16], v[26:27], v[15:16]
	v_div_scale_f64 v[26:27], vcc, v[17:18], v[19:20], v[17:18]
	v_fma_f64 v[28:29], -v[13:14], v[15:16], 1.0
	v_fma_f64 v[15:16], v[15:16], v[28:29], v[15:16]
	v_mul_f64 v[28:29], v[26:27], v[15:16]
	v_fma_f64 v[13:14], -v[13:14], v[28:29], v[26:27]
	v_div_fmas_f64 v[13:14], v[13:14], v[15:16], v[28:29]
	v_div_fixup_f64 v[13:14], v[13:14], v[19:20], v[17:18]
	v_fma_f64 v[15:16], v[17:18], v[13:14], v[19:20]
	v_div_scale_f64 v[26:27], s[10:11], v[15:16], v[15:16], 1.0
	s_mov_b64 s[10:11], 0
	v_rcp_f64_e32 v[28:29], v[26:27]
	v_fma_f64 v[30:31], -v[26:27], v[28:29], 1.0
	v_fma_f64 v[28:29], v[28:29], v[30:31], v[28:29]
	v_div_scale_f64 v[30:31], vcc, 1.0, v[15:16], 1.0
	v_fma_f64 v[32:33], -v[26:27], v[28:29], 1.0
	v_fma_f64 v[28:29], v[28:29], v[32:33], v[28:29]
	v_mul_f64 v[32:33], v[30:31], v[28:29]
	v_fma_f64 v[26:27], -v[26:27], v[32:33], v[30:31]
	v_div_fmas_f64 v[26:27], v[26:27], v[28:29], v[32:33]
	v_fma_f64 v[28:29], v[13:14], v[21:22], v[23:24]
	v_div_fixup_f64 v[15:16], v[26:27], v[15:16], 1.0
	v_fma_f64 v[26:27], v[13:14], v[23:24], -v[21:22]
	v_mul_f64 v[13:14], v[28:29], v[15:16]
	v_mul_f64 v[15:16], v[26:27], v[15:16]
	s_branch .LBB203_21
.LBB203_20:
	s_mov_b64 s[10:11], -1
                                        ; implicit-def: $vgpr15_vgpr16
.LBB203_21:
	s_andn2_b64 vcc, exec, s[10:11]
	s_cbranch_vccnz .LBB203_23
; %bb.22:
	v_div_scale_f64 v[13:14], s[10:11], v[17:18], v[17:18], v[19:20]
	v_rcp_f64_e32 v[15:16], v[13:14]
	v_fma_f64 v[26:27], -v[13:14], v[15:16], 1.0
	v_fma_f64 v[15:16], v[15:16], v[26:27], v[15:16]
	v_div_scale_f64 v[26:27], vcc, v[19:20], v[17:18], v[19:20]
	v_fma_f64 v[28:29], -v[13:14], v[15:16], 1.0
	v_fma_f64 v[15:16], v[15:16], v[28:29], v[15:16]
	v_mul_f64 v[28:29], v[26:27], v[15:16]
	v_fma_f64 v[13:14], -v[13:14], v[28:29], v[26:27]
	v_div_fmas_f64 v[13:14], v[13:14], v[15:16], v[28:29]
	v_div_fixup_f64 v[13:14], v[13:14], v[17:18], v[19:20]
	v_fma_f64 v[15:16], v[19:20], v[13:14], v[17:18]
	v_div_scale_f64 v[17:18], s[10:11], v[15:16], v[15:16], 1.0
	v_rcp_f64_e32 v[19:20], v[17:18]
	v_fma_f64 v[26:27], -v[17:18], v[19:20], 1.0
	v_fma_f64 v[19:20], v[19:20], v[26:27], v[19:20]
	v_div_scale_f64 v[26:27], vcc, 1.0, v[15:16], 1.0
	v_fma_f64 v[28:29], -v[17:18], v[19:20], 1.0
	v_fma_f64 v[19:20], v[19:20], v[28:29], v[19:20]
	v_mul_f64 v[28:29], v[26:27], v[19:20]
	v_fma_f64 v[17:18], -v[17:18], v[28:29], v[26:27]
	v_div_fmas_f64 v[17:18], v[17:18], v[19:20], v[28:29]
	v_fma_f64 v[19:20], v[13:14], v[23:24], v[21:22]
	v_div_fixup_f64 v[15:16], v[17:18], v[15:16], 1.0
	v_fma_f64 v[17:18], -v[13:14], v[21:22], v[23:24]
	v_mul_f64 v[13:14], v[19:20], v[15:16]
	v_mul_f64 v[15:16], v[17:18], v[15:16]
.LBB203_23:
	v_mov_b32_e32 v32, 0
	ds_read_b128 v[17:20], v32 offset:32
	ds_read_b128 v[21:24], v32 offset:96
	ds_write_b128 v25, v[13:16] offset:64
	s_waitcnt lgkmcnt(2)
	v_mul_f64 v[26:27], v[7:8], v[19:20]
	v_mul_f64 v[19:20], v[5:6], v[19:20]
	s_waitcnt lgkmcnt(1)
	v_mul_f64 v[28:29], v[15:16], v[23:24]
	v_mul_f64 v[23:24], v[13:14], v[23:24]
	v_fma_f64 v[26:27], v[5:6], v[17:18], -v[26:27]
	v_fma_f64 v[30:31], v[7:8], v[17:18], v[19:20]
	v_fma_f64 v[28:29], v[13:14], v[21:22], -v[28:29]
	v_fma_f64 v[23:24], v[15:16], v[21:22], v[23:24]
	ds_read_b128 v[17:20], v32 offset:160
	v_add_f64 v[9:10], v[9:10], -v[26:27]
	v_add_f64 v[11:12], v[11:12], -v[30:31]
	s_waitcnt lgkmcnt(0)
	v_cmp_ngt_f64_e64 s[10:11], |v[17:18]|, |v[19:20]|
	v_add_f64 v[21:22], v[9:10], -v[28:29]
	v_add_f64 v[23:24], v[11:12], -v[23:24]
	s_and_b64 vcc, exec, s[10:11]
	s_cbranch_vccz .LBB203_25
; %bb.24:
	v_div_scale_f64 v[9:10], s[10:11], v[19:20], v[19:20], v[17:18]
	v_rcp_f64_e32 v[11:12], v[9:10]
	v_fma_f64 v[26:27], -v[9:10], v[11:12], 1.0
	v_fma_f64 v[11:12], v[11:12], v[26:27], v[11:12]
	v_div_scale_f64 v[26:27], vcc, v[17:18], v[19:20], v[17:18]
	v_fma_f64 v[28:29], -v[9:10], v[11:12], 1.0
	v_fma_f64 v[11:12], v[11:12], v[28:29], v[11:12]
	v_mul_f64 v[28:29], v[26:27], v[11:12]
	v_fma_f64 v[9:10], -v[9:10], v[28:29], v[26:27]
	v_div_fmas_f64 v[9:10], v[9:10], v[11:12], v[28:29]
	v_div_fixup_f64 v[9:10], v[9:10], v[19:20], v[17:18]
	v_fma_f64 v[11:12], v[17:18], v[9:10], v[19:20]
	v_div_scale_f64 v[26:27], s[10:11], v[11:12], v[11:12], 1.0
	s_mov_b64 s[10:11], 0
	v_rcp_f64_e32 v[28:29], v[26:27]
	v_fma_f64 v[30:31], -v[26:27], v[28:29], 1.0
	v_fma_f64 v[28:29], v[28:29], v[30:31], v[28:29]
	v_div_scale_f64 v[30:31], vcc, 1.0, v[11:12], 1.0
	v_fma_f64 v[32:33], -v[26:27], v[28:29], 1.0
	v_fma_f64 v[28:29], v[28:29], v[32:33], v[28:29]
	v_mul_f64 v[32:33], v[30:31], v[28:29]
	v_fma_f64 v[26:27], -v[26:27], v[32:33], v[30:31]
	v_div_fmas_f64 v[26:27], v[26:27], v[28:29], v[32:33]
	v_fma_f64 v[28:29], v[9:10], v[21:22], v[23:24]
	v_div_fixup_f64 v[11:12], v[26:27], v[11:12], 1.0
	v_fma_f64 v[26:27], v[9:10], v[23:24], -v[21:22]
	v_mul_f64 v[9:10], v[28:29], v[11:12]
	v_mul_f64 v[11:12], v[26:27], v[11:12]
	s_branch .LBB203_26
.LBB203_25:
	s_mov_b64 s[10:11], -1
                                        ; implicit-def: $vgpr11_vgpr12
.LBB203_26:
	s_andn2_b64 vcc, exec, s[10:11]
	s_cbranch_vccnz .LBB203_28
; %bb.27:
	v_div_scale_f64 v[9:10], s[10:11], v[17:18], v[17:18], v[19:20]
	v_rcp_f64_e32 v[11:12], v[9:10]
	v_fma_f64 v[26:27], -v[9:10], v[11:12], 1.0
	v_fma_f64 v[11:12], v[11:12], v[26:27], v[11:12]
	v_div_scale_f64 v[26:27], vcc, v[19:20], v[17:18], v[19:20]
	v_fma_f64 v[28:29], -v[9:10], v[11:12], 1.0
	v_fma_f64 v[11:12], v[11:12], v[28:29], v[11:12]
	v_mul_f64 v[28:29], v[26:27], v[11:12]
	v_fma_f64 v[9:10], -v[9:10], v[28:29], v[26:27]
	v_div_fmas_f64 v[9:10], v[9:10], v[11:12], v[28:29]
	v_div_fixup_f64 v[9:10], v[9:10], v[17:18], v[19:20]
	v_fma_f64 v[11:12], v[19:20], v[9:10], v[17:18]
	v_div_scale_f64 v[17:18], s[10:11], v[11:12], v[11:12], 1.0
	v_rcp_f64_e32 v[19:20], v[17:18]
	v_fma_f64 v[26:27], -v[17:18], v[19:20], 1.0
	v_fma_f64 v[19:20], v[19:20], v[26:27], v[19:20]
	v_div_scale_f64 v[26:27], vcc, 1.0, v[11:12], 1.0
	v_fma_f64 v[28:29], -v[17:18], v[19:20], 1.0
	v_fma_f64 v[19:20], v[19:20], v[28:29], v[19:20]
	v_mul_f64 v[28:29], v[26:27], v[19:20]
	v_fma_f64 v[17:18], -v[17:18], v[28:29], v[26:27]
	v_div_fmas_f64 v[17:18], v[17:18], v[19:20], v[28:29]
	v_fma_f64 v[19:20], v[9:10], v[23:24], v[21:22]
	v_div_fixup_f64 v[11:12], v[17:18], v[11:12], 1.0
	v_fma_f64 v[17:18], -v[9:10], v[21:22], v[23:24]
	v_mul_f64 v[9:10], v[19:20], v[11:12]
	v_mul_f64 v[11:12], v[17:18], v[11:12]
.LBB203_28:
	v_mov_b32_e32 v32, 0
	ds_read_b128 v[17:20], v32 offset:48
	ds_read_b128 v[21:24], v32 offset:112
	s_waitcnt lgkmcnt(1)
	v_mul_f64 v[26:27], v[7:8], v[19:20]
	v_mul_f64 v[19:20], v[5:6], v[19:20]
	s_waitcnt lgkmcnt(0)
	v_mul_f64 v[28:29], v[15:16], v[23:24]
	v_mul_f64 v[23:24], v[13:14], v[23:24]
	v_fma_f64 v[26:27], v[5:6], v[17:18], -v[26:27]
	v_fma_f64 v[30:31], v[7:8], v[17:18], v[19:20]
	ds_read_b128 v[17:20], v32 offset:176
	ds_read_b128 v[5:8], v32 offset:240
	v_fma_f64 v[13:14], v[13:14], v[21:22], -v[28:29]
	v_fma_f64 v[15:16], v[15:16], v[21:22], v[23:24]
	ds_write_b128 v25, v[9:12] offset:128
	s_waitcnt lgkmcnt(2)
	v_mul_f64 v[32:33], v[11:12], v[19:20]
	v_mul_f64 v[19:20], v[9:10], v[19:20]
	v_add_f64 v[1:2], v[1:2], -v[26:27]
	v_add_f64 v[3:4], v[3:4], -v[30:31]
	s_waitcnt lgkmcnt(1)
	v_cmp_ngt_f64_e64 s[10:11], |v[5:6]|, |v[7:8]|
	v_fma_f64 v[21:22], v[9:10], v[17:18], -v[32:33]
	v_fma_f64 v[17:18], v[11:12], v[17:18], v[19:20]
	v_add_f64 v[1:2], v[1:2], -v[13:14]
	v_add_f64 v[3:4], v[3:4], -v[15:16]
	s_and_b64 vcc, exec, s[10:11]
	v_add_f64 v[13:14], v[1:2], -v[21:22]
	v_add_f64 v[15:16], v[3:4], -v[17:18]
	s_cbranch_vccz .LBB203_30
; %bb.29:
	v_div_scale_f64 v[1:2], s[10:11], v[7:8], v[7:8], v[5:6]
	v_rcp_f64_e32 v[3:4], v[1:2]
	v_fma_f64 v[9:10], -v[1:2], v[3:4], 1.0
	v_fma_f64 v[3:4], v[3:4], v[9:10], v[3:4]
	v_div_scale_f64 v[9:10], vcc, v[5:6], v[7:8], v[5:6]
	v_fma_f64 v[11:12], -v[1:2], v[3:4], 1.0
	v_fma_f64 v[3:4], v[3:4], v[11:12], v[3:4]
	v_mul_f64 v[11:12], v[9:10], v[3:4]
	v_fma_f64 v[1:2], -v[1:2], v[11:12], v[9:10]
	v_div_fmas_f64 v[1:2], v[1:2], v[3:4], v[11:12]
	v_div_fixup_f64 v[1:2], v[1:2], v[7:8], v[5:6]
	v_fma_f64 v[3:4], v[5:6], v[1:2], v[7:8]
	v_div_scale_f64 v[9:10], s[10:11], v[3:4], v[3:4], 1.0
	s_mov_b64 s[10:11], 0
	v_rcp_f64_e32 v[11:12], v[9:10]
	v_fma_f64 v[17:18], -v[9:10], v[11:12], 1.0
	v_fma_f64 v[11:12], v[11:12], v[17:18], v[11:12]
	v_div_scale_f64 v[17:18], vcc, 1.0, v[3:4], 1.0
	v_fma_f64 v[19:20], -v[9:10], v[11:12], 1.0
	v_fma_f64 v[11:12], v[11:12], v[19:20], v[11:12]
	v_mul_f64 v[19:20], v[17:18], v[11:12]
	v_fma_f64 v[9:10], -v[9:10], v[19:20], v[17:18]
	v_div_fmas_f64 v[9:10], v[9:10], v[11:12], v[19:20]
	v_fma_f64 v[11:12], v[1:2], v[13:14], v[15:16]
	v_div_fixup_f64 v[3:4], v[9:10], v[3:4], 1.0
	v_fma_f64 v[9:10], v[1:2], v[15:16], -v[13:14]
	v_mul_f64 v[1:2], v[11:12], v[3:4]
	v_mul_f64 v[3:4], v[9:10], v[3:4]
	s_branch .LBB203_31
.LBB203_30:
	s_mov_b64 s[10:11], -1
                                        ; implicit-def: $vgpr3_vgpr4
.LBB203_31:
	s_andn2_b64 vcc, exec, s[10:11]
	s_cbranch_vccnz .LBB203_33
; %bb.32:
	v_div_scale_f64 v[1:2], s[10:11], v[5:6], v[5:6], v[7:8]
	v_rcp_f64_e32 v[3:4], v[1:2]
	v_fma_f64 v[9:10], -v[1:2], v[3:4], 1.0
	v_fma_f64 v[3:4], v[3:4], v[9:10], v[3:4]
	v_div_scale_f64 v[9:10], vcc, v[7:8], v[5:6], v[7:8]
	v_fma_f64 v[11:12], -v[1:2], v[3:4], 1.0
	v_fma_f64 v[3:4], v[3:4], v[11:12], v[3:4]
	v_mul_f64 v[11:12], v[9:10], v[3:4]
	v_fma_f64 v[1:2], -v[1:2], v[11:12], v[9:10]
	v_div_fmas_f64 v[1:2], v[1:2], v[3:4], v[11:12]
	v_div_fixup_f64 v[1:2], v[1:2], v[5:6], v[7:8]
	v_fma_f64 v[3:4], v[7:8], v[1:2], v[5:6]
	v_div_scale_f64 v[5:6], s[10:11], v[3:4], v[3:4], 1.0
	v_rcp_f64_e32 v[7:8], v[5:6]
	v_fma_f64 v[9:10], -v[5:6], v[7:8], 1.0
	v_fma_f64 v[7:8], v[7:8], v[9:10], v[7:8]
	v_div_scale_f64 v[9:10], vcc, 1.0, v[3:4], 1.0
	v_fma_f64 v[11:12], -v[5:6], v[7:8], 1.0
	v_fma_f64 v[7:8], v[7:8], v[11:12], v[7:8]
	v_mul_f64 v[11:12], v[9:10], v[7:8]
	v_fma_f64 v[5:6], -v[5:6], v[11:12], v[9:10]
	v_div_fmas_f64 v[5:6], v[5:6], v[7:8], v[11:12]
	v_fma_f64 v[7:8], v[1:2], v[15:16], v[13:14]
	v_div_fixup_f64 v[3:4], v[5:6], v[3:4], 1.0
	v_fma_f64 v[5:6], -v[1:2], v[13:14], v[15:16]
	v_mul_f64 v[1:2], v[7:8], v[3:4]
	v_mul_f64 v[3:4], v[5:6], v[3:4]
.LBB203_33:
	s_mov_b32 s14, 4
	ds_write_b128 v25, v[1:4] offset:192
.LBB203_34:
	s_cmp_ge_i32 s14, s25
	s_cbranch_scc1 .LBB203_43
; %bb.35:
	v_mov_b32_e32 v1, 0x100
	s_lshl_b32 s15, s14, 4
	v_lshl_or_b32 v13, v0, 4, v1
	s_branch .LBB203_37
.LBB203_36:                             ;   in Loop: Header=BB203_37 Depth=1
	s_add_i32 s14, s14, 1
	s_add_i32 s15, s15, 16
	s_cmp_ge_i32 s14, s25
	ds_write_b128 v14, v[9:12]
	s_cbranch_scc1 .LBB203_43
.LBB203_37:                             ; =>This Loop Header: Depth=1
                                        ;     Child Loop BB203_38 Depth 2
	s_lshl_b32 s10, s14, 6
	v_add_u32_e32 v14, s10, v25
	ds_read_b128 v[1:4], v14
	s_cmp_eq_u32 s14, 0
	v_mov_b32_e32 v5, v13
	s_mov_b32 s11, s15
	s_mov_b32 s16, s14
	s_cbranch_scc1 .LBB203_39
.LBB203_38:                             ;   Parent Loop BB203_37 Depth=1
                                        ; =>  This Inner Loop Header: Depth=2
	v_mov_b32_e32 v10, s11
	ds_read_b128 v[6:9], v5
	ds_read_b128 v[15:18], v10
	s_add_i32 s16, s16, -1
	s_add_i32 s11, s11, 64
	s_cmp_eq_u32 s16, 0
	v_add_u32_e32 v5, 64, v5
	s_waitcnt lgkmcnt(0)
	v_mul_f64 v[10:11], v[17:18], v[8:9]
	v_mul_f64 v[8:9], v[15:16], v[8:9]
	v_fma_f64 v[10:11], v[15:16], v[6:7], -v[10:11]
	v_fma_f64 v[6:7], v[17:18], v[6:7], v[8:9]
	v_add_f64 v[1:2], v[1:2], -v[10:11]
	v_add_f64 v[3:4], v[3:4], -v[6:7]
	s_cbranch_scc0 .LBB203_38
.LBB203_39:                             ;   in Loop: Header=BB203_37 Depth=1
	s_lshl_b32 s11, s14, 4
	s_add_i32 s10, s11, s10
	v_mov_b32_e32 v5, s10
	ds_read_b128 v[5:8], v5
	s_mov_b64 s[10:11], -1
                                        ; implicit-def: $vgpr9_vgpr10
	s_waitcnt lgkmcnt(0)
	v_cmp_ngt_f64_e64 s[16:17], |v[5:6]|, |v[7:8]|
	s_and_b64 vcc, exec, s[16:17]
	s_cbranch_vccz .LBB203_41
; %bb.40:                               ;   in Loop: Header=BB203_37 Depth=1
	v_div_scale_f64 v[9:10], s[10:11], v[7:8], v[7:8], v[5:6]
	v_rcp_f64_e32 v[11:12], v[9:10]
	v_fma_f64 v[15:16], -v[9:10], v[11:12], 1.0
	v_fma_f64 v[11:12], v[11:12], v[15:16], v[11:12]
	v_div_scale_f64 v[15:16], vcc, v[5:6], v[7:8], v[5:6]
	v_fma_f64 v[17:18], -v[9:10], v[11:12], 1.0
	v_fma_f64 v[11:12], v[11:12], v[17:18], v[11:12]
	v_mul_f64 v[17:18], v[15:16], v[11:12]
	v_fma_f64 v[9:10], -v[9:10], v[17:18], v[15:16]
	v_div_fmas_f64 v[9:10], v[9:10], v[11:12], v[17:18]
	v_div_fixup_f64 v[9:10], v[9:10], v[7:8], v[5:6]
	v_fma_f64 v[11:12], v[5:6], v[9:10], v[7:8]
	v_div_scale_f64 v[15:16], s[10:11], v[11:12], v[11:12], 1.0
	s_mov_b64 s[10:11], 0
	v_rcp_f64_e32 v[17:18], v[15:16]
	v_fma_f64 v[19:20], -v[15:16], v[17:18], 1.0
	v_fma_f64 v[17:18], v[17:18], v[19:20], v[17:18]
	v_div_scale_f64 v[19:20], vcc, 1.0, v[11:12], 1.0
	v_fma_f64 v[21:22], -v[15:16], v[17:18], 1.0
	v_fma_f64 v[17:18], v[17:18], v[21:22], v[17:18]
	v_mul_f64 v[21:22], v[19:20], v[17:18]
	v_fma_f64 v[15:16], -v[15:16], v[21:22], v[19:20]
	v_div_fmas_f64 v[15:16], v[15:16], v[17:18], v[21:22]
	v_fma_f64 v[17:18], v[1:2], v[9:10], v[3:4]
	v_div_fixup_f64 v[11:12], v[15:16], v[11:12], 1.0
	v_fma_f64 v[15:16], v[3:4], v[9:10], -v[1:2]
	v_mul_f64 v[9:10], v[17:18], v[11:12]
	v_mul_f64 v[11:12], v[15:16], v[11:12]
.LBB203_41:                             ;   in Loop: Header=BB203_37 Depth=1
	s_andn2_b64 vcc, exec, s[10:11]
	s_cbranch_vccnz .LBB203_36
; %bb.42:                               ;   in Loop: Header=BB203_37 Depth=1
	v_div_scale_f64 v[9:10], s[10:11], v[5:6], v[5:6], v[7:8]
	v_rcp_f64_e32 v[11:12], v[9:10]
	v_fma_f64 v[15:16], -v[9:10], v[11:12], 1.0
	v_fma_f64 v[11:12], v[11:12], v[15:16], v[11:12]
	v_div_scale_f64 v[15:16], vcc, v[7:8], v[5:6], v[7:8]
	v_fma_f64 v[17:18], -v[9:10], v[11:12], 1.0
	v_fma_f64 v[11:12], v[11:12], v[17:18], v[11:12]
	v_mul_f64 v[17:18], v[15:16], v[11:12]
	v_fma_f64 v[9:10], -v[9:10], v[17:18], v[15:16]
	v_div_fmas_f64 v[9:10], v[9:10], v[11:12], v[17:18]
	v_div_fixup_f64 v[9:10], v[9:10], v[5:6], v[7:8]
	v_fma_f64 v[5:6], v[7:8], v[9:10], v[5:6]
	v_div_scale_f64 v[7:8], s[10:11], v[5:6], v[5:6], 1.0
	v_rcp_f64_e32 v[11:12], v[7:8]
	v_fma_f64 v[15:16], -v[7:8], v[11:12], 1.0
	v_fma_f64 v[11:12], v[11:12], v[15:16], v[11:12]
	v_div_scale_f64 v[15:16], vcc, 1.0, v[5:6], 1.0
	v_fma_f64 v[17:18], -v[7:8], v[11:12], 1.0
	v_fma_f64 v[11:12], v[11:12], v[17:18], v[11:12]
	v_mul_f64 v[17:18], v[15:16], v[11:12]
	v_fma_f64 v[7:8], -v[7:8], v[17:18], v[15:16]
	v_div_fmas_f64 v[7:8], v[7:8], v[11:12], v[17:18]
	v_fma_f64 v[11:12], v[3:4], v[9:10], v[1:2]
	v_fma_f64 v[1:2], -v[1:2], v[9:10], v[3:4]
	v_div_fixup_f64 v[5:6], v[7:8], v[5:6], 1.0
	v_mul_f64 v[9:10], v[11:12], v[5:6]
	v_mul_f64 v[11:12], v[1:2], v[5:6]
	s_branch .LBB203_36
.LBB203_43:
	s_mov_b64 s[10:11], 0
.LBB203_44:
	s_and_b64 vcc, exec, s[10:11]
	s_cbranch_vccz .LBB203_76
; %bb.45:
	s_and_b64 vcc, exec, s[8:9]
	s_mov_b32 s14, s13
	s_cbranch_vccz .LBB203_67
; %bb.46:
	s_mul_i32 s15, s13, 0x50
	v_mov_b32_e32 v1, s15
	ds_read_b128 v[21:24], v1
	s_add_i32 s14, s25, -3
	s_lshl_b32 s17, s25, 6
	v_lshl_add_u32 v29, s13, 6, v25
	s_add_i32 s16, s25, -2
	s_waitcnt lgkmcnt(0)
	v_cmp_ngt_f64_e64 s[10:11], |v[21:22]|, |v[23:24]|
	v_lshl_add_u32 v27, s14, 6, v25
	s_addk_i32 s17, 0xff00
	v_lshl_add_u32 v28, s16, 6, v25
	ds_read_b128 v[17:20], v29
	ds_read_b128 v[13:16], v28
	v_add_u32_e32 v26, s17, v25
	ds_read_b128 v[9:12], v27
	ds_read_b128 v[1:4], v26
	s_and_b64 vcc, exec, s[10:11]
	s_cbranch_vccz .LBB203_48
; %bb.47:
	v_div_scale_f64 v[5:6], s[10:11], v[23:24], v[23:24], v[21:22]
	v_rcp_f64_e32 v[7:8], v[5:6]
	v_fma_f64 v[30:31], -v[5:6], v[7:8], 1.0
	v_fma_f64 v[7:8], v[7:8], v[30:31], v[7:8]
	v_div_scale_f64 v[30:31], vcc, v[21:22], v[23:24], v[21:22]
	v_fma_f64 v[32:33], -v[5:6], v[7:8], 1.0
	v_fma_f64 v[7:8], v[7:8], v[32:33], v[7:8]
	v_mul_f64 v[32:33], v[30:31], v[7:8]
	v_fma_f64 v[5:6], -v[5:6], v[32:33], v[30:31]
	v_div_fmas_f64 v[5:6], v[5:6], v[7:8], v[32:33]
	v_div_fixup_f64 v[5:6], v[5:6], v[23:24], v[21:22]
	v_fma_f64 v[7:8], v[21:22], v[5:6], v[23:24]
	v_div_scale_f64 v[30:31], s[10:11], v[7:8], v[7:8], 1.0
	s_mov_b64 s[10:11], 0
	v_rcp_f64_e32 v[32:33], v[30:31]
	v_fma_f64 v[34:35], -v[30:31], v[32:33], 1.0
	v_fma_f64 v[32:33], v[32:33], v[34:35], v[32:33]
	v_div_scale_f64 v[34:35], vcc, 1.0, v[7:8], 1.0
	v_fma_f64 v[36:37], -v[30:31], v[32:33], 1.0
	v_fma_f64 v[32:33], v[32:33], v[36:37], v[32:33]
	v_mul_f64 v[36:37], v[34:35], v[32:33]
	v_fma_f64 v[30:31], -v[30:31], v[36:37], v[34:35]
	v_div_fmas_f64 v[30:31], v[30:31], v[32:33], v[36:37]
	s_waitcnt lgkmcnt(3)
	v_fma_f64 v[32:33], v[17:18], v[5:6], v[19:20]
	v_div_fixup_f64 v[7:8], v[30:31], v[7:8], 1.0
	v_fma_f64 v[30:31], v[19:20], v[5:6], -v[17:18]
	v_mul_f64 v[5:6], v[32:33], v[7:8]
	v_mul_f64 v[7:8], v[30:31], v[7:8]
	s_branch .LBB203_49
.LBB203_48:
	s_mov_b64 s[10:11], -1
                                        ; implicit-def: $vgpr7_vgpr8
.LBB203_49:
	s_andn2_b64 vcc, exec, s[10:11]
	s_cbranch_vccnz .LBB203_51
; %bb.50:
	v_div_scale_f64 v[5:6], s[10:11], v[21:22], v[21:22], v[23:24]
	v_rcp_f64_e32 v[7:8], v[5:6]
	v_fma_f64 v[30:31], -v[5:6], v[7:8], 1.0
	v_fma_f64 v[7:8], v[7:8], v[30:31], v[7:8]
	v_div_scale_f64 v[30:31], vcc, v[23:24], v[21:22], v[23:24]
	v_fma_f64 v[32:33], -v[5:6], v[7:8], 1.0
	v_fma_f64 v[7:8], v[7:8], v[32:33], v[7:8]
	v_mul_f64 v[32:33], v[30:31], v[7:8]
	v_fma_f64 v[5:6], -v[5:6], v[32:33], v[30:31]
	v_div_fmas_f64 v[5:6], v[5:6], v[7:8], v[32:33]
	v_div_fixup_f64 v[5:6], v[5:6], v[21:22], v[23:24]
	v_fma_f64 v[7:8], v[23:24], v[5:6], v[21:22]
	v_div_scale_f64 v[21:22], s[10:11], v[7:8], v[7:8], 1.0
	v_rcp_f64_e32 v[23:24], v[21:22]
	v_fma_f64 v[30:31], -v[21:22], v[23:24], 1.0
	v_fma_f64 v[23:24], v[23:24], v[30:31], v[23:24]
	v_div_scale_f64 v[30:31], vcc, 1.0, v[7:8], 1.0
	v_fma_f64 v[32:33], -v[21:22], v[23:24], 1.0
	v_fma_f64 v[23:24], v[23:24], v[32:33], v[23:24]
	v_mul_f64 v[32:33], v[30:31], v[23:24]
	v_fma_f64 v[21:22], -v[21:22], v[32:33], v[30:31]
	v_div_fmas_f64 v[21:22], v[21:22], v[23:24], v[32:33]
	s_waitcnt lgkmcnt(3)
	v_fma_f64 v[23:24], v[19:20], v[5:6], v[17:18]
	v_fma_f64 v[17:18], -v[17:18], v[5:6], v[19:20]
	v_div_fixup_f64 v[7:8], v[21:22], v[7:8], 1.0
	v_mul_f64 v[5:6], v[23:24], v[7:8]
	v_mul_f64 v[7:8], v[17:18], v[7:8]
.LBB203_51:
	s_lshl_b32 s10, s13, 4
	s_sub_i32 s17, s15, s10
	s_lshl_b32 s16, s16, 4
	s_add_i32 s10, s17, s16
	s_waitcnt lgkmcnt(3)
	v_mov_b32_e32 v17, s10
	ds_read_b128 v[21:24], v17
	s_addk_i32 s15, 0xffb0
	v_mov_b32_e32 v17, s15
	ds_read_b128 v[17:20], v17
	ds_write_b128 v29, v[5:8]
	s_waitcnt lgkmcnt(2)
	v_mul_f64 v[30:31], v[7:8], v[23:24]
	v_mul_f64 v[23:24], v[5:6], v[23:24]
	s_waitcnt lgkmcnt(1)
	v_cmp_ngt_f64_e64 s[10:11], |v[17:18]|, |v[19:20]|
	v_fma_f64 v[30:31], v[5:6], v[21:22], -v[30:31]
	v_fma_f64 v[23:24], v[7:8], v[21:22], v[23:24]
	s_and_b64 vcc, exec, s[10:11]
	v_add_f64 v[21:22], v[13:14], -v[30:31]
	v_add_f64 v[23:24], v[15:16], -v[23:24]
	s_cbranch_vccz .LBB203_53
; %bb.52:
	v_div_scale_f64 v[13:14], s[10:11], v[19:20], v[19:20], v[17:18]
	v_rcp_f64_e32 v[15:16], v[13:14]
	v_fma_f64 v[29:30], -v[13:14], v[15:16], 1.0
	v_fma_f64 v[15:16], v[15:16], v[29:30], v[15:16]
	v_div_scale_f64 v[29:30], vcc, v[17:18], v[19:20], v[17:18]
	v_fma_f64 v[31:32], -v[13:14], v[15:16], 1.0
	v_fma_f64 v[15:16], v[15:16], v[31:32], v[15:16]
	v_mul_f64 v[31:32], v[29:30], v[15:16]
	v_fma_f64 v[13:14], -v[13:14], v[31:32], v[29:30]
	v_div_fmas_f64 v[13:14], v[13:14], v[15:16], v[31:32]
	v_div_fixup_f64 v[13:14], v[13:14], v[19:20], v[17:18]
	v_fma_f64 v[15:16], v[17:18], v[13:14], v[19:20]
	v_div_scale_f64 v[29:30], s[10:11], v[15:16], v[15:16], 1.0
	s_mov_b64 s[10:11], 0
	v_rcp_f64_e32 v[31:32], v[29:30]
	v_fma_f64 v[33:34], -v[29:30], v[31:32], 1.0
	v_fma_f64 v[31:32], v[31:32], v[33:34], v[31:32]
	v_div_scale_f64 v[33:34], vcc, 1.0, v[15:16], 1.0
	v_fma_f64 v[35:36], -v[29:30], v[31:32], 1.0
	v_fma_f64 v[31:32], v[31:32], v[35:36], v[31:32]
	v_mul_f64 v[35:36], v[33:34], v[31:32]
	v_fma_f64 v[29:30], -v[29:30], v[35:36], v[33:34]
	v_div_fmas_f64 v[29:30], v[29:30], v[31:32], v[35:36]
	v_fma_f64 v[31:32], v[13:14], v[21:22], v[23:24]
	v_div_fixup_f64 v[15:16], v[29:30], v[15:16], 1.0
	v_fma_f64 v[29:30], v[13:14], v[23:24], -v[21:22]
	v_mul_f64 v[13:14], v[31:32], v[15:16]
	v_mul_f64 v[15:16], v[29:30], v[15:16]
	s_branch .LBB203_54
.LBB203_53:
	s_mov_b64 s[10:11], -1
                                        ; implicit-def: $vgpr15_vgpr16
.LBB203_54:
	s_andn2_b64 vcc, exec, s[10:11]
	s_cbranch_vccnz .LBB203_56
; %bb.55:
	v_div_scale_f64 v[13:14], s[10:11], v[17:18], v[17:18], v[19:20]
	v_rcp_f64_e32 v[15:16], v[13:14]
	v_fma_f64 v[29:30], -v[13:14], v[15:16], 1.0
	v_fma_f64 v[15:16], v[15:16], v[29:30], v[15:16]
	v_div_scale_f64 v[29:30], vcc, v[19:20], v[17:18], v[19:20]
	v_fma_f64 v[31:32], -v[13:14], v[15:16], 1.0
	v_fma_f64 v[15:16], v[15:16], v[31:32], v[15:16]
	v_mul_f64 v[31:32], v[29:30], v[15:16]
	v_fma_f64 v[13:14], -v[13:14], v[31:32], v[29:30]
	v_div_fmas_f64 v[13:14], v[13:14], v[15:16], v[31:32]
	v_div_fixup_f64 v[13:14], v[13:14], v[17:18], v[19:20]
	v_fma_f64 v[15:16], v[19:20], v[13:14], v[17:18]
	v_div_scale_f64 v[17:18], s[10:11], v[15:16], v[15:16], 1.0
	v_rcp_f64_e32 v[19:20], v[17:18]
	v_fma_f64 v[29:30], -v[17:18], v[19:20], 1.0
	v_fma_f64 v[19:20], v[19:20], v[29:30], v[19:20]
	v_div_scale_f64 v[29:30], vcc, 1.0, v[15:16], 1.0
	v_fma_f64 v[31:32], -v[17:18], v[19:20], 1.0
	v_fma_f64 v[19:20], v[19:20], v[31:32], v[19:20]
	v_mul_f64 v[31:32], v[29:30], v[19:20]
	v_fma_f64 v[17:18], -v[17:18], v[31:32], v[29:30]
	v_div_fmas_f64 v[17:18], v[17:18], v[19:20], v[31:32]
	v_fma_f64 v[19:20], v[13:14], v[23:24], v[21:22]
	v_div_fixup_f64 v[15:16], v[17:18], v[15:16], 1.0
	v_fma_f64 v[17:18], -v[13:14], v[21:22], v[23:24]
	v_mul_f64 v[13:14], v[19:20], v[15:16]
	v_mul_f64 v[15:16], v[17:18], v[15:16]
.LBB203_56:
	s_lshl_b32 s10, s14, 4
	s_add_i32 s11, s17, s10
	v_mov_b32_e32 v17, s11
	ds_read_b128 v[17:20], v17
	s_sub_i32 s16, s15, s16
	s_add_i32 s10, s16, s10
	v_mov_b32_e32 v21, s10
	ds_read_b128 v[21:24], v21
	s_waitcnt lgkmcnt(1)
	v_mul_f64 v[29:30], v[7:8], v[19:20]
	v_mul_f64 v[19:20], v[5:6], v[19:20]
	s_add_i32 s14, s15, 0xffffffb0
	ds_write_b128 v28, v[13:16]
	s_waitcnt lgkmcnt(1)
	v_mul_f64 v[31:32], v[15:16], v[23:24]
	v_mul_f64 v[23:24], v[13:14], v[23:24]
	v_fma_f64 v[29:30], v[5:6], v[17:18], -v[29:30]
	v_fma_f64 v[33:34], v[7:8], v[17:18], v[19:20]
	v_mov_b32_e32 v17, s14
	ds_read_b128 v[17:20], v17
	v_fma_f64 v[31:32], v[13:14], v[21:22], -v[31:32]
	v_fma_f64 v[23:24], v[15:16], v[21:22], v[23:24]
	s_waitcnt lgkmcnt(0)
	v_cmp_ngt_f64_e64 s[10:11], |v[17:18]|, |v[19:20]|
	v_add_f64 v[9:10], v[9:10], -v[29:30]
	v_add_f64 v[11:12], v[11:12], -v[33:34]
	s_and_b64 vcc, exec, s[10:11]
	v_add_f64 v[21:22], v[9:10], -v[31:32]
	v_add_f64 v[23:24], v[11:12], -v[23:24]
	s_cbranch_vccz .LBB203_58
; %bb.57:
	v_div_scale_f64 v[9:10], s[10:11], v[19:20], v[19:20], v[17:18]
	v_rcp_f64_e32 v[11:12], v[9:10]
	v_fma_f64 v[28:29], -v[9:10], v[11:12], 1.0
	v_fma_f64 v[11:12], v[11:12], v[28:29], v[11:12]
	v_div_scale_f64 v[28:29], vcc, v[17:18], v[19:20], v[17:18]
	v_fma_f64 v[30:31], -v[9:10], v[11:12], 1.0
	v_fma_f64 v[11:12], v[11:12], v[30:31], v[11:12]
	v_mul_f64 v[30:31], v[28:29], v[11:12]
	v_fma_f64 v[9:10], -v[9:10], v[30:31], v[28:29]
	v_div_fmas_f64 v[9:10], v[9:10], v[11:12], v[30:31]
	v_div_fixup_f64 v[9:10], v[9:10], v[19:20], v[17:18]
	v_fma_f64 v[11:12], v[17:18], v[9:10], v[19:20]
	v_div_scale_f64 v[28:29], s[10:11], v[11:12], v[11:12], 1.0
	s_mov_b64 s[10:11], 0
	v_rcp_f64_e32 v[30:31], v[28:29]
	v_fma_f64 v[32:33], -v[28:29], v[30:31], 1.0
	v_fma_f64 v[30:31], v[30:31], v[32:33], v[30:31]
	v_div_scale_f64 v[32:33], vcc, 1.0, v[11:12], 1.0
	v_fma_f64 v[34:35], -v[28:29], v[30:31], 1.0
	v_fma_f64 v[30:31], v[30:31], v[34:35], v[30:31]
	v_mul_f64 v[34:35], v[32:33], v[30:31]
	v_fma_f64 v[28:29], -v[28:29], v[34:35], v[32:33]
	v_div_fmas_f64 v[28:29], v[28:29], v[30:31], v[34:35]
	v_fma_f64 v[30:31], v[9:10], v[21:22], v[23:24]
	v_div_fixup_f64 v[11:12], v[28:29], v[11:12], 1.0
	v_fma_f64 v[28:29], v[9:10], v[23:24], -v[21:22]
	v_mul_f64 v[9:10], v[30:31], v[11:12]
	v_mul_f64 v[11:12], v[28:29], v[11:12]
	s_branch .LBB203_59
.LBB203_58:
	s_mov_b64 s[10:11], -1
                                        ; implicit-def: $vgpr11_vgpr12
.LBB203_59:
	s_andn2_b64 vcc, exec, s[10:11]
	s_cbranch_vccnz .LBB203_61
; %bb.60:
	v_div_scale_f64 v[9:10], s[10:11], v[17:18], v[17:18], v[19:20]
	v_rcp_f64_e32 v[11:12], v[9:10]
	v_fma_f64 v[28:29], -v[9:10], v[11:12], 1.0
	v_fma_f64 v[11:12], v[11:12], v[28:29], v[11:12]
	v_div_scale_f64 v[28:29], vcc, v[19:20], v[17:18], v[19:20]
	v_fma_f64 v[30:31], -v[9:10], v[11:12], 1.0
	v_fma_f64 v[11:12], v[11:12], v[30:31], v[11:12]
	v_mul_f64 v[30:31], v[28:29], v[11:12]
	v_fma_f64 v[9:10], -v[9:10], v[30:31], v[28:29]
	v_div_fmas_f64 v[9:10], v[9:10], v[11:12], v[30:31]
	v_div_fixup_f64 v[9:10], v[9:10], v[17:18], v[19:20]
	v_fma_f64 v[11:12], v[19:20], v[9:10], v[17:18]
	v_div_scale_f64 v[17:18], s[10:11], v[11:12], v[11:12], 1.0
	v_rcp_f64_e32 v[19:20], v[17:18]
	v_fma_f64 v[28:29], -v[17:18], v[19:20], 1.0
	v_fma_f64 v[19:20], v[19:20], v[28:29], v[19:20]
	v_div_scale_f64 v[28:29], vcc, 1.0, v[11:12], 1.0
	v_fma_f64 v[30:31], -v[17:18], v[19:20], 1.0
	v_fma_f64 v[19:20], v[19:20], v[30:31], v[19:20]
	v_mul_f64 v[30:31], v[28:29], v[19:20]
	v_fma_f64 v[17:18], -v[17:18], v[30:31], v[28:29]
	v_div_fmas_f64 v[17:18], v[17:18], v[19:20], v[30:31]
	v_fma_f64 v[19:20], v[9:10], v[23:24], v[21:22]
	v_div_fixup_f64 v[11:12], v[17:18], v[11:12], 1.0
	v_fma_f64 v[17:18], -v[9:10], v[21:22], v[23:24]
	v_mul_f64 v[9:10], v[19:20], v[11:12]
	v_mul_f64 v[11:12], v[17:18], v[11:12]
.LBB203_61:
	s_lshl_b32 s10, s25, 4
	s_add_i32 s10, s16, s10
	v_mov_b32_e32 v17, s10
	ds_read_b128 v[17:20], v17
	s_sub_i32 s11, s10, 64
	v_mov_b32_e32 v21, s11
	ds_read_b128 v[21:24], v21
	s_addk_i32 s10, 0xff80
	s_waitcnt lgkmcnt(1)
	v_mul_f64 v[28:29], v[7:8], v[19:20]
	v_mul_f64 v[19:20], v[5:6], v[19:20]
	v_mov_b32_e32 v34, s10
	s_add_i32 s10, s14, 0xffffffb0
	ds_write_b128 v27, v[9:12]
	v_fma_f64 v[28:29], v[5:6], v[17:18], -v[28:29]
	v_mov_b32_e32 v5, s10
	v_fma_f64 v[32:33], v[7:8], v[17:18], v[19:20]
	ds_read_b128 v[5:8], v5
	s_waitcnt lgkmcnt(2)
	v_mul_f64 v[30:31], v[15:16], v[23:24]
	v_mul_f64 v[23:24], v[13:14], v[23:24]
	ds_read_b128 v[17:20], v34
	s_waitcnt lgkmcnt(1)
	v_cmp_ngt_f64_e64 s[10:11], |v[5:6]|, |v[7:8]|
	v_add_f64 v[1:2], v[1:2], -v[28:29]
	v_add_f64 v[3:4], v[3:4], -v[32:33]
	s_waitcnt lgkmcnt(0)
	v_mul_f64 v[34:35], v[11:12], v[19:20]
	v_fma_f64 v[13:14], v[13:14], v[21:22], -v[30:31]
	v_fma_f64 v[15:16], v[15:16], v[21:22], v[23:24]
	v_mul_f64 v[19:20], v[9:10], v[19:20]
	s_and_b64 vcc, exec, s[10:11]
	v_fma_f64 v[21:22], v[9:10], v[17:18], -v[34:35]
	v_add_f64 v[1:2], v[1:2], -v[13:14]
	v_add_f64 v[3:4], v[3:4], -v[15:16]
	v_fma_f64 v[17:18], v[11:12], v[17:18], v[19:20]
	v_add_f64 v[13:14], v[1:2], -v[21:22]
	v_add_f64 v[15:16], v[3:4], -v[17:18]
	s_cbranch_vccz .LBB203_63
; %bb.62:
	v_div_scale_f64 v[1:2], s[10:11], v[7:8], v[7:8], v[5:6]
	v_rcp_f64_e32 v[3:4], v[1:2]
	v_fma_f64 v[9:10], -v[1:2], v[3:4], 1.0
	v_fma_f64 v[3:4], v[3:4], v[9:10], v[3:4]
	v_div_scale_f64 v[9:10], vcc, v[5:6], v[7:8], v[5:6]
	v_fma_f64 v[11:12], -v[1:2], v[3:4], 1.0
	v_fma_f64 v[3:4], v[3:4], v[11:12], v[3:4]
	v_mul_f64 v[11:12], v[9:10], v[3:4]
	v_fma_f64 v[1:2], -v[1:2], v[11:12], v[9:10]
	v_div_fmas_f64 v[1:2], v[1:2], v[3:4], v[11:12]
	v_div_fixup_f64 v[1:2], v[1:2], v[7:8], v[5:6]
	v_fma_f64 v[3:4], v[5:6], v[1:2], v[7:8]
	v_div_scale_f64 v[9:10], s[10:11], v[3:4], v[3:4], 1.0
	s_mov_b64 s[10:11], 0
	v_rcp_f64_e32 v[11:12], v[9:10]
	v_fma_f64 v[17:18], -v[9:10], v[11:12], 1.0
	v_fma_f64 v[11:12], v[11:12], v[17:18], v[11:12]
	v_div_scale_f64 v[17:18], vcc, 1.0, v[3:4], 1.0
	v_fma_f64 v[19:20], -v[9:10], v[11:12], 1.0
	v_fma_f64 v[11:12], v[11:12], v[19:20], v[11:12]
	v_mul_f64 v[19:20], v[17:18], v[11:12]
	v_fma_f64 v[9:10], -v[9:10], v[19:20], v[17:18]
	v_div_fmas_f64 v[9:10], v[9:10], v[11:12], v[19:20]
	v_fma_f64 v[11:12], v[1:2], v[13:14], v[15:16]
	v_div_fixup_f64 v[3:4], v[9:10], v[3:4], 1.0
	v_fma_f64 v[9:10], v[1:2], v[15:16], -v[13:14]
	v_mul_f64 v[1:2], v[11:12], v[3:4]
	v_mul_f64 v[3:4], v[9:10], v[3:4]
	s_branch .LBB203_64
.LBB203_63:
	s_mov_b64 s[10:11], -1
                                        ; implicit-def: $vgpr3_vgpr4
.LBB203_64:
	s_andn2_b64 vcc, exec, s[10:11]
	s_cbranch_vccnz .LBB203_66
; %bb.65:
	v_div_scale_f64 v[1:2], s[10:11], v[5:6], v[5:6], v[7:8]
	v_rcp_f64_e32 v[3:4], v[1:2]
	v_fma_f64 v[9:10], -v[1:2], v[3:4], 1.0
	v_fma_f64 v[3:4], v[3:4], v[9:10], v[3:4]
	v_div_scale_f64 v[9:10], vcc, v[7:8], v[5:6], v[7:8]
	v_fma_f64 v[11:12], -v[1:2], v[3:4], 1.0
	v_fma_f64 v[3:4], v[3:4], v[11:12], v[3:4]
	v_mul_f64 v[11:12], v[9:10], v[3:4]
	v_fma_f64 v[1:2], -v[1:2], v[11:12], v[9:10]
	v_div_fmas_f64 v[1:2], v[1:2], v[3:4], v[11:12]
	v_div_fixup_f64 v[1:2], v[1:2], v[5:6], v[7:8]
	v_fma_f64 v[3:4], v[7:8], v[1:2], v[5:6]
	v_div_scale_f64 v[5:6], s[10:11], v[3:4], v[3:4], 1.0
	v_rcp_f64_e32 v[7:8], v[5:6]
	v_fma_f64 v[9:10], -v[5:6], v[7:8], 1.0
	v_fma_f64 v[7:8], v[7:8], v[9:10], v[7:8]
	v_div_scale_f64 v[9:10], vcc, 1.0, v[3:4], 1.0
	v_fma_f64 v[11:12], -v[5:6], v[7:8], 1.0
	v_fma_f64 v[7:8], v[7:8], v[11:12], v[7:8]
	v_mul_f64 v[11:12], v[9:10], v[7:8]
	v_fma_f64 v[5:6], -v[5:6], v[11:12], v[9:10]
	v_div_fmas_f64 v[5:6], v[5:6], v[7:8], v[11:12]
	v_fma_f64 v[7:8], v[1:2], v[15:16], v[13:14]
	v_div_fixup_f64 v[3:4], v[5:6], v[3:4], 1.0
	v_fma_f64 v[5:6], -v[1:2], v[13:14], v[15:16]
	v_mul_f64 v[1:2], v[7:8], v[3:4]
	v_mul_f64 v[3:4], v[5:6], v[3:4]
.LBB203_66:
	ds_write_b128 v26, v[1:4]
	s_add_i32 s14, s25, -5
.LBB203_67:
	s_cmp_lt_i32 s14, 0
	s_cbranch_scc1 .LBB203_76
; %bb.68:
	s_lshl_b32 s10, s25, 6
	s_lshl_b32 s11, s14, 4
	s_add_i32 s11, s10, s11
	v_lshl_or_b32 v1, v0, 4, s10
	s_sub_i32 s15, s11, 64
	v_add_u32_e32 v13, 0xc0, v1
	s_branch .LBB203_70
.LBB203_69:                             ;   in Loop: Header=BB203_70 Depth=1
	v_sub_co_u32_e64 v1, s[10:11], s14, 1
	v_readfirstlane_b32 s14, v1
	s_add_i32 s15, s15, -16
	s_and_b64 vcc, exec, s[10:11]
	ds_write_b128 v14, v[9:12]
	s_cbranch_vccnz .LBB203_76
.LBB203_70:                             ; =>This Loop Header: Depth=1
                                        ;     Child Loop BB203_71 Depth 2
	s_lshl_b32 s10, s14, 6
	v_add_u32_e32 v14, s10, v25
	ds_read_b128 v[1:4], v14
	s_cmp_le_i32 s13, s14
	v_mov_b32_e32 v5, v13
	s_mov_b32 s11, s15
	s_mov_b32 s16, s13
	s_cbranch_scc1 .LBB203_72
.LBB203_71:                             ;   Parent Loop BB203_70 Depth=1
                                        ; =>  This Inner Loop Header: Depth=2
	v_mov_b32_e32 v10, s11
	ds_read_b128 v[6:9], v5
	ds_read_b128 v[15:18], v10
	s_add_i32 s16, s16, -1
	s_sub_i32 s11, s11, 64
	s_cmp_le_u32 s16, s14
	v_subrev_u32_e32 v5, 64, v5
	s_waitcnt lgkmcnt(0)
	v_mul_f64 v[10:11], v[17:18], v[8:9]
	v_mul_f64 v[8:9], v[15:16], v[8:9]
	v_fma_f64 v[10:11], v[15:16], v[6:7], -v[10:11]
	v_fma_f64 v[6:7], v[17:18], v[6:7], v[8:9]
	v_add_f64 v[1:2], v[1:2], -v[10:11]
	v_add_f64 v[3:4], v[3:4], -v[6:7]
	s_cbranch_scc0 .LBB203_71
.LBB203_72:                             ;   in Loop: Header=BB203_70 Depth=1
	s_lshl_b32 s11, s14, 4
	s_add_i32 s10, s11, s10
	v_mov_b32_e32 v5, s10
	ds_read_b128 v[5:8], v5
	s_mov_b64 s[10:11], -1
                                        ; implicit-def: $vgpr9_vgpr10
	s_waitcnt lgkmcnt(0)
	v_cmp_ngt_f64_e64 s[16:17], |v[5:6]|, |v[7:8]|
	s_and_b64 vcc, exec, s[16:17]
	s_cbranch_vccz .LBB203_74
; %bb.73:                               ;   in Loop: Header=BB203_70 Depth=1
	v_div_scale_f64 v[9:10], s[10:11], v[7:8], v[7:8], v[5:6]
	v_rcp_f64_e32 v[11:12], v[9:10]
	v_fma_f64 v[15:16], -v[9:10], v[11:12], 1.0
	v_fma_f64 v[11:12], v[11:12], v[15:16], v[11:12]
	v_div_scale_f64 v[15:16], vcc, v[5:6], v[7:8], v[5:6]
	v_fma_f64 v[17:18], -v[9:10], v[11:12], 1.0
	v_fma_f64 v[11:12], v[11:12], v[17:18], v[11:12]
	v_mul_f64 v[17:18], v[15:16], v[11:12]
	v_fma_f64 v[9:10], -v[9:10], v[17:18], v[15:16]
	v_div_fmas_f64 v[9:10], v[9:10], v[11:12], v[17:18]
	v_div_fixup_f64 v[9:10], v[9:10], v[7:8], v[5:6]
	v_fma_f64 v[11:12], v[5:6], v[9:10], v[7:8]
	v_div_scale_f64 v[15:16], s[10:11], v[11:12], v[11:12], 1.0
	s_mov_b64 s[10:11], 0
	v_rcp_f64_e32 v[17:18], v[15:16]
	v_fma_f64 v[19:20], -v[15:16], v[17:18], 1.0
	v_fma_f64 v[17:18], v[17:18], v[19:20], v[17:18]
	v_div_scale_f64 v[19:20], vcc, 1.0, v[11:12], 1.0
	v_fma_f64 v[21:22], -v[15:16], v[17:18], 1.0
	v_fma_f64 v[17:18], v[17:18], v[21:22], v[17:18]
	v_mul_f64 v[21:22], v[19:20], v[17:18]
	v_fma_f64 v[15:16], -v[15:16], v[21:22], v[19:20]
	v_div_fmas_f64 v[15:16], v[15:16], v[17:18], v[21:22]
	v_fma_f64 v[17:18], v[1:2], v[9:10], v[3:4]
	v_div_fixup_f64 v[11:12], v[15:16], v[11:12], 1.0
	v_fma_f64 v[15:16], v[3:4], v[9:10], -v[1:2]
	v_mul_f64 v[9:10], v[17:18], v[11:12]
	v_mul_f64 v[11:12], v[15:16], v[11:12]
.LBB203_74:                             ;   in Loop: Header=BB203_70 Depth=1
	s_andn2_b64 vcc, exec, s[10:11]
	s_cbranch_vccnz .LBB203_69
; %bb.75:                               ;   in Loop: Header=BB203_70 Depth=1
	v_div_scale_f64 v[9:10], s[10:11], v[5:6], v[5:6], v[7:8]
	v_rcp_f64_e32 v[11:12], v[9:10]
	v_fma_f64 v[15:16], -v[9:10], v[11:12], 1.0
	v_fma_f64 v[11:12], v[11:12], v[15:16], v[11:12]
	v_div_scale_f64 v[15:16], vcc, v[7:8], v[5:6], v[7:8]
	v_fma_f64 v[17:18], -v[9:10], v[11:12], 1.0
	v_fma_f64 v[11:12], v[11:12], v[17:18], v[11:12]
	v_mul_f64 v[17:18], v[15:16], v[11:12]
	v_fma_f64 v[9:10], -v[9:10], v[17:18], v[15:16]
	v_div_fmas_f64 v[9:10], v[9:10], v[11:12], v[17:18]
	v_div_fixup_f64 v[9:10], v[9:10], v[5:6], v[7:8]
	v_fma_f64 v[5:6], v[7:8], v[9:10], v[5:6]
	v_div_scale_f64 v[7:8], s[10:11], v[5:6], v[5:6], 1.0
	v_rcp_f64_e32 v[11:12], v[7:8]
	v_fma_f64 v[15:16], -v[7:8], v[11:12], 1.0
	v_fma_f64 v[11:12], v[11:12], v[15:16], v[11:12]
	v_div_scale_f64 v[15:16], vcc, 1.0, v[5:6], 1.0
	v_fma_f64 v[17:18], -v[7:8], v[11:12], 1.0
	v_fma_f64 v[11:12], v[11:12], v[17:18], v[11:12]
	v_mul_f64 v[17:18], v[15:16], v[11:12]
	v_fma_f64 v[7:8], -v[7:8], v[17:18], v[15:16]
	v_div_fmas_f64 v[7:8], v[7:8], v[11:12], v[17:18]
	v_fma_f64 v[11:12], v[3:4], v[9:10], v[1:2]
	v_fma_f64 v[1:2], -v[1:2], v[9:10], v[3:4]
	v_div_fixup_f64 v[5:6], v[7:8], v[5:6], 1.0
	v_mul_f64 v[9:10], v[11:12], v[5:6]
	v_mul_f64 v[11:12], v[1:2], v[5:6]
	s_branch .LBB203_69
.LBB203_76:
	s_mov_b64 s[14:15], 0
.LBB203_77:
	s_andn2_b64 vcc, exec, s[14:15]
	s_cbranch_vccnz .LBB203_105
; %bb.78:
	s_and_b64 vcc, exec, s[8:9]
	s_mov_b32 s10, s13
	s_cbranch_vccz .LBB203_96
; %bb.79:
	s_lshl_b32 s8, s13, 6
	v_add_u32_e32 v29, s8, v25
	s_mul_i32 s8, s13, 0x50
	v_mov_b32_e32 v1, s8
	ds_read_b128 v[21:24], v1
	s_add_i32 s14, s25, -2
	v_lshl_add_u32 v28, s14, 6, v25
	s_add_i32 s15, s25, -3
	s_add_i32 s10, s25, -4
	s_waitcnt lgkmcnt(0)
	v_cmp_ngt_f64_e64 s[8:9], |v[21:22]|, |v[23:24]|
	v_lshl_add_u32 v27, s15, 6, v25
	ds_read_b128 v[13:16], v28
	ds_read_b128 v[9:12], v27
	v_lshl_add_u32 v26, s10, 6, v25
	ds_read_b128 v[17:20], v29
	ds_read_b128 v[1:4], v26
	s_and_b64 vcc, exec, s[8:9]
	s_cbranch_vccz .LBB203_81
; %bb.80:
	v_div_scale_f64 v[5:6], s[8:9], v[23:24], v[23:24], v[21:22]
	v_rcp_f64_e32 v[7:8], v[5:6]
	v_fma_f64 v[30:31], -v[5:6], v[7:8], 1.0
	v_fma_f64 v[7:8], v[7:8], v[30:31], v[7:8]
	v_div_scale_f64 v[30:31], vcc, v[21:22], v[23:24], v[21:22]
	v_fma_f64 v[32:33], -v[5:6], v[7:8], 1.0
	v_fma_f64 v[7:8], v[7:8], v[32:33], v[7:8]
	v_mul_f64 v[32:33], v[30:31], v[7:8]
	v_fma_f64 v[5:6], -v[5:6], v[32:33], v[30:31]
	v_div_fmas_f64 v[5:6], v[5:6], v[7:8], v[32:33]
	v_div_fixup_f64 v[5:6], v[5:6], v[23:24], v[21:22]
	v_fma_f64 v[7:8], v[21:22], v[5:6], v[23:24]
	v_div_scale_f64 v[30:31], s[8:9], v[7:8], v[7:8], 1.0
	v_rcp_f64_e32 v[32:33], v[30:31]
	v_fma_f64 v[34:35], -v[30:31], v[32:33], 1.0
	v_fma_f64 v[32:33], v[32:33], v[34:35], v[32:33]
	v_div_scale_f64 v[34:35], vcc, 1.0, v[7:8], 1.0
	v_fma_f64 v[36:37], -v[30:31], v[32:33], 1.0
	v_fma_f64 v[32:33], v[32:33], v[36:37], v[32:33]
	v_mul_f64 v[36:37], v[34:35], v[32:33]
	v_fma_f64 v[30:31], -v[30:31], v[36:37], v[34:35]
	v_div_fmas_f64 v[30:31], v[30:31], v[32:33], v[36:37]
	s_waitcnt lgkmcnt(1)
	v_fma_f64 v[32:33], v[17:18], v[5:6], v[19:20]
	v_div_fixup_f64 v[7:8], v[30:31], v[7:8], 1.0
	v_fma_f64 v[30:31], v[19:20], v[5:6], -v[17:18]
	v_mul_f64 v[5:6], v[32:33], v[7:8]
	v_mul_f64 v[7:8], v[30:31], v[7:8]
	s_lshl_b32 s8, s14, 2
	s_cbranch_execz .LBB203_82
	s_branch .LBB203_83
.LBB203_81:
                                        ; implicit-def: $vgpr7_vgpr8
	s_lshl_b32 s8, s14, 2
.LBB203_82:
	v_div_scale_f64 v[5:6], s[16:17], v[21:22], v[21:22], v[23:24]
	v_rcp_f64_e32 v[7:8], v[5:6]
	v_fma_f64 v[30:31], -v[5:6], v[7:8], 1.0
	v_fma_f64 v[7:8], v[7:8], v[30:31], v[7:8]
	v_div_scale_f64 v[30:31], vcc, v[23:24], v[21:22], v[23:24]
	v_fma_f64 v[32:33], -v[5:6], v[7:8], 1.0
	v_fma_f64 v[7:8], v[7:8], v[32:33], v[7:8]
	v_mul_f64 v[32:33], v[30:31], v[7:8]
	v_fma_f64 v[5:6], -v[5:6], v[32:33], v[30:31]
	v_div_fmas_f64 v[5:6], v[5:6], v[7:8], v[32:33]
	v_div_fixup_f64 v[5:6], v[5:6], v[21:22], v[23:24]
	v_fma_f64 v[7:8], v[23:24], v[5:6], v[21:22]
	v_div_scale_f64 v[21:22], s[16:17], v[7:8], v[7:8], 1.0
	v_rcp_f64_e32 v[23:24], v[21:22]
	v_fma_f64 v[30:31], -v[21:22], v[23:24], 1.0
	v_fma_f64 v[23:24], v[23:24], v[30:31], v[23:24]
	v_div_scale_f64 v[30:31], vcc, 1.0, v[7:8], 1.0
	v_fma_f64 v[32:33], -v[21:22], v[23:24], 1.0
	v_fma_f64 v[23:24], v[23:24], v[32:33], v[23:24]
	v_mul_f64 v[32:33], v[30:31], v[23:24]
	v_fma_f64 v[21:22], -v[21:22], v[32:33], v[30:31]
	v_div_fmas_f64 v[21:22], v[21:22], v[23:24], v[32:33]
	s_waitcnt lgkmcnt(1)
	v_fma_f64 v[23:24], v[19:20], v[5:6], v[17:18]
	v_fma_f64 v[17:18], -v[17:18], v[5:6], v[19:20]
	v_div_fixup_f64 v[7:8], v[21:22], v[7:8], 1.0
	v_mul_f64 v[5:6], v[23:24], v[7:8]
	v_mul_f64 v[7:8], v[17:18], v[7:8]
.LBB203_83:
	s_lshl_b32 s8, s8, 4
	s_lshl_b32 s11, s13, 4
	s_add_i32 s9, s8, s11
	s_waitcnt lgkmcnt(1)
	v_mov_b32_e32 v17, s9
	ds_read_b128 v[21:24], v17
	s_lshl_b32 s14, s14, 4
	s_add_i32 s8, s8, s14
	v_mov_b32_e32 v17, s8
	ds_read_b128 v[17:20], v17
	s_waitcnt lgkmcnt(1)
	v_mul_f64 v[30:31], v[7:8], v[23:24]
	v_mul_f64 v[23:24], v[5:6], v[23:24]
	ds_write_b128 v29, v[5:8]
	s_waitcnt lgkmcnt(1)
	v_cmp_ngt_f64_e64 s[8:9], |v[17:18]|, |v[19:20]|
	v_fma_f64 v[30:31], v[5:6], v[21:22], -v[30:31]
	v_fma_f64 v[23:24], v[7:8], v[21:22], v[23:24]
	s_and_b64 vcc, exec, s[8:9]
	v_add_f64 v[21:22], v[13:14], -v[30:31]
	v_add_f64 v[23:24], v[15:16], -v[23:24]
	s_cbranch_vccz .LBB203_85
; %bb.84:
	v_div_scale_f64 v[13:14], s[8:9], v[19:20], v[19:20], v[17:18]
	v_rcp_f64_e32 v[15:16], v[13:14]
	v_fma_f64 v[29:30], -v[13:14], v[15:16], 1.0
	v_fma_f64 v[15:16], v[15:16], v[29:30], v[15:16]
	v_div_scale_f64 v[29:30], vcc, v[17:18], v[19:20], v[17:18]
	v_fma_f64 v[31:32], -v[13:14], v[15:16], 1.0
	v_fma_f64 v[15:16], v[15:16], v[31:32], v[15:16]
	v_mul_f64 v[31:32], v[29:30], v[15:16]
	v_fma_f64 v[13:14], -v[13:14], v[31:32], v[29:30]
	v_div_fmas_f64 v[13:14], v[13:14], v[15:16], v[31:32]
	v_div_fixup_f64 v[13:14], v[13:14], v[19:20], v[17:18]
	v_fma_f64 v[15:16], v[17:18], v[13:14], v[19:20]
	v_div_scale_f64 v[29:30], s[8:9], v[15:16], v[15:16], 1.0
	v_rcp_f64_e32 v[31:32], v[29:30]
	v_fma_f64 v[33:34], -v[29:30], v[31:32], 1.0
	v_fma_f64 v[31:32], v[31:32], v[33:34], v[31:32]
	v_div_scale_f64 v[33:34], vcc, 1.0, v[15:16], 1.0
	v_fma_f64 v[35:36], -v[29:30], v[31:32], 1.0
	v_fma_f64 v[31:32], v[31:32], v[35:36], v[31:32]
	v_mul_f64 v[35:36], v[33:34], v[31:32]
	v_fma_f64 v[29:30], -v[29:30], v[35:36], v[33:34]
	v_div_fmas_f64 v[29:30], v[29:30], v[31:32], v[35:36]
	v_fma_f64 v[31:32], v[13:14], v[21:22], v[23:24]
	v_div_fixup_f64 v[15:16], v[29:30], v[15:16], 1.0
	v_fma_f64 v[29:30], v[13:14], v[23:24], -v[21:22]
	v_mul_f64 v[13:14], v[31:32], v[15:16]
	v_mul_f64 v[15:16], v[29:30], v[15:16]
	s_lshl_b32 s8, s15, 2
	s_cbranch_execz .LBB203_86
	s_branch .LBB203_87
.LBB203_85:
                                        ; implicit-def: $vgpr15_vgpr16
	s_lshl_b32 s8, s15, 2
.LBB203_86:
	v_div_scale_f64 v[13:14], s[16:17], v[17:18], v[17:18], v[19:20]
	v_rcp_f64_e32 v[15:16], v[13:14]
	v_fma_f64 v[29:30], -v[13:14], v[15:16], 1.0
	v_fma_f64 v[15:16], v[15:16], v[29:30], v[15:16]
	v_div_scale_f64 v[29:30], vcc, v[19:20], v[17:18], v[19:20]
	v_fma_f64 v[31:32], -v[13:14], v[15:16], 1.0
	v_fma_f64 v[15:16], v[15:16], v[31:32], v[15:16]
	v_mul_f64 v[31:32], v[29:30], v[15:16]
	v_fma_f64 v[13:14], -v[13:14], v[31:32], v[29:30]
	v_div_fmas_f64 v[13:14], v[13:14], v[15:16], v[31:32]
	v_div_fixup_f64 v[13:14], v[13:14], v[17:18], v[19:20]
	v_fma_f64 v[15:16], v[19:20], v[13:14], v[17:18]
	v_div_scale_f64 v[17:18], s[16:17], v[15:16], v[15:16], 1.0
	v_rcp_f64_e32 v[19:20], v[17:18]
	v_fma_f64 v[29:30], -v[17:18], v[19:20], 1.0
	v_fma_f64 v[19:20], v[19:20], v[29:30], v[19:20]
	v_div_scale_f64 v[29:30], vcc, 1.0, v[15:16], 1.0
	v_fma_f64 v[31:32], -v[17:18], v[19:20], 1.0
	v_fma_f64 v[19:20], v[19:20], v[31:32], v[19:20]
	v_mul_f64 v[31:32], v[29:30], v[19:20]
	v_fma_f64 v[17:18], -v[17:18], v[31:32], v[29:30]
	v_div_fmas_f64 v[17:18], v[17:18], v[19:20], v[31:32]
	v_fma_f64 v[19:20], v[13:14], v[23:24], v[21:22]
	v_div_fixup_f64 v[15:16], v[17:18], v[15:16], 1.0
	v_fma_f64 v[17:18], -v[13:14], v[21:22], v[23:24]
	v_mul_f64 v[13:14], v[19:20], v[15:16]
	v_mul_f64 v[15:16], v[17:18], v[15:16]
.LBB203_87:
	s_lshl_b32 s8, s8, 4
	s_add_i32 s9, s8, s11
	v_mov_b32_e32 v17, s9
	ds_read_b128 v[17:20], v17
	s_add_i32 s9, s8, s14
	v_mov_b32_e32 v21, s9
	ds_read_b128 v[21:24], v21
	s_lshl_b32 s15, s15, 4
	s_waitcnt lgkmcnt(1)
	v_mul_f64 v[29:30], v[7:8], v[19:20]
	v_mul_f64 v[19:20], v[5:6], v[19:20]
	s_add_i32 s8, s8, s15
	s_waitcnt lgkmcnt(0)
	v_mul_f64 v[31:32], v[15:16], v[23:24]
	v_mul_f64 v[23:24], v[13:14], v[23:24]
	ds_write_b128 v28, v[13:16]
	v_fma_f64 v[29:30], v[5:6], v[17:18], -v[29:30]
	v_fma_f64 v[33:34], v[7:8], v[17:18], v[19:20]
	v_mov_b32_e32 v17, s8
	v_fma_f64 v[31:32], v[13:14], v[21:22], -v[31:32]
	v_fma_f64 v[23:24], v[15:16], v[21:22], v[23:24]
	ds_read_b128 v[17:20], v17
	v_add_f64 v[9:10], v[9:10], -v[29:30]
	v_add_f64 v[11:12], v[11:12], -v[33:34]
	s_waitcnt lgkmcnt(0)
	v_cmp_ngt_f64_e64 s[8:9], |v[17:18]|, |v[19:20]|
	v_add_f64 v[21:22], v[9:10], -v[31:32]
	v_add_f64 v[23:24], v[11:12], -v[23:24]
	s_and_b64 vcc, exec, s[8:9]
	s_cbranch_vccz .LBB203_89
; %bb.88:
	v_div_scale_f64 v[9:10], s[8:9], v[19:20], v[19:20], v[17:18]
	v_rcp_f64_e32 v[11:12], v[9:10]
	v_fma_f64 v[28:29], -v[9:10], v[11:12], 1.0
	v_fma_f64 v[11:12], v[11:12], v[28:29], v[11:12]
	v_div_scale_f64 v[28:29], vcc, v[17:18], v[19:20], v[17:18]
	v_fma_f64 v[30:31], -v[9:10], v[11:12], 1.0
	v_fma_f64 v[11:12], v[11:12], v[30:31], v[11:12]
	v_mul_f64 v[30:31], v[28:29], v[11:12]
	v_fma_f64 v[9:10], -v[9:10], v[30:31], v[28:29]
	v_div_fmas_f64 v[9:10], v[9:10], v[11:12], v[30:31]
	v_div_fixup_f64 v[9:10], v[9:10], v[19:20], v[17:18]
	v_fma_f64 v[11:12], v[17:18], v[9:10], v[19:20]
	v_div_scale_f64 v[28:29], s[8:9], v[11:12], v[11:12], 1.0
	v_rcp_f64_e32 v[30:31], v[28:29]
	v_fma_f64 v[32:33], -v[28:29], v[30:31], 1.0
	v_fma_f64 v[30:31], v[30:31], v[32:33], v[30:31]
	v_div_scale_f64 v[32:33], vcc, 1.0, v[11:12], 1.0
	v_fma_f64 v[34:35], -v[28:29], v[30:31], 1.0
	v_fma_f64 v[30:31], v[30:31], v[34:35], v[30:31]
	v_mul_f64 v[34:35], v[32:33], v[30:31]
	v_fma_f64 v[28:29], -v[28:29], v[34:35], v[32:33]
	v_div_fmas_f64 v[28:29], v[28:29], v[30:31], v[34:35]
	v_fma_f64 v[30:31], v[9:10], v[21:22], v[23:24]
	v_div_fixup_f64 v[11:12], v[28:29], v[11:12], 1.0
	v_fma_f64 v[28:29], v[9:10], v[23:24], -v[21:22]
	v_mul_f64 v[9:10], v[30:31], v[11:12]
	v_mul_f64 v[11:12], v[28:29], v[11:12]
	s_lshl_b32 s8, s10, 2
	s_cbranch_execz .LBB203_90
	s_branch .LBB203_91
.LBB203_89:
                                        ; implicit-def: $vgpr11_vgpr12
	s_lshl_b32 s8, s10, 2
.LBB203_90:
	v_div_scale_f64 v[9:10], s[16:17], v[17:18], v[17:18], v[19:20]
	v_rcp_f64_e32 v[11:12], v[9:10]
	v_fma_f64 v[28:29], -v[9:10], v[11:12], 1.0
	v_fma_f64 v[11:12], v[11:12], v[28:29], v[11:12]
	v_div_scale_f64 v[28:29], vcc, v[19:20], v[17:18], v[19:20]
	v_fma_f64 v[30:31], -v[9:10], v[11:12], 1.0
	v_fma_f64 v[11:12], v[11:12], v[30:31], v[11:12]
	v_mul_f64 v[30:31], v[28:29], v[11:12]
	v_fma_f64 v[9:10], -v[9:10], v[30:31], v[28:29]
	v_div_fmas_f64 v[9:10], v[9:10], v[11:12], v[30:31]
	v_div_fixup_f64 v[9:10], v[9:10], v[17:18], v[19:20]
	v_fma_f64 v[11:12], v[19:20], v[9:10], v[17:18]
	v_div_scale_f64 v[17:18], s[16:17], v[11:12], v[11:12], 1.0
	v_rcp_f64_e32 v[19:20], v[17:18]
	v_fma_f64 v[28:29], -v[17:18], v[19:20], 1.0
	v_fma_f64 v[19:20], v[19:20], v[28:29], v[19:20]
	v_div_scale_f64 v[28:29], vcc, 1.0, v[11:12], 1.0
	v_fma_f64 v[30:31], -v[17:18], v[19:20], 1.0
	v_fma_f64 v[19:20], v[19:20], v[30:31], v[19:20]
	v_mul_f64 v[30:31], v[28:29], v[19:20]
	v_fma_f64 v[17:18], -v[17:18], v[30:31], v[28:29]
	v_div_fmas_f64 v[17:18], v[17:18], v[19:20], v[30:31]
	v_fma_f64 v[19:20], v[9:10], v[23:24], v[21:22]
	v_div_fixup_f64 v[11:12], v[17:18], v[11:12], 1.0
	v_fma_f64 v[17:18], -v[9:10], v[21:22], v[23:24]
	v_mul_f64 v[9:10], v[19:20], v[11:12]
	v_mul_f64 v[11:12], v[17:18], v[11:12]
.LBB203_91:
	s_lshl_b32 s8, s8, 4
	s_add_i32 s9, s8, s11
	v_mov_b32_e32 v17, s9
	ds_read_b128 v[17:20], v17
	s_add_i32 s9, s8, s14
	v_mov_b32_e32 v21, s9
	ds_read_b128 v[21:24], v21
	s_add_i32 s9, s8, s15
	s_waitcnt lgkmcnt(1)
	v_mul_f64 v[28:29], v[7:8], v[19:20]
	v_mul_f64 v[19:20], v[5:6], v[19:20]
	v_mov_b32_e32 v34, s9
	s_lshl_b32 s9, s10, 4
	s_add_i32 s8, s8, s9
	ds_write_b128 v27, v[9:12]
	v_fma_f64 v[28:29], v[5:6], v[17:18], -v[28:29]
	v_mov_b32_e32 v5, s8
	v_fma_f64 v[32:33], v[7:8], v[17:18], v[19:20]
	ds_read_b128 v[5:8], v5
	s_waitcnt lgkmcnt(2)
	v_mul_f64 v[30:31], v[15:16], v[23:24]
	v_mul_f64 v[23:24], v[13:14], v[23:24]
	ds_read_b128 v[17:20], v34
	s_waitcnt lgkmcnt(1)
	v_cmp_ngt_f64_e64 s[8:9], |v[5:6]|, |v[7:8]|
	v_add_f64 v[1:2], v[1:2], -v[28:29]
	v_add_f64 v[3:4], v[3:4], -v[32:33]
	s_waitcnt lgkmcnt(0)
	v_mul_f64 v[34:35], v[11:12], v[19:20]
	v_fma_f64 v[13:14], v[13:14], v[21:22], -v[30:31]
	v_fma_f64 v[15:16], v[15:16], v[21:22], v[23:24]
	v_mul_f64 v[19:20], v[9:10], v[19:20]
	s_and_b64 vcc, exec, s[8:9]
	v_fma_f64 v[21:22], v[9:10], v[17:18], -v[34:35]
	v_add_f64 v[1:2], v[1:2], -v[13:14]
	v_add_f64 v[3:4], v[3:4], -v[15:16]
	v_fma_f64 v[17:18], v[11:12], v[17:18], v[19:20]
	v_add_f64 v[13:14], v[1:2], -v[21:22]
	v_add_f64 v[15:16], v[3:4], -v[17:18]
	s_cbranch_vccz .LBB203_93
; %bb.92:
	v_div_scale_f64 v[1:2], s[8:9], v[7:8], v[7:8], v[5:6]
	v_rcp_f64_e32 v[3:4], v[1:2]
	v_fma_f64 v[9:10], -v[1:2], v[3:4], 1.0
	v_fma_f64 v[3:4], v[3:4], v[9:10], v[3:4]
	v_div_scale_f64 v[9:10], vcc, v[5:6], v[7:8], v[5:6]
	v_fma_f64 v[11:12], -v[1:2], v[3:4], 1.0
	v_fma_f64 v[3:4], v[3:4], v[11:12], v[3:4]
	v_mul_f64 v[11:12], v[9:10], v[3:4]
	v_fma_f64 v[1:2], -v[1:2], v[11:12], v[9:10]
	v_div_fmas_f64 v[1:2], v[1:2], v[3:4], v[11:12]
	v_div_fixup_f64 v[1:2], v[1:2], v[7:8], v[5:6]
	v_fma_f64 v[3:4], v[5:6], v[1:2], v[7:8]
	v_div_scale_f64 v[9:10], s[8:9], v[3:4], v[3:4], 1.0
	v_rcp_f64_e32 v[11:12], v[9:10]
	v_fma_f64 v[17:18], -v[9:10], v[11:12], 1.0
	v_fma_f64 v[11:12], v[11:12], v[17:18], v[11:12]
	v_div_scale_f64 v[17:18], vcc, 1.0, v[3:4], 1.0
	v_fma_f64 v[19:20], -v[9:10], v[11:12], 1.0
	v_fma_f64 v[11:12], v[11:12], v[19:20], v[11:12]
	v_mul_f64 v[19:20], v[17:18], v[11:12]
	v_fma_f64 v[9:10], -v[9:10], v[19:20], v[17:18]
	v_div_fmas_f64 v[9:10], v[9:10], v[11:12], v[19:20]
	v_fma_f64 v[11:12], v[1:2], v[13:14], v[15:16]
	v_div_fixup_f64 v[3:4], v[9:10], v[3:4], 1.0
	v_fma_f64 v[9:10], v[1:2], v[15:16], -v[13:14]
	v_mul_f64 v[1:2], v[11:12], v[3:4]
	v_mul_f64 v[3:4], v[9:10], v[3:4]
	s_cbranch_execz .LBB203_94
	s_branch .LBB203_95
.LBB203_93:
                                        ; implicit-def: $vgpr3_vgpr4
.LBB203_94:
	v_div_scale_f64 v[1:2], s[8:9], v[5:6], v[5:6], v[7:8]
	v_rcp_f64_e32 v[3:4], v[1:2]
	v_fma_f64 v[9:10], -v[1:2], v[3:4], 1.0
	v_fma_f64 v[3:4], v[3:4], v[9:10], v[3:4]
	v_div_scale_f64 v[9:10], vcc, v[7:8], v[5:6], v[7:8]
	v_fma_f64 v[11:12], -v[1:2], v[3:4], 1.0
	v_fma_f64 v[3:4], v[3:4], v[11:12], v[3:4]
	v_mul_f64 v[11:12], v[9:10], v[3:4]
	v_fma_f64 v[1:2], -v[1:2], v[11:12], v[9:10]
	v_div_fmas_f64 v[1:2], v[1:2], v[3:4], v[11:12]
	v_div_fixup_f64 v[1:2], v[1:2], v[5:6], v[7:8]
	v_fma_f64 v[3:4], v[7:8], v[1:2], v[5:6]
	v_div_scale_f64 v[5:6], s[8:9], v[3:4], v[3:4], 1.0
	v_rcp_f64_e32 v[7:8], v[5:6]
	v_fma_f64 v[9:10], -v[5:6], v[7:8], 1.0
	v_fma_f64 v[7:8], v[7:8], v[9:10], v[7:8]
	v_div_scale_f64 v[9:10], vcc, 1.0, v[3:4], 1.0
	v_fma_f64 v[11:12], -v[5:6], v[7:8], 1.0
	v_fma_f64 v[7:8], v[7:8], v[11:12], v[7:8]
	v_mul_f64 v[11:12], v[9:10], v[7:8]
	v_fma_f64 v[5:6], -v[5:6], v[11:12], v[9:10]
	v_div_fmas_f64 v[5:6], v[5:6], v[7:8], v[11:12]
	v_fma_f64 v[7:8], v[1:2], v[15:16], v[13:14]
	v_div_fixup_f64 v[3:4], v[5:6], v[3:4], 1.0
	v_fma_f64 v[5:6], -v[1:2], v[13:14], v[15:16]
	v_mul_f64 v[1:2], v[7:8], v[3:4]
	v_mul_f64 v[3:4], v[5:6], v[3:4]
.LBB203_95:
	s_add_i32 s10, s25, -5
	ds_write_b128 v26, v[1:4]
.LBB203_96:
	s_cmp_lt_i32 s10, 0
	s_cbranch_scc1 .LBB203_105
; %bb.97:
	v_lshlrev_b32_e32 v1, 4, v0
	s_lshl_b32 s8, s10, 6
	s_lshl_b32 s9, s25, 4
	v_lshl_or_b32 v1, s25, 6, v1
	s_add_i32 s8, s8, s9
	v_add_u32_e32 v13, 0xc0, v1
	s_add_i32 s11, s8, -16
	s_branch .LBB203_99
.LBB203_98:                             ;   in Loop: Header=BB203_99 Depth=1
	v_sub_co_u32_e64 v1, s[8:9], s10, 1
	v_readfirstlane_b32 s10, v1
	s_sub_i32 s11, s11, 64
	s_and_b64 vcc, exec, s[8:9]
	ds_write_b128 v14, v[9:12]
	s_cbranch_vccnz .LBB203_105
.LBB203_99:                             ; =>This Loop Header: Depth=1
                                        ;     Child Loop BB203_100 Depth 2
	v_lshl_add_u32 v14, s10, 6, v25
	ds_read_b128 v[1:4], v14
	s_cmp_le_i32 s13, s10
	s_mov_b32 s8, s11
	v_mov_b32_e32 v5, v13
	s_mov_b32 s9, s13
	s_cbranch_scc1 .LBB203_101
.LBB203_100:                            ;   Parent Loop BB203_99 Depth=1
                                        ; =>  This Inner Loop Header: Depth=2
	v_mov_b32_e32 v10, s8
	ds_read_b128 v[6:9], v5
	ds_read_b128 v[15:18], v10
	s_add_i32 s9, s9, -1
	s_add_i32 s8, s8, -16
	s_cmp_le_u32 s9, s10
	v_subrev_u32_e32 v5, 64, v5
	s_waitcnt lgkmcnt(0)
	v_mul_f64 v[10:11], v[17:18], v[8:9]
	v_mul_f64 v[8:9], v[15:16], v[8:9]
	v_fma_f64 v[10:11], v[15:16], v[6:7], -v[10:11]
	v_fma_f64 v[6:7], v[17:18], v[6:7], v[8:9]
	v_add_f64 v[1:2], v[1:2], -v[10:11]
	v_add_f64 v[3:4], v[3:4], -v[6:7]
	s_cbranch_scc0 .LBB203_100
.LBB203_101:                            ;   in Loop: Header=BB203_99 Depth=1
	s_mul_i32 s8, s10, 0x50
	v_mov_b32_e32 v5, s8
	ds_read_b128 v[5:8], v5
	s_mov_b64 s[8:9], -1
                                        ; implicit-def: $vgpr9_vgpr10
	s_waitcnt lgkmcnt(0)
	v_cmp_ngt_f64_e64 s[14:15], |v[5:6]|, |v[7:8]|
	s_and_b64 vcc, exec, s[14:15]
	s_cbranch_vccz .LBB203_103
; %bb.102:                              ;   in Loop: Header=BB203_99 Depth=1
	v_div_scale_f64 v[9:10], s[8:9], v[7:8], v[7:8], v[5:6]
	v_rcp_f64_e32 v[11:12], v[9:10]
	v_fma_f64 v[15:16], -v[9:10], v[11:12], 1.0
	v_fma_f64 v[11:12], v[11:12], v[15:16], v[11:12]
	v_div_scale_f64 v[15:16], vcc, v[5:6], v[7:8], v[5:6]
	v_fma_f64 v[17:18], -v[9:10], v[11:12], 1.0
	v_fma_f64 v[11:12], v[11:12], v[17:18], v[11:12]
	v_mul_f64 v[17:18], v[15:16], v[11:12]
	v_fma_f64 v[9:10], -v[9:10], v[17:18], v[15:16]
	v_div_fmas_f64 v[9:10], v[9:10], v[11:12], v[17:18]
	v_div_fixup_f64 v[9:10], v[9:10], v[7:8], v[5:6]
	v_fma_f64 v[11:12], v[5:6], v[9:10], v[7:8]
	v_div_scale_f64 v[15:16], s[8:9], v[11:12], v[11:12], 1.0
	s_mov_b64 s[8:9], 0
	v_rcp_f64_e32 v[17:18], v[15:16]
	v_fma_f64 v[19:20], -v[15:16], v[17:18], 1.0
	v_fma_f64 v[17:18], v[17:18], v[19:20], v[17:18]
	v_div_scale_f64 v[19:20], vcc, 1.0, v[11:12], 1.0
	v_fma_f64 v[21:22], -v[15:16], v[17:18], 1.0
	v_fma_f64 v[17:18], v[17:18], v[21:22], v[17:18]
	v_mul_f64 v[21:22], v[19:20], v[17:18]
	v_fma_f64 v[15:16], -v[15:16], v[21:22], v[19:20]
	v_div_fmas_f64 v[15:16], v[15:16], v[17:18], v[21:22]
	v_fma_f64 v[17:18], v[1:2], v[9:10], v[3:4]
	v_div_fixup_f64 v[11:12], v[15:16], v[11:12], 1.0
	v_fma_f64 v[15:16], v[3:4], v[9:10], -v[1:2]
	v_mul_f64 v[9:10], v[17:18], v[11:12]
	v_mul_f64 v[11:12], v[15:16], v[11:12]
.LBB203_103:                            ;   in Loop: Header=BB203_99 Depth=1
	s_andn2_b64 vcc, exec, s[8:9]
	s_cbranch_vccnz .LBB203_98
; %bb.104:                              ;   in Loop: Header=BB203_99 Depth=1
	v_div_scale_f64 v[9:10], s[8:9], v[5:6], v[5:6], v[7:8]
	v_rcp_f64_e32 v[11:12], v[9:10]
	v_fma_f64 v[15:16], -v[9:10], v[11:12], 1.0
	v_fma_f64 v[11:12], v[11:12], v[15:16], v[11:12]
	v_div_scale_f64 v[15:16], vcc, v[7:8], v[5:6], v[7:8]
	v_fma_f64 v[17:18], -v[9:10], v[11:12], 1.0
	v_fma_f64 v[11:12], v[11:12], v[17:18], v[11:12]
	v_mul_f64 v[17:18], v[15:16], v[11:12]
	v_fma_f64 v[9:10], -v[9:10], v[17:18], v[15:16]
	v_div_fmas_f64 v[9:10], v[9:10], v[11:12], v[17:18]
	v_div_fixup_f64 v[9:10], v[9:10], v[5:6], v[7:8]
	v_fma_f64 v[5:6], v[7:8], v[9:10], v[5:6]
	v_div_scale_f64 v[7:8], s[8:9], v[5:6], v[5:6], 1.0
	v_rcp_f64_e32 v[11:12], v[7:8]
	v_fma_f64 v[15:16], -v[7:8], v[11:12], 1.0
	v_fma_f64 v[11:12], v[11:12], v[15:16], v[11:12]
	v_div_scale_f64 v[15:16], vcc, 1.0, v[5:6], 1.0
	v_fma_f64 v[17:18], -v[7:8], v[11:12], 1.0
	v_fma_f64 v[11:12], v[11:12], v[17:18], v[11:12]
	v_mul_f64 v[17:18], v[15:16], v[11:12]
	v_fma_f64 v[7:8], -v[7:8], v[17:18], v[15:16]
	v_div_fmas_f64 v[7:8], v[7:8], v[11:12], v[17:18]
	v_fma_f64 v[11:12], v[3:4], v[9:10], v[1:2]
	v_fma_f64 v[1:2], -v[1:2], v[9:10], v[3:4]
	v_div_fixup_f64 v[5:6], v[7:8], v[5:6], 1.0
	v_mul_f64 v[9:10], v[11:12], v[5:6]
	v_mul_f64 v[11:12], v[1:2], v[5:6]
	s_branch .LBB203_98
.LBB203_105:
	s_mov_b64 s[14:15], 0
.LBB203_106:
	s_andn2_b64 vcc, exec, s[14:15]
	s_cbranch_vccnz .LBB203_134
; %bb.107:
	v_mov_b32_e32 v1, 0x100
	v_lshl_or_b32 v25, v0, 4, v1
	s_cmp_lt_i32 s24, 4
	s_mov_b32 s10, 0
	s_cbranch_scc1 .LBB203_125
; %bb.108:
	v_mov_b32_e32 v1, 0
	ds_read_b128 v[21:24], v1
	ds_read_b128 v[17:20], v25
	ds_read_b128 v[13:16], v25 offset:64
	ds_read_b128 v[9:12], v25 offset:128
	;; [unrolled: 1-line block ×3, first 2 shown]
	s_waitcnt lgkmcnt(4)
	v_cmp_ngt_f64_e64 s[8:9], |v[21:22]|, |v[23:24]|
	s_and_b64 vcc, exec, s[8:9]
	s_cbranch_vccz .LBB203_110
; %bb.109:
	v_div_scale_f64 v[5:6], s[8:9], v[23:24], v[23:24], v[21:22]
	v_rcp_f64_e32 v[7:8], v[5:6]
	v_fma_f64 v[26:27], -v[5:6], v[7:8], 1.0
	v_fma_f64 v[7:8], v[7:8], v[26:27], v[7:8]
	v_div_scale_f64 v[26:27], vcc, v[21:22], v[23:24], v[21:22]
	v_fma_f64 v[28:29], -v[5:6], v[7:8], 1.0
	v_fma_f64 v[7:8], v[7:8], v[28:29], v[7:8]
	v_mul_f64 v[28:29], v[26:27], v[7:8]
	v_fma_f64 v[5:6], -v[5:6], v[28:29], v[26:27]
	v_div_fmas_f64 v[5:6], v[5:6], v[7:8], v[28:29]
	v_div_fixup_f64 v[5:6], v[5:6], v[23:24], v[21:22]
	v_fma_f64 v[7:8], v[21:22], v[5:6], v[23:24]
	v_div_scale_f64 v[26:27], s[8:9], v[7:8], v[7:8], 1.0
	v_rcp_f64_e32 v[28:29], v[26:27]
	v_fma_f64 v[30:31], -v[26:27], v[28:29], 1.0
	v_fma_f64 v[28:29], v[28:29], v[30:31], v[28:29]
	v_div_scale_f64 v[30:31], vcc, 1.0, v[7:8], 1.0
	v_fma_f64 v[32:33], -v[26:27], v[28:29], 1.0
	v_fma_f64 v[28:29], v[28:29], v[32:33], v[28:29]
	v_mul_f64 v[32:33], v[30:31], v[28:29]
	v_fma_f64 v[26:27], -v[26:27], v[32:33], v[30:31]
	v_div_fmas_f64 v[26:27], v[26:27], v[28:29], v[32:33]
	s_waitcnt lgkmcnt(3)
	v_fma_f64 v[28:29], v[17:18], v[5:6], v[19:20]
	v_div_fixup_f64 v[7:8], v[26:27], v[7:8], 1.0
	v_fma_f64 v[26:27], v[19:20], v[5:6], -v[17:18]
	v_mul_f64 v[5:6], v[28:29], v[7:8]
	v_mul_f64 v[7:8], v[26:27], v[7:8]
	s_cbranch_execz .LBB203_111
	s_branch .LBB203_112
.LBB203_110:
                                        ; implicit-def: $vgpr7_vgpr8
.LBB203_111:
	v_div_scale_f64 v[5:6], s[8:9], v[21:22], v[21:22], v[23:24]
	v_rcp_f64_e32 v[7:8], v[5:6]
	v_fma_f64 v[26:27], -v[5:6], v[7:8], 1.0
	v_fma_f64 v[7:8], v[7:8], v[26:27], v[7:8]
	v_div_scale_f64 v[26:27], vcc, v[23:24], v[21:22], v[23:24]
	v_fma_f64 v[28:29], -v[5:6], v[7:8], 1.0
	v_fma_f64 v[7:8], v[7:8], v[28:29], v[7:8]
	v_mul_f64 v[28:29], v[26:27], v[7:8]
	v_fma_f64 v[5:6], -v[5:6], v[28:29], v[26:27]
	v_div_fmas_f64 v[5:6], v[5:6], v[7:8], v[28:29]
	v_div_fixup_f64 v[5:6], v[5:6], v[21:22], v[23:24]
	v_fma_f64 v[7:8], v[23:24], v[5:6], v[21:22]
	v_div_scale_f64 v[21:22], s[8:9], v[7:8], v[7:8], 1.0
	v_rcp_f64_e32 v[23:24], v[21:22]
	v_fma_f64 v[26:27], -v[21:22], v[23:24], 1.0
	v_fma_f64 v[23:24], v[23:24], v[26:27], v[23:24]
	v_div_scale_f64 v[26:27], vcc, 1.0, v[7:8], 1.0
	v_fma_f64 v[28:29], -v[21:22], v[23:24], 1.0
	v_fma_f64 v[23:24], v[23:24], v[28:29], v[23:24]
	v_mul_f64 v[28:29], v[26:27], v[23:24]
	v_fma_f64 v[21:22], -v[21:22], v[28:29], v[26:27]
	v_div_fmas_f64 v[21:22], v[21:22], v[23:24], v[28:29]
	s_waitcnt lgkmcnt(3)
	v_fma_f64 v[23:24], v[19:20], v[5:6], v[17:18]
	v_fma_f64 v[17:18], -v[17:18], v[5:6], v[19:20]
	v_div_fixup_f64 v[7:8], v[21:22], v[7:8], 1.0
	v_mul_f64 v[5:6], v[23:24], v[7:8]
	v_mul_f64 v[7:8], v[17:18], v[7:8]
.LBB203_112:
	s_waitcnt lgkmcnt(3)
	v_mov_b32_e32 v17, 0
	ds_read_b128 v[21:24], v17 offset:64
	ds_read_b128 v[17:20], v17 offset:80
	ds_write_b128 v25, v[5:8]
	s_waitcnt lgkmcnt(2)
	v_mul_f64 v[26:27], v[7:8], v[23:24]
	v_mul_f64 v[23:24], v[5:6], v[23:24]
	s_waitcnt lgkmcnt(1)
	v_cmp_ngt_f64_e64 s[8:9], |v[17:18]|, |v[19:20]|
	v_fma_f64 v[26:27], v[5:6], v[21:22], -v[26:27]
	v_fma_f64 v[23:24], v[7:8], v[21:22], v[23:24]
	s_and_b64 vcc, exec, s[8:9]
	v_add_f64 v[21:22], v[13:14], -v[26:27]
	v_add_f64 v[23:24], v[15:16], -v[23:24]
	s_cbranch_vccz .LBB203_114
; %bb.113:
	v_div_scale_f64 v[13:14], s[8:9], v[19:20], v[19:20], v[17:18]
	v_rcp_f64_e32 v[15:16], v[13:14]
	v_fma_f64 v[26:27], -v[13:14], v[15:16], 1.0
	v_fma_f64 v[15:16], v[15:16], v[26:27], v[15:16]
	v_div_scale_f64 v[26:27], vcc, v[17:18], v[19:20], v[17:18]
	v_fma_f64 v[28:29], -v[13:14], v[15:16], 1.0
	v_fma_f64 v[15:16], v[15:16], v[28:29], v[15:16]
	v_mul_f64 v[28:29], v[26:27], v[15:16]
	v_fma_f64 v[13:14], -v[13:14], v[28:29], v[26:27]
	v_div_fmas_f64 v[13:14], v[13:14], v[15:16], v[28:29]
	v_div_fixup_f64 v[13:14], v[13:14], v[19:20], v[17:18]
	v_fma_f64 v[15:16], v[17:18], v[13:14], v[19:20]
	v_div_scale_f64 v[26:27], s[8:9], v[15:16], v[15:16], 1.0
	v_rcp_f64_e32 v[28:29], v[26:27]
	v_fma_f64 v[30:31], -v[26:27], v[28:29], 1.0
	v_fma_f64 v[28:29], v[28:29], v[30:31], v[28:29]
	v_div_scale_f64 v[30:31], vcc, 1.0, v[15:16], 1.0
	v_fma_f64 v[32:33], -v[26:27], v[28:29], 1.0
	v_fma_f64 v[28:29], v[28:29], v[32:33], v[28:29]
	v_mul_f64 v[32:33], v[30:31], v[28:29]
	v_fma_f64 v[26:27], -v[26:27], v[32:33], v[30:31]
	v_div_fmas_f64 v[26:27], v[26:27], v[28:29], v[32:33]
	v_fma_f64 v[28:29], v[13:14], v[21:22], v[23:24]
	v_div_fixup_f64 v[15:16], v[26:27], v[15:16], 1.0
	v_fma_f64 v[26:27], v[13:14], v[23:24], -v[21:22]
	v_mul_f64 v[13:14], v[28:29], v[15:16]
	v_mul_f64 v[15:16], v[26:27], v[15:16]
	s_cbranch_execz .LBB203_115
	s_branch .LBB203_116
.LBB203_114:
                                        ; implicit-def: $vgpr15_vgpr16
.LBB203_115:
	v_div_scale_f64 v[13:14], s[8:9], v[17:18], v[17:18], v[19:20]
	v_rcp_f64_e32 v[15:16], v[13:14]
	v_fma_f64 v[26:27], -v[13:14], v[15:16], 1.0
	v_fma_f64 v[15:16], v[15:16], v[26:27], v[15:16]
	v_div_scale_f64 v[26:27], vcc, v[19:20], v[17:18], v[19:20]
	v_fma_f64 v[28:29], -v[13:14], v[15:16], 1.0
	v_fma_f64 v[15:16], v[15:16], v[28:29], v[15:16]
	v_mul_f64 v[28:29], v[26:27], v[15:16]
	v_fma_f64 v[13:14], -v[13:14], v[28:29], v[26:27]
	v_div_fmas_f64 v[13:14], v[13:14], v[15:16], v[28:29]
	v_div_fixup_f64 v[13:14], v[13:14], v[17:18], v[19:20]
	v_fma_f64 v[15:16], v[19:20], v[13:14], v[17:18]
	v_div_scale_f64 v[17:18], s[8:9], v[15:16], v[15:16], 1.0
	v_rcp_f64_e32 v[19:20], v[17:18]
	v_fma_f64 v[26:27], -v[17:18], v[19:20], 1.0
	v_fma_f64 v[19:20], v[19:20], v[26:27], v[19:20]
	v_div_scale_f64 v[26:27], vcc, 1.0, v[15:16], 1.0
	v_fma_f64 v[28:29], -v[17:18], v[19:20], 1.0
	v_fma_f64 v[19:20], v[19:20], v[28:29], v[19:20]
	v_mul_f64 v[28:29], v[26:27], v[19:20]
	v_fma_f64 v[17:18], -v[17:18], v[28:29], v[26:27]
	v_div_fmas_f64 v[17:18], v[17:18], v[19:20], v[28:29]
	v_fma_f64 v[19:20], v[13:14], v[23:24], v[21:22]
	v_div_fixup_f64 v[15:16], v[17:18], v[15:16], 1.0
	v_fma_f64 v[17:18], -v[13:14], v[21:22], v[23:24]
	v_mul_f64 v[13:14], v[19:20], v[15:16]
	v_mul_f64 v[15:16], v[17:18], v[15:16]
.LBB203_116:
	v_mov_b32_e32 v32, 0
	ds_read_b128 v[17:20], v32 offset:128
	ds_read_b128 v[21:24], v32 offset:144
	ds_write_b128 v25, v[13:16] offset:64
	s_waitcnt lgkmcnt(2)
	v_mul_f64 v[26:27], v[7:8], v[19:20]
	v_mul_f64 v[19:20], v[5:6], v[19:20]
	s_waitcnt lgkmcnt(1)
	v_mul_f64 v[28:29], v[15:16], v[23:24]
	v_mul_f64 v[23:24], v[13:14], v[23:24]
	v_fma_f64 v[26:27], v[5:6], v[17:18], -v[26:27]
	v_fma_f64 v[30:31], v[7:8], v[17:18], v[19:20]
	v_fma_f64 v[28:29], v[13:14], v[21:22], -v[28:29]
	v_fma_f64 v[23:24], v[15:16], v[21:22], v[23:24]
	ds_read_b128 v[17:20], v32 offset:160
	v_add_f64 v[9:10], v[9:10], -v[26:27]
	v_add_f64 v[11:12], v[11:12], -v[30:31]
	s_waitcnt lgkmcnt(0)
	v_cmp_ngt_f64_e64 s[8:9], |v[17:18]|, |v[19:20]|
	v_add_f64 v[21:22], v[9:10], -v[28:29]
	v_add_f64 v[23:24], v[11:12], -v[23:24]
	s_and_b64 vcc, exec, s[8:9]
	s_cbranch_vccz .LBB203_118
; %bb.117:
	v_div_scale_f64 v[9:10], s[8:9], v[19:20], v[19:20], v[17:18]
	v_rcp_f64_e32 v[11:12], v[9:10]
	v_fma_f64 v[26:27], -v[9:10], v[11:12], 1.0
	v_fma_f64 v[11:12], v[11:12], v[26:27], v[11:12]
	v_div_scale_f64 v[26:27], vcc, v[17:18], v[19:20], v[17:18]
	v_fma_f64 v[28:29], -v[9:10], v[11:12], 1.0
	v_fma_f64 v[11:12], v[11:12], v[28:29], v[11:12]
	v_mul_f64 v[28:29], v[26:27], v[11:12]
	v_fma_f64 v[9:10], -v[9:10], v[28:29], v[26:27]
	v_div_fmas_f64 v[9:10], v[9:10], v[11:12], v[28:29]
	v_div_fixup_f64 v[9:10], v[9:10], v[19:20], v[17:18]
	v_fma_f64 v[11:12], v[17:18], v[9:10], v[19:20]
	v_div_scale_f64 v[26:27], s[8:9], v[11:12], v[11:12], 1.0
	v_rcp_f64_e32 v[28:29], v[26:27]
	v_fma_f64 v[30:31], -v[26:27], v[28:29], 1.0
	v_fma_f64 v[28:29], v[28:29], v[30:31], v[28:29]
	v_div_scale_f64 v[30:31], vcc, 1.0, v[11:12], 1.0
	v_fma_f64 v[32:33], -v[26:27], v[28:29], 1.0
	v_fma_f64 v[28:29], v[28:29], v[32:33], v[28:29]
	v_mul_f64 v[32:33], v[30:31], v[28:29]
	v_fma_f64 v[26:27], -v[26:27], v[32:33], v[30:31]
	v_div_fmas_f64 v[26:27], v[26:27], v[28:29], v[32:33]
	v_fma_f64 v[28:29], v[9:10], v[21:22], v[23:24]
	v_div_fixup_f64 v[11:12], v[26:27], v[11:12], 1.0
	v_fma_f64 v[26:27], v[9:10], v[23:24], -v[21:22]
	v_mul_f64 v[9:10], v[28:29], v[11:12]
	v_mul_f64 v[11:12], v[26:27], v[11:12]
	s_cbranch_execz .LBB203_119
	s_branch .LBB203_120
.LBB203_118:
                                        ; implicit-def: $vgpr11_vgpr12
.LBB203_119:
	v_div_scale_f64 v[9:10], s[8:9], v[17:18], v[17:18], v[19:20]
	v_rcp_f64_e32 v[11:12], v[9:10]
	v_fma_f64 v[26:27], -v[9:10], v[11:12], 1.0
	v_fma_f64 v[11:12], v[11:12], v[26:27], v[11:12]
	v_div_scale_f64 v[26:27], vcc, v[19:20], v[17:18], v[19:20]
	v_fma_f64 v[28:29], -v[9:10], v[11:12], 1.0
	v_fma_f64 v[11:12], v[11:12], v[28:29], v[11:12]
	v_mul_f64 v[28:29], v[26:27], v[11:12]
	v_fma_f64 v[9:10], -v[9:10], v[28:29], v[26:27]
	v_div_fmas_f64 v[9:10], v[9:10], v[11:12], v[28:29]
	v_div_fixup_f64 v[9:10], v[9:10], v[17:18], v[19:20]
	v_fma_f64 v[11:12], v[19:20], v[9:10], v[17:18]
	v_div_scale_f64 v[17:18], s[8:9], v[11:12], v[11:12], 1.0
	v_rcp_f64_e32 v[19:20], v[17:18]
	v_fma_f64 v[26:27], -v[17:18], v[19:20], 1.0
	v_fma_f64 v[19:20], v[19:20], v[26:27], v[19:20]
	v_div_scale_f64 v[26:27], vcc, 1.0, v[11:12], 1.0
	v_fma_f64 v[28:29], -v[17:18], v[19:20], 1.0
	v_fma_f64 v[19:20], v[19:20], v[28:29], v[19:20]
	v_mul_f64 v[28:29], v[26:27], v[19:20]
	v_fma_f64 v[17:18], -v[17:18], v[28:29], v[26:27]
	v_div_fmas_f64 v[17:18], v[17:18], v[19:20], v[28:29]
	v_fma_f64 v[19:20], v[9:10], v[23:24], v[21:22]
	v_div_fixup_f64 v[11:12], v[17:18], v[11:12], 1.0
	v_fma_f64 v[17:18], -v[9:10], v[21:22], v[23:24]
	v_mul_f64 v[9:10], v[19:20], v[11:12]
	v_mul_f64 v[11:12], v[17:18], v[11:12]
.LBB203_120:
	v_mov_b32_e32 v32, 0
	ds_read_b128 v[17:20], v32 offset:192
	ds_read_b128 v[21:24], v32 offset:208
	s_waitcnt lgkmcnt(1)
	v_mul_f64 v[26:27], v[7:8], v[19:20]
	v_mul_f64 v[19:20], v[5:6], v[19:20]
	s_waitcnt lgkmcnt(0)
	v_mul_f64 v[28:29], v[15:16], v[23:24]
	v_mul_f64 v[23:24], v[13:14], v[23:24]
	v_fma_f64 v[26:27], v[5:6], v[17:18], -v[26:27]
	v_fma_f64 v[30:31], v[7:8], v[17:18], v[19:20]
	ds_read_b128 v[17:20], v32 offset:224
	ds_read_b128 v[5:8], v32 offset:240
	v_fma_f64 v[13:14], v[13:14], v[21:22], -v[28:29]
	v_fma_f64 v[15:16], v[15:16], v[21:22], v[23:24]
	ds_write_b128 v25, v[9:12] offset:128
	s_waitcnt lgkmcnt(2)
	v_mul_f64 v[32:33], v[11:12], v[19:20]
	v_mul_f64 v[19:20], v[9:10], v[19:20]
	v_add_f64 v[1:2], v[1:2], -v[26:27]
	v_add_f64 v[3:4], v[3:4], -v[30:31]
	s_waitcnt lgkmcnt(1)
	v_cmp_ngt_f64_e64 s[8:9], |v[5:6]|, |v[7:8]|
	v_fma_f64 v[21:22], v[9:10], v[17:18], -v[32:33]
	v_fma_f64 v[17:18], v[11:12], v[17:18], v[19:20]
	v_add_f64 v[1:2], v[1:2], -v[13:14]
	v_add_f64 v[3:4], v[3:4], -v[15:16]
	s_and_b64 vcc, exec, s[8:9]
	v_add_f64 v[13:14], v[1:2], -v[21:22]
	v_add_f64 v[15:16], v[3:4], -v[17:18]
	s_cbranch_vccz .LBB203_122
; %bb.121:
	v_div_scale_f64 v[1:2], s[8:9], v[7:8], v[7:8], v[5:6]
	v_rcp_f64_e32 v[3:4], v[1:2]
	v_fma_f64 v[9:10], -v[1:2], v[3:4], 1.0
	v_fma_f64 v[3:4], v[3:4], v[9:10], v[3:4]
	v_div_scale_f64 v[9:10], vcc, v[5:6], v[7:8], v[5:6]
	v_fma_f64 v[11:12], -v[1:2], v[3:4], 1.0
	v_fma_f64 v[3:4], v[3:4], v[11:12], v[3:4]
	v_mul_f64 v[11:12], v[9:10], v[3:4]
	v_fma_f64 v[1:2], -v[1:2], v[11:12], v[9:10]
	v_div_fmas_f64 v[1:2], v[1:2], v[3:4], v[11:12]
	v_div_fixup_f64 v[1:2], v[1:2], v[7:8], v[5:6]
	v_fma_f64 v[3:4], v[5:6], v[1:2], v[7:8]
	v_div_scale_f64 v[9:10], s[8:9], v[3:4], v[3:4], 1.0
	v_rcp_f64_e32 v[11:12], v[9:10]
	v_fma_f64 v[17:18], -v[9:10], v[11:12], 1.0
	v_fma_f64 v[11:12], v[11:12], v[17:18], v[11:12]
	v_div_scale_f64 v[17:18], vcc, 1.0, v[3:4], 1.0
	v_fma_f64 v[19:20], -v[9:10], v[11:12], 1.0
	v_fma_f64 v[11:12], v[11:12], v[19:20], v[11:12]
	v_mul_f64 v[19:20], v[17:18], v[11:12]
	v_fma_f64 v[9:10], -v[9:10], v[19:20], v[17:18]
	v_div_fmas_f64 v[9:10], v[9:10], v[11:12], v[19:20]
	v_fma_f64 v[11:12], v[1:2], v[13:14], v[15:16]
	v_div_fixup_f64 v[3:4], v[9:10], v[3:4], 1.0
	v_fma_f64 v[9:10], v[1:2], v[15:16], -v[13:14]
	v_mul_f64 v[1:2], v[11:12], v[3:4]
	v_mul_f64 v[3:4], v[9:10], v[3:4]
	s_cbranch_execz .LBB203_123
	s_branch .LBB203_124
.LBB203_122:
                                        ; implicit-def: $vgpr3_vgpr4
.LBB203_123:
	v_div_scale_f64 v[1:2], s[8:9], v[5:6], v[5:6], v[7:8]
	v_rcp_f64_e32 v[3:4], v[1:2]
	v_fma_f64 v[9:10], -v[1:2], v[3:4], 1.0
	v_fma_f64 v[3:4], v[3:4], v[9:10], v[3:4]
	v_div_scale_f64 v[9:10], vcc, v[7:8], v[5:6], v[7:8]
	v_fma_f64 v[11:12], -v[1:2], v[3:4], 1.0
	v_fma_f64 v[3:4], v[3:4], v[11:12], v[3:4]
	v_mul_f64 v[11:12], v[9:10], v[3:4]
	v_fma_f64 v[1:2], -v[1:2], v[11:12], v[9:10]
	v_div_fmas_f64 v[1:2], v[1:2], v[3:4], v[11:12]
	v_div_fixup_f64 v[1:2], v[1:2], v[5:6], v[7:8]
	v_fma_f64 v[3:4], v[7:8], v[1:2], v[5:6]
	v_div_scale_f64 v[5:6], s[8:9], v[3:4], v[3:4], 1.0
	v_rcp_f64_e32 v[7:8], v[5:6]
	v_fma_f64 v[9:10], -v[5:6], v[7:8], 1.0
	v_fma_f64 v[7:8], v[7:8], v[9:10], v[7:8]
	v_div_scale_f64 v[9:10], vcc, 1.0, v[3:4], 1.0
	v_fma_f64 v[11:12], -v[5:6], v[7:8], 1.0
	v_fma_f64 v[7:8], v[7:8], v[11:12], v[7:8]
	v_mul_f64 v[11:12], v[9:10], v[7:8]
	v_fma_f64 v[5:6], -v[5:6], v[11:12], v[9:10]
	v_div_fmas_f64 v[5:6], v[5:6], v[7:8], v[11:12]
	v_fma_f64 v[7:8], v[1:2], v[15:16], v[13:14]
	v_div_fixup_f64 v[3:4], v[5:6], v[3:4], 1.0
	v_fma_f64 v[5:6], -v[1:2], v[13:14], v[15:16]
	v_mul_f64 v[1:2], v[7:8], v[3:4]
	v_mul_f64 v[3:4], v[5:6], v[3:4]
.LBB203_124:
	s_mov_b32 s10, 4
	ds_write_b128 v25, v[1:4] offset:192
.LBB203_125:
	s_cmp_ge_i32 s10, s25
	s_cbranch_scc1 .LBB203_134
; %bb.126:
	v_mov_b32_e32 v1, 0x100
	v_lshl_or_b32 v13, v0, 4, v1
	s_lshl_b32 s11, s10, 6
	s_branch .LBB203_128
.LBB203_127:                            ;   in Loop: Header=BB203_128 Depth=1
	s_add_i32 s10, s10, 1
	s_add_i32 s11, s11, 64
	s_cmp_ge_i32 s10, s25
	ds_write_b128 v14, v[9:12]
	s_cbranch_scc1 .LBB203_134
.LBB203_128:                            ; =>This Loop Header: Depth=1
                                        ;     Child Loop BB203_129 Depth 2
	v_lshl_add_u32 v14, s10, 6, v25
	ds_read_b128 v[1:4], v14
	s_cmp_eq_u32 s10, 0
	s_mov_b32 s8, s11
	v_mov_b32_e32 v5, v13
	s_mov_b32 s9, s10
	s_cbranch_scc1 .LBB203_130
.LBB203_129:                            ;   Parent Loop BB203_128 Depth=1
                                        ; =>  This Inner Loop Header: Depth=2
	v_mov_b32_e32 v10, s8
	ds_read_b128 v[6:9], v5
	ds_read_b128 v[15:18], v10
	s_add_i32 s9, s9, -1
	s_add_i32 s8, s8, 16
	s_cmp_eq_u32 s9, 0
	v_add_u32_e32 v5, 64, v5
	s_waitcnt lgkmcnt(0)
	v_mul_f64 v[10:11], v[17:18], v[8:9]
	v_mul_f64 v[8:9], v[15:16], v[8:9]
	v_fma_f64 v[10:11], v[15:16], v[6:7], -v[10:11]
	v_fma_f64 v[6:7], v[17:18], v[6:7], v[8:9]
	v_add_f64 v[1:2], v[1:2], -v[10:11]
	v_add_f64 v[3:4], v[3:4], -v[6:7]
	s_cbranch_scc0 .LBB203_129
.LBB203_130:                            ;   in Loop: Header=BB203_128 Depth=1
	s_mul_i32 s8, s10, 0x50
	v_mov_b32_e32 v5, s8
	ds_read_b128 v[5:8], v5
	s_mov_b64 s[8:9], -1
                                        ; implicit-def: $vgpr9_vgpr10
	s_waitcnt lgkmcnt(0)
	v_cmp_ngt_f64_e64 s[14:15], |v[5:6]|, |v[7:8]|
	s_and_b64 vcc, exec, s[14:15]
	s_cbranch_vccz .LBB203_132
; %bb.131:                              ;   in Loop: Header=BB203_128 Depth=1
	v_div_scale_f64 v[9:10], s[8:9], v[7:8], v[7:8], v[5:6]
	v_rcp_f64_e32 v[11:12], v[9:10]
	v_fma_f64 v[15:16], -v[9:10], v[11:12], 1.0
	v_fma_f64 v[11:12], v[11:12], v[15:16], v[11:12]
	v_div_scale_f64 v[15:16], vcc, v[5:6], v[7:8], v[5:6]
	v_fma_f64 v[17:18], -v[9:10], v[11:12], 1.0
	v_fma_f64 v[11:12], v[11:12], v[17:18], v[11:12]
	v_mul_f64 v[17:18], v[15:16], v[11:12]
	v_fma_f64 v[9:10], -v[9:10], v[17:18], v[15:16]
	v_div_fmas_f64 v[9:10], v[9:10], v[11:12], v[17:18]
	v_div_fixup_f64 v[9:10], v[9:10], v[7:8], v[5:6]
	v_fma_f64 v[11:12], v[5:6], v[9:10], v[7:8]
	v_div_scale_f64 v[15:16], s[8:9], v[11:12], v[11:12], 1.0
	s_mov_b64 s[8:9], 0
	v_rcp_f64_e32 v[17:18], v[15:16]
	v_fma_f64 v[19:20], -v[15:16], v[17:18], 1.0
	v_fma_f64 v[17:18], v[17:18], v[19:20], v[17:18]
	v_div_scale_f64 v[19:20], vcc, 1.0, v[11:12], 1.0
	v_fma_f64 v[21:22], -v[15:16], v[17:18], 1.0
	v_fma_f64 v[17:18], v[17:18], v[21:22], v[17:18]
	v_mul_f64 v[21:22], v[19:20], v[17:18]
	v_fma_f64 v[15:16], -v[15:16], v[21:22], v[19:20]
	v_div_fmas_f64 v[15:16], v[15:16], v[17:18], v[21:22]
	v_fma_f64 v[17:18], v[1:2], v[9:10], v[3:4]
	v_div_fixup_f64 v[11:12], v[15:16], v[11:12], 1.0
	v_fma_f64 v[15:16], v[3:4], v[9:10], -v[1:2]
	v_mul_f64 v[9:10], v[17:18], v[11:12]
	v_mul_f64 v[11:12], v[15:16], v[11:12]
.LBB203_132:                            ;   in Loop: Header=BB203_128 Depth=1
	s_andn2_b64 vcc, exec, s[8:9]
	s_cbranch_vccnz .LBB203_127
; %bb.133:                              ;   in Loop: Header=BB203_128 Depth=1
	v_div_scale_f64 v[9:10], s[8:9], v[5:6], v[5:6], v[7:8]
	v_rcp_f64_e32 v[11:12], v[9:10]
	v_fma_f64 v[15:16], -v[9:10], v[11:12], 1.0
	v_fma_f64 v[11:12], v[11:12], v[15:16], v[11:12]
	v_div_scale_f64 v[15:16], vcc, v[7:8], v[5:6], v[7:8]
	v_fma_f64 v[17:18], -v[9:10], v[11:12], 1.0
	v_fma_f64 v[11:12], v[11:12], v[17:18], v[11:12]
	v_mul_f64 v[17:18], v[15:16], v[11:12]
	v_fma_f64 v[9:10], -v[9:10], v[17:18], v[15:16]
	v_div_fmas_f64 v[9:10], v[9:10], v[11:12], v[17:18]
	v_div_fixup_f64 v[9:10], v[9:10], v[5:6], v[7:8]
	v_fma_f64 v[5:6], v[7:8], v[9:10], v[5:6]
	v_div_scale_f64 v[7:8], s[8:9], v[5:6], v[5:6], 1.0
	v_rcp_f64_e32 v[11:12], v[7:8]
	v_fma_f64 v[15:16], -v[7:8], v[11:12], 1.0
	v_fma_f64 v[11:12], v[11:12], v[15:16], v[11:12]
	v_div_scale_f64 v[15:16], vcc, 1.0, v[5:6], 1.0
	v_fma_f64 v[17:18], -v[7:8], v[11:12], 1.0
	v_fma_f64 v[11:12], v[11:12], v[17:18], v[11:12]
	v_mul_f64 v[17:18], v[15:16], v[11:12]
	v_fma_f64 v[7:8], -v[7:8], v[17:18], v[15:16]
	v_div_fmas_f64 v[7:8], v[7:8], v[11:12], v[17:18]
	v_fma_f64 v[11:12], v[3:4], v[9:10], v[1:2]
	v_fma_f64 v[1:2], -v[1:2], v[9:10], v[3:4]
	v_div_fixup_f64 v[5:6], v[7:8], v[5:6], 1.0
	v_mul_f64 v[9:10], v[11:12], v[5:6]
	v_mul_f64 v[11:12], v[1:2], v[5:6]
	s_branch .LBB203_127
.LBB203_134:
	s_and_saveexec_b64 s[8:9], s[0:1]
	s_cbranch_execz .LBB203_138
; %bb.135:
	s_cmp_lt_i32 s24, 1
	s_cbranch_scc1 .LBB203_138
; %bb.136:
	s_lshl_b64 s[0:1], s[4:5], 4
	s_add_u32 s2, s2, s0
	s_addc_u32 s3, s3, s1
	s_lshl_b64 s[0:1], s[20:21], 4
	s_add_u32 s0, s2, s0
	s_addc_u32 s1, s3, s1
	s_add_u32 s0, s0, s6
	s_addc_u32 s1, s1, s7
	s_ashr_i32 s13, s12, 31
	v_lshlrev_b32_e32 v2, 4, v0
	v_mov_b32_e32 v1, s1
	v_add_co_u32_e32 v0, vcc, s0, v2
	s_lshl_b64 s[0:1], s[12:13], 4
	v_addc_co_u32_e32 v1, vcc, 0, v1, vcc
	v_or_b32_e32 v2, 0x100, v2
	v_mov_b32_e32 v3, s1
.LBB203_137:                            ; =>This Inner Loop Header: Depth=1
	ds_read2_b64 v[4:7], v2 offset1:1
	s_add_i32 s24, s24, -1
	v_add_u32_e32 v2, 64, v2
	s_cmp_lg_u32 s24, 0
	s_waitcnt lgkmcnt(0)
	global_store_dwordx4 v[0:1], v[4:7], off
	v_add_co_u32_e32 v0, vcc, s0, v0
	v_addc_co_u32_e32 v1, vcc, v1, v3, vcc
	s_cbranch_scc1 .LBB203_137
.LBB203_138:
	s_endpgm
	.section	.rodata,"a",@progbits
	.p2align	6, 0x0
	.amdhsa_kernel _ZL31rocblas_trsm_small_right_deviceI19rocblas_complex_numIdES1_PKS1_PS1_Li4EEv13rocblas_fill_18rocblas_operation_17rocblas_diagonal_iiT0_T1_lilT2_lili
		.amdhsa_group_segment_fixed_size 512
		.amdhsa_private_segment_fixed_size 0
		.amdhsa_kernarg_size 368
		.amdhsa_user_sgpr_count 6
		.amdhsa_user_sgpr_private_segment_buffer 1
		.amdhsa_user_sgpr_dispatch_ptr 0
		.amdhsa_user_sgpr_queue_ptr 0
		.amdhsa_user_sgpr_kernarg_segment_ptr 1
		.amdhsa_user_sgpr_dispatch_id 0
		.amdhsa_user_sgpr_flat_scratch_init 0
		.amdhsa_user_sgpr_private_segment_size 0
		.amdhsa_uses_dynamic_stack 0
		.amdhsa_system_sgpr_private_segment_wavefront_offset 0
		.amdhsa_system_sgpr_workgroup_id_x 1
		.amdhsa_system_sgpr_workgroup_id_y 0
		.amdhsa_system_sgpr_workgroup_id_z 1
		.amdhsa_system_sgpr_workgroup_info 0
		.amdhsa_system_vgpr_workitem_id 0
		.amdhsa_next_free_vgpr 38
		.amdhsa_next_free_sgpr 29
		.amdhsa_reserve_vcc 1
		.amdhsa_reserve_flat_scratch 0
		.amdhsa_float_round_mode_32 0
		.amdhsa_float_round_mode_16_64 0
		.amdhsa_float_denorm_mode_32 3
		.amdhsa_float_denorm_mode_16_64 3
		.amdhsa_dx10_clamp 1
		.amdhsa_ieee_mode 1
		.amdhsa_fp16_overflow 0
		.amdhsa_exception_fp_ieee_invalid_op 0
		.amdhsa_exception_fp_denorm_src 0
		.amdhsa_exception_fp_ieee_div_zero 0
		.amdhsa_exception_fp_ieee_overflow 0
		.amdhsa_exception_fp_ieee_underflow 0
		.amdhsa_exception_fp_ieee_inexact 0
		.amdhsa_exception_int_div_zero 0
	.end_amdhsa_kernel
	.section	.text._ZL31rocblas_trsm_small_right_deviceI19rocblas_complex_numIdES1_PKS1_PS1_Li4EEv13rocblas_fill_18rocblas_operation_17rocblas_diagonal_iiT0_T1_lilT2_lili,"axG",@progbits,_ZL31rocblas_trsm_small_right_deviceI19rocblas_complex_numIdES1_PKS1_PS1_Li4EEv13rocblas_fill_18rocblas_operation_17rocblas_diagonal_iiT0_T1_lilT2_lili,comdat
.Lfunc_end203:
	.size	_ZL31rocblas_trsm_small_right_deviceI19rocblas_complex_numIdES1_PKS1_PS1_Li4EEv13rocblas_fill_18rocblas_operation_17rocblas_diagonal_iiT0_T1_lilT2_lili, .Lfunc_end203-_ZL31rocblas_trsm_small_right_deviceI19rocblas_complex_numIdES1_PKS1_PS1_Li4EEv13rocblas_fill_18rocblas_operation_17rocblas_diagonal_iiT0_T1_lilT2_lili
                                        ; -- End function
	.set _ZL31rocblas_trsm_small_right_deviceI19rocblas_complex_numIdES1_PKS1_PS1_Li4EEv13rocblas_fill_18rocblas_operation_17rocblas_diagonal_iiT0_T1_lilT2_lili.num_vgpr, 38
	.set _ZL31rocblas_trsm_small_right_deviceI19rocblas_complex_numIdES1_PKS1_PS1_Li4EEv13rocblas_fill_18rocblas_operation_17rocblas_diagonal_iiT0_T1_lilT2_lili.num_agpr, 0
	.set _ZL31rocblas_trsm_small_right_deviceI19rocblas_complex_numIdES1_PKS1_PS1_Li4EEv13rocblas_fill_18rocblas_operation_17rocblas_diagonal_iiT0_T1_lilT2_lili.numbered_sgpr, 29
	.set _ZL31rocblas_trsm_small_right_deviceI19rocblas_complex_numIdES1_PKS1_PS1_Li4EEv13rocblas_fill_18rocblas_operation_17rocblas_diagonal_iiT0_T1_lilT2_lili.num_named_barrier, 0
	.set _ZL31rocblas_trsm_small_right_deviceI19rocblas_complex_numIdES1_PKS1_PS1_Li4EEv13rocblas_fill_18rocblas_operation_17rocblas_diagonal_iiT0_T1_lilT2_lili.private_seg_size, 0
	.set _ZL31rocblas_trsm_small_right_deviceI19rocblas_complex_numIdES1_PKS1_PS1_Li4EEv13rocblas_fill_18rocblas_operation_17rocblas_diagonal_iiT0_T1_lilT2_lili.uses_vcc, 1
	.set _ZL31rocblas_trsm_small_right_deviceI19rocblas_complex_numIdES1_PKS1_PS1_Li4EEv13rocblas_fill_18rocblas_operation_17rocblas_diagonal_iiT0_T1_lilT2_lili.uses_flat_scratch, 0
	.set _ZL31rocblas_trsm_small_right_deviceI19rocblas_complex_numIdES1_PKS1_PS1_Li4EEv13rocblas_fill_18rocblas_operation_17rocblas_diagonal_iiT0_T1_lilT2_lili.has_dyn_sized_stack, 0
	.set _ZL31rocblas_trsm_small_right_deviceI19rocblas_complex_numIdES1_PKS1_PS1_Li4EEv13rocblas_fill_18rocblas_operation_17rocblas_diagonal_iiT0_T1_lilT2_lili.has_recursion, 0
	.set _ZL31rocblas_trsm_small_right_deviceI19rocblas_complex_numIdES1_PKS1_PS1_Li4EEv13rocblas_fill_18rocblas_operation_17rocblas_diagonal_iiT0_T1_lilT2_lili.has_indirect_call, 0
	.section	.AMDGPU.csdata,"",@progbits
; Kernel info:
; codeLenInByte = 13032
; TotalNumSgprs: 33
; NumVgprs: 38
; ScratchSize: 0
; MemoryBound: 0
; FloatMode: 240
; IeeeMode: 1
; LDSByteSize: 512 bytes/workgroup (compile time only)
; SGPRBlocks: 4
; VGPRBlocks: 9
; NumSGPRsForWavesPerEU: 33
; NumVGPRsForWavesPerEU: 38
; Occupancy: 6
; WaveLimiterHint : 0
; COMPUTE_PGM_RSRC2:SCRATCH_EN: 0
; COMPUTE_PGM_RSRC2:USER_SGPR: 6
; COMPUTE_PGM_RSRC2:TRAP_HANDLER: 0
; COMPUTE_PGM_RSRC2:TGID_X_EN: 1
; COMPUTE_PGM_RSRC2:TGID_Y_EN: 0
; COMPUTE_PGM_RSRC2:TGID_Z_EN: 1
; COMPUTE_PGM_RSRC2:TIDIG_COMP_CNT: 0
	.section	.text._ZL38rocblas_trsm_small_left_device_sharedBILi8ELi8ELb0E19rocblas_complex_numIdES1_PKS1_PS1_Ev13rocblas_fill_18rocblas_operation_17rocblas_diagonal_iiT3_T4_lilT5_lili,"axG",@progbits,_ZL38rocblas_trsm_small_left_device_sharedBILi8ELi8ELb0E19rocblas_complex_numIdES1_PKS1_PS1_Ev13rocblas_fill_18rocblas_operation_17rocblas_diagonal_iiT3_T4_lilT5_lili,comdat
	.globl	_ZL38rocblas_trsm_small_left_device_sharedBILi8ELi8ELb0E19rocblas_complex_numIdES1_PKS1_PS1_Ev13rocblas_fill_18rocblas_operation_17rocblas_diagonal_iiT3_T4_lilT5_lili ; -- Begin function _ZL38rocblas_trsm_small_left_device_sharedBILi8ELi8ELb0E19rocblas_complex_numIdES1_PKS1_PS1_Ev13rocblas_fill_18rocblas_operation_17rocblas_diagonal_iiT3_T4_lilT5_lili
	.p2align	8
	.type	_ZL38rocblas_trsm_small_left_device_sharedBILi8ELi8ELb0E19rocblas_complex_numIdES1_PKS1_PS1_Ev13rocblas_fill_18rocblas_operation_17rocblas_diagonal_iiT3_T4_lilT5_lili,@function
_ZL38rocblas_trsm_small_left_device_sharedBILi8ELi8ELb0E19rocblas_complex_numIdES1_PKS1_PS1_Ev13rocblas_fill_18rocblas_operation_17rocblas_diagonal_iiT3_T4_lilT5_lili: ; @_ZL38rocblas_trsm_small_left_device_sharedBILi8ELi8ELb0E19rocblas_complex_numIdES1_PKS1_PS1_Ev13rocblas_fill_18rocblas_operation_17rocblas_diagonal_iiT3_T4_lilT5_lili
; %bb.0:
	s_add_u32 s0, s0, s8
	s_load_dwordx4 s[20:23], s[4:5], 0x4
	s_load_dwordx8 s[12:19], s[4:5], 0x18
	s_load_dwordx4 s[8:11], s[4:5], 0x40
	s_load_dwordx2 s[24:25], s[4:5], 0x50
	s_load_dword s29, s[4:5], 0x70
	s_addc_u32 s1, s1, 0
	s_waitcnt lgkmcnt(0)
	s_min_i32 s28, s22, 8
	v_cmp_gt_i32_e32 vcc, s28, v0
	s_and_saveexec_b64 s[26:27], vcc
	s_cbranch_execz .LBB204_11
; %bb.1:
	s_load_dword s30, s[4:5], 0x38
	s_mul_i32 s9, s9, s7
	s_mul_hi_u32 s33, s8, s7
	s_mul_i32 s8, s8, s7
	v_lshlrev_b32_e32 v3, 4, v0
	s_waitcnt lgkmcnt(0)
	s_ashr_i32 s31, s30, 31
	s_cmpk_eq_i32 s20, 0x71
	s_cselect_b64 vcc, -1, 0
	s_add_i32 s9, s33, s9
	s_lshl_b64 s[8:9], s[8:9], 4
	s_lshl_b64 s[18:19], s[18:19], 4
	s_add_u32 s8, s8, s18
	s_addc_u32 s9, s9, s19
	s_add_u32 s8, s16, s8
	s_addc_u32 s9, s17, s9
	v_mov_b32_e32 v1, s9
	v_add_co_u32_e64 v2, s[8:9], s8, v3
	v_addc_co_u32_e64 v4, s[8:9], 0, v1, s[8:9]
	v_add_co_u32_e64 v1, s[8:9], 8, v2
	s_lshl_b64 s[16:17], s[30:31], 4
	v_addc_co_u32_e64 v2, s[8:9], 0, v4, s[8:9]
	v_mov_b32_e32 v4, s17
	v_mov_b32_e32 v5, v3
	s_mov_b32 s17, s28
.LBB204_2:                              ; =>This Inner Loop Header: Depth=1
	global_load_dwordx4 v[6:9], v[1:2], off offset:-8
	s_add_i32 s17, s17, -1
	v_add_co_u32_e64 v1, s[8:9], s16, v1
	v_addc_co_u32_e64 v2, s[8:9], v2, v4, s[8:9]
	s_cmp_eq_u32 s17, 0
	s_waitcnt vmcnt(0)
	v_xor_b32_e32 v10, 0x80000000, v9
	v_cndmask_b32_e32 v9, v9, v10, vcc
	ds_write_b128 v5, v[6:9]
	v_add_u32_e32 v5, 0x80, v5
	s_cbranch_scc0 .LBB204_2
; %bb.3:
	v_lshlrev_b32_e32 v1, 7, v0
	s_cmpk_lg_i32 s21, 0x84
	v_add_u32_e32 v9, v3, v1
	s_cbranch_scc0 .LBB204_9
; %bb.4:
	ds_read_b128 v[1:4], v9
                                        ; implicit-def: $vgpr7_vgpr8
	s_waitcnt lgkmcnt(0)
	v_cmp_ngt_f64_e64 s[8:9], |v[1:2]|, |v[3:4]|
	s_and_saveexec_b64 s[16:17], s[8:9]
	s_xor_b64 s[8:9], exec, s[16:17]
	s_cbranch_execz .LBB204_6
; %bb.5:
	v_div_scale_f64 v[5:6], s[16:17], v[3:4], v[3:4], v[1:2]
	v_rcp_f64_e32 v[7:8], v[5:6]
	v_fma_f64 v[10:11], -v[5:6], v[7:8], 1.0
	v_fma_f64 v[7:8], v[7:8], v[10:11], v[7:8]
	v_div_scale_f64 v[10:11], vcc, v[1:2], v[3:4], v[1:2]
	v_fma_f64 v[12:13], -v[5:6], v[7:8], 1.0
	v_fma_f64 v[7:8], v[7:8], v[12:13], v[7:8]
	v_mul_f64 v[12:13], v[10:11], v[7:8]
	v_fma_f64 v[5:6], -v[5:6], v[12:13], v[10:11]
	v_div_fmas_f64 v[5:6], v[5:6], v[7:8], v[12:13]
	v_div_fixup_f64 v[5:6], v[5:6], v[3:4], v[1:2]
	v_fma_f64 v[1:2], v[1:2], v[5:6], v[3:4]
	v_div_scale_f64 v[3:4], s[16:17], v[1:2], v[1:2], 1.0
	v_rcp_f64_e32 v[7:8], v[3:4]
	v_fma_f64 v[10:11], -v[3:4], v[7:8], 1.0
	v_fma_f64 v[7:8], v[7:8], v[10:11], v[7:8]
	v_div_scale_f64 v[10:11], vcc, 1.0, v[1:2], 1.0
	v_fma_f64 v[12:13], -v[3:4], v[7:8], 1.0
	v_fma_f64 v[7:8], v[7:8], v[12:13], v[7:8]
	v_mul_f64 v[12:13], v[10:11], v[7:8]
	v_fma_f64 v[3:4], -v[3:4], v[12:13], v[10:11]
	v_div_fmas_f64 v[3:4], v[3:4], v[7:8], v[12:13]
	v_add_f64 v[7:8], v[5:6], 0
	v_div_fixup_f64 v[1:2], v[3:4], v[1:2], 1.0
	v_fma_f64 v[3:4], v[5:6], 0, -1.0
	v_mul_f64 v[5:6], v[7:8], v[1:2]
	v_mul_f64 v[7:8], v[3:4], v[1:2]
                                        ; implicit-def: $vgpr1_vgpr2
.LBB204_6:
	s_andn2_saveexec_b64 s[8:9], s[8:9]
	s_cbranch_execz .LBB204_8
; %bb.7:
	v_div_scale_f64 v[5:6], s[16:17], v[1:2], v[1:2], v[3:4]
	v_rcp_f64_e32 v[7:8], v[5:6]
	v_fma_f64 v[10:11], -v[5:6], v[7:8], 1.0
	v_fma_f64 v[7:8], v[7:8], v[10:11], v[7:8]
	v_div_scale_f64 v[10:11], vcc, v[3:4], v[1:2], v[3:4]
	v_fma_f64 v[12:13], -v[5:6], v[7:8], 1.0
	v_fma_f64 v[7:8], v[7:8], v[12:13], v[7:8]
	v_mul_f64 v[12:13], v[10:11], v[7:8]
	v_fma_f64 v[5:6], -v[5:6], v[12:13], v[10:11]
	v_div_fmas_f64 v[5:6], v[5:6], v[7:8], v[12:13]
	v_div_fixup_f64 v[5:6], v[5:6], v[1:2], v[3:4]
	v_fma_f64 v[1:2], v[3:4], v[5:6], v[1:2]
	v_div_scale_f64 v[3:4], s[16:17], v[1:2], v[1:2], 1.0
	v_rcp_f64_e32 v[7:8], v[3:4]
	v_fma_f64 v[10:11], -v[3:4], v[7:8], 1.0
	v_fma_f64 v[7:8], v[7:8], v[10:11], v[7:8]
	v_div_scale_f64 v[10:11], vcc, 1.0, v[1:2], 1.0
	v_fma_f64 v[12:13], -v[3:4], v[7:8], 1.0
	v_fma_f64 v[7:8], v[7:8], v[12:13], v[7:8]
	v_mul_f64 v[12:13], v[10:11], v[7:8]
	v_fma_f64 v[3:4], -v[3:4], v[12:13], v[10:11]
	v_div_fmas_f64 v[3:4], v[3:4], v[7:8], v[12:13]
	v_fma_f64 v[7:8], v[5:6], 0, 1.0
	v_div_fixup_f64 v[1:2], v[3:4], v[1:2], 1.0
	v_add_f64 v[3:4], -v[5:6], 0
	v_mul_f64 v[5:6], v[7:8], v[1:2]
	v_mul_f64 v[7:8], v[3:4], v[1:2]
.LBB204_8:
	s_or_b64 exec, exec, s[8:9]
	s_branch .LBB204_10
.LBB204_9:
	v_mov_b32_e32 v7, 0
	v_mov_b32_e32 v5, 0
	;; [unrolled: 1-line block ×4, first 2 shown]
.LBB204_10:
	ds_write_b128 v9, v[5:8]
.LBB204_11:
	s_or_b64 exec, exec, s[26:27]
	s_load_dword s21, s[4:5], 0x58
	s_load_dwordx2 s[8:9], s[4:5], 0x60
	s_add_i32 s29, s29, -1
	s_waitcnt lgkmcnt(0)
	s_ashr_i32 s26, s21, 31
	s_mul_i32 s4, s9, s7
	s_mul_hi_u32 s5, s8, s7
	s_mul_i32 s16, s8, s7
	s_lshl_b32 s8, s6, 3
	s_add_i32 s17, s5, s4
	s_sub_i32 s4, s23, s8
	s_cmp_ge_u32 s6, s29
	s_cselect_b32 s4, s4, 8
	s_ashr_i32 s9, s8, 31
	s_cmp_gt_i32 s22, 0
	v_cmp_gt_i32_e64 s[4:5], s4, v0
	s_cselect_b64 s[6:7], -1, 0
	s_and_b64 s[22:23], s[4:5], s[6:7]
	s_and_saveexec_b64 s[18:19], s[22:23]
	s_cbranch_execz .LBB204_14
; %bb.12:
	v_lshlrev_b32_e32 v3, 4, v0
	s_lshl_b64 s[30:31], s[8:9], 4
	s_lshl_b64 s[22:23], s[16:17], 4
	v_mov_b32_e32 v1, s31
	v_add_co_u32_e32 v4, vcc, s30, v3
	s_lshl_b64 s[30:31], s[24:25], 4
	s_add_u32 s9, s10, s30
	s_addc_u32 s27, s11, s31
	s_add_u32 s22, s9, s22
	v_addc_co_u32_e32 v5, vcc, 0, v1, vcc
	s_addc_u32 s23, s27, s23
	v_mov_b32_e32 v1, s22
	v_mov_b32_e32 v2, s23
	v_mad_u64_u32 v[1:2], s[22:23], v4, s21, v[1:2]
	v_mul_lo_u32 v4, v4, s26
	v_mul_lo_u32 v5, v5, s21
	v_add_co_u32_e32 v1, vcc, 8, v1
	v_or_b32_e32 v3, 0x400, v3
	v_add3_u32 v2, v5, v2, v4
	v_addc_co_u32_e32 v2, vcc, 0, v2, vcc
	s_mov_b32 s9, s28
.LBB204_13:                             ; =>This Inner Loop Header: Depth=1
	global_load_dwordx4 v[4:7], v[1:2], off offset:-8
	s_add_i32 s9, s9, -1
	v_add_co_u32_e32 v1, vcc, 16, v1
	v_addc_co_u32_e32 v2, vcc, 0, v2, vcc
	s_cmp_lg_u32 s9, 0
	s_waitcnt vmcnt(0)
	v_mul_f64 v[8:9], s[14:15], v[6:7]
	v_mul_f64 v[10:11], s[12:13], v[6:7]
	v_fma_f64 v[6:7], s[12:13], v[4:5], -v[8:9]
	v_fma_f64 v[8:9], s[14:15], v[4:5], v[10:11]
	ds_write_b128 v3, v[6:9]
	v_add_u32_e32 v3, 0x80, v3
	s_cbranch_scc1 .LBB204_13
.LBB204_14:
	s_or_b64 exec, exec, s[18:19]
	v_mov_b32_e32 v1, 0x400
	s_cmpk_eq_i32 s20, 0x6f
	v_lshl_or_b32 v5, v0, 4, v1
	s_mov_b64 s[12:13], -1
	s_waitcnt lgkmcnt(0)
	; wave barrier
	s_cbranch_scc1 .LBB204_36
; %bb.15:
	s_mov_b32 s13, 0
	s_mov_b32 s12, s13
	;; [unrolled: 1-line block ×3, first 2 shown]
	s_branch .LBB204_17
.LBB204_16:                             ;   in Loop: Header=BB204_17 Depth=1
	s_cmp_ge_i32 s9, s28
	s_cselect_b64 s[14:15], -1, 0
	s_add_i32 s12, s12, 1
	s_cmp_eq_u32 s12, 3
	s_cselect_b64 s[18:19], -1, 0
	s_or_b64 s[14:15], s[14:15], s[18:19]
	s_andn2_b64 vcc, exec, s[14:15]
	s_cbranch_vccz .LBB204_35
.LBB204_17:                             ; =>This Loop Header: Depth=1
                                        ;     Child Loop BB204_20 Depth 2
                                        ;       Child Loop BB204_21 Depth 3
                                        ;       Child Loop BB204_24 Depth 3
                                        ;         Child Loop BB204_25 Depth 4
                                        ;       Child Loop BB204_29 Depth 3
                                        ;         Child Loop BB204_31 Depth 4
	s_lshl_b64 s[14:15], s[12:13], 2
	s_getpc_b64 s[18:19]
	s_add_u32 s18, s18, __const._ZL38rocblas_trsm_small_left_device_sharedBILi8ELi8ELb0E19rocblas_complex_numIdES1_PKS1_PS1_Ev13rocblas_fill_18rocblas_operation_17rocblas_diagonal_iiT3_T4_lilT5_lili.step_sizes@rel32@lo+4
	s_addc_u32 s19, s19, __const._ZL38rocblas_trsm_small_left_device_sharedBILi8ELi8ELb0E19rocblas_complex_numIdES1_PKS1_PS1_Ev13rocblas_fill_18rocblas_operation_17rocblas_diagonal_iiT3_T4_lilT5_lili.step_sizes@rel32@hi+12
	s_add_u32 s14, s18, s14
	s_addc_u32 s15, s19, s15
	s_load_dword s18, s[14:15], 0x0
	s_waitcnt lgkmcnt(0)
	s_add_i32 s19, s18, -1
	s_add_i32 s14, s19, s9
	s_cmp_ge_i32 s14, s28
	s_cbranch_scc1 .LBB204_16
; %bb.18:                               ;   in Loop: Header=BB204_17 Depth=1
	s_lshl_b32 s22, s9, 7
	s_max_i32 s20, s18, 1
	v_add_u32_e32 v6, s22, v5
	s_lshl_b32 s23, s18, 7
	s_mul_i32 s26, s9, 0x90
	s_mul_i32 s27, s18, 0x90
	s_branch .LBB204_20
.LBB204_19:                             ;   in Loop: Header=BB204_20 Depth=2
	s_add_i32 s9, s9, s18
	s_add_i32 s14, s19, s9
	;; [unrolled: 1-line block ×4, first 2 shown]
	s_cmp_ge_i32 s14, s28
	v_add_u32_e32 v6, s23, v6
	s_cbranch_scc1 .LBB204_16
.LBB204_20:                             ;   Parent Loop BB204_17 Depth=1
                                        ; =>  This Loop Header: Depth=2
                                        ;       Child Loop BB204_21 Depth 3
                                        ;       Child Loop BB204_24 Depth 3
                                        ;         Child Loop BB204_25 Depth 4
                                        ;       Child Loop BB204_29 Depth 3
                                        ;         Child Loop BB204_31 Depth 4
	s_mov_b32 s14, 0
	v_mov_b32_e32 v1, v6
	s_mov_b32 s15, s20
.LBB204_21:                             ;   Parent Loop BB204_17 Depth=1
                                        ;     Parent Loop BB204_20 Depth=2
                                        ; =>    This Inner Loop Header: Depth=3
	ds_read_b128 v[7:10], v1
	v_mov_b32_e32 v2, s14
	s_add_i32 s15, s15, -1
	s_add_i32 s14, s14, 16
	v_add_u32_e32 v1, 0x80, v1
	s_cmp_eq_u32 s15, 0
	s_waitcnt lgkmcnt(0)
	buffer_store_dword v10, v2, s[0:3], 0 offen offset:12
	buffer_store_dword v9, v2, s[0:3], 0 offen offset:8
	;; [unrolled: 1-line block ×3, first 2 shown]
	buffer_store_dword v7, v2, s[0:3], 0 offen
	s_cbranch_scc0 .LBB204_21
; %bb.22:                               ;   in Loop: Header=BB204_20 Depth=2
	s_cmp_lt_i32 s9, 1
	s_cbranch_scc1 .LBB204_27
; %bb.23:                               ;   in Loop: Header=BB204_20 Depth=2
	s_mov_b32 s14, 0
	s_mov_b32 s15, s22
.LBB204_24:                             ;   Parent Loop BB204_17 Depth=1
                                        ;     Parent Loop BB204_20 Depth=2
                                        ; =>    This Loop Header: Depth=3
                                        ;         Child Loop BB204_25 Depth 4
	v_lshl_add_u32 v1, s14, 7, v5
	ds_read_b128 v[1:4], v1
	s_mov_b32 s29, 0
	s_mov_b32 s30, s15
	;; [unrolled: 1-line block ×3, first 2 shown]
.LBB204_25:                             ;   Parent Loop BB204_17 Depth=1
                                        ;     Parent Loop BB204_20 Depth=2
                                        ;       Parent Loop BB204_24 Depth=3
                                        ; =>      This Inner Loop Header: Depth=4
	v_mov_b32_e32 v17, s29
	buffer_load_dword v11, v17, s[0:3], 0 offen
	buffer_load_dword v12, v17, s[0:3], 0 offen offset:4
	buffer_load_dword v13, v17, s[0:3], 0 offen offset:8
	;; [unrolled: 1-line block ×3, first 2 shown]
	v_mov_b32_e32 v7, s30
	ds_read_b128 v[7:10], v7
	s_add_i32 s31, s31, -1
	s_addk_i32 s30, 0x80
	s_add_i32 s29, s29, 16
	s_cmp_eq_u32 s31, 0
	s_waitcnt lgkmcnt(0)
	v_mul_f64 v[15:16], v[3:4], v[9:10]
	v_mul_f64 v[9:10], v[1:2], v[9:10]
	v_fma_f64 v[15:16], v[1:2], v[7:8], -v[15:16]
	v_fma_f64 v[7:8], v[3:4], v[7:8], v[9:10]
	s_waitcnt vmcnt(2)
	v_add_f64 v[9:10], v[11:12], -v[15:16]
	s_waitcnt vmcnt(0)
	v_add_f64 v[7:8], v[13:14], -v[7:8]
	buffer_store_dword v9, v17, s[0:3], 0 offen
	buffer_store_dword v10, v17, s[0:3], 0 offen offset:4
	buffer_store_dword v7, v17, s[0:3], 0 offen offset:8
	;; [unrolled: 1-line block ×3, first 2 shown]
	s_cbranch_scc0 .LBB204_25
; %bb.26:                               ;   in Loop: Header=BB204_24 Depth=3
	s_add_i32 s14, s14, 1
	s_add_i32 s15, s15, 16
	s_cmp_eq_u32 s14, s9
	s_cbranch_scc0 .LBB204_24
.LBB204_27:                             ;   in Loop: Header=BB204_20 Depth=2
	s_lshl_b32 s29, s9, 7
	s_mov_b32 s30, 0
	s_mov_b32 s31, s26
	s_branch .LBB204_29
.LBB204_28:                             ;   in Loop: Header=BB204_29 Depth=3
	s_mul_i32 s14, s34, 0x90
	v_mov_b32_e32 v7, s14
	ds_read_b128 v[7:10], v7
	s_lshl_b32 s14, s30, 4
	s_add_i32 s30, s30, 1
	s_addk_i32 s31, 0x80
	s_cmp_eq_u32 s30, s20
	s_waitcnt vmcnt(0) lgkmcnt(0)
	v_mul_f64 v[11:12], v[9:10], v[3:4]
	v_mul_f64 v[3:4], v[7:8], v[3:4]
	v_fma_f64 v[7:8], v[7:8], v[1:2], -v[11:12]
	v_fma_f64 v[9:10], v[9:10], v[1:2], v[3:4]
	v_add_u32_e32 v1, s33, v5
	v_mov_b32_e32 v2, s14
	buffer_store_dword v8, v2, s[0:3], 0 offen offset:4
	buffer_store_dword v7, v2, s[0:3], 0 offen
	buffer_store_dword v10, v2, s[0:3], 0 offen offset:12
	buffer_store_dword v9, v2, s[0:3], 0 offen offset:8
	ds_write_b128 v1, v[7:10]
	s_cbranch_scc1 .LBB204_19
.LBB204_29:                             ;   Parent Loop BB204_17 Depth=1
                                        ;     Parent Loop BB204_20 Depth=2
                                        ; =>    This Loop Header: Depth=3
                                        ;         Child Loop BB204_31 Depth 4
	s_cmp_lg_u32 s30, 0
	s_cbranch_scc0 .LBB204_33
; %bb.30:                               ;   in Loop: Header=BB204_29 Depth=3
	s_lshl_b32 s14, s30, 4
	v_mov_b32_e32 v7, s14
	buffer_load_dword v1, v7, s[0:3], 0 offen
	buffer_load_dword v2, v7, s[0:3], 0 offen offset:4
	buffer_load_dword v3, v7, s[0:3], 0 offen offset:8
	;; [unrolled: 1-line block ×3, first 2 shown]
	s_add_i32 s34, s30, s9
	s_lshl_b32 s33, s34, 7
	s_mov_b32 s15, 0
	s_mov_b32 s35, s31
	;; [unrolled: 1-line block ×3, first 2 shown]
.LBB204_31:                             ;   Parent Loop BB204_17 Depth=1
                                        ;     Parent Loop BB204_20 Depth=2
                                        ;       Parent Loop BB204_29 Depth=3
                                        ; =>      This Inner Loop Header: Depth=4
	v_mov_b32_e32 v7, s15
	buffer_load_dword v11, v7, s[0:3], 0 offen offset:8
	buffer_load_dword v12, v7, s[0:3], 0 offen offset:12
	buffer_load_dword v13, v7, s[0:3], 0 offen
	buffer_load_dword v14, v7, s[0:3], 0 offen offset:4
	v_mov_b32_e32 v7, s35
	ds_read_b128 v[7:10], v7
	s_add_i32 s36, s36, -1
	s_add_i32 s15, s15, 16
	s_add_i32 s35, s35, 16
	s_cmp_eq_u32 s36, 0
	s_waitcnt vmcnt(2) lgkmcnt(0)
	v_mul_f64 v[15:16], v[9:10], v[11:12]
	v_mul_f64 v[11:12], v[7:8], v[11:12]
	s_waitcnt vmcnt(0)
	v_fma_f64 v[7:8], v[7:8], v[13:14], -v[15:16]
	v_fma_f64 v[9:10], v[9:10], v[13:14], v[11:12]
	v_mov_b32_e32 v11, s14
	v_add_f64 v[1:2], v[1:2], -v[7:8]
	v_add_f64 v[3:4], v[3:4], -v[9:10]
	buffer_store_dword v1, v11, s[0:3], 0 offen
	buffer_store_dword v2, v11, s[0:3], 0 offen offset:4
	buffer_store_dword v3, v11, s[0:3], 0 offen offset:8
	buffer_store_dword v4, v11, s[0:3], 0 offen offset:12
	s_cbranch_scc0 .LBB204_31
; %bb.32:                               ;   in Loop: Header=BB204_29 Depth=3
	s_branch .LBB204_28
.LBB204_33:                             ;   in Loop: Header=BB204_29 Depth=3
                                        ; implicit-def: $vgpr1_vgpr2
                                        ; implicit-def: $vgpr3_vgpr4
                                        ; implicit-def: $sgpr34
                                        ; implicit-def: $sgpr33
	s_cbranch_execz .LBB204_28
; %bb.34:                               ;   in Loop: Header=BB204_29 Depth=3
	buffer_load_dword v1, off, s[0:3], 0
	buffer_load_dword v2, off, s[0:3], 0 offset:4
	buffer_load_dword v3, off, s[0:3], 0 offset:8
	;; [unrolled: 1-line block ×3, first 2 shown]
	s_mov_b32 s33, s29
	s_mov_b32 s34, s9
	s_branch .LBB204_28
.LBB204_35:
	s_mov_b64 s[12:13], 0
.LBB204_36:
	s_and_b64 vcc, exec, s[12:13]
	s_cbranch_vccz .LBB204_56
; %bb.37:
	s_add_i32 s9, s28, -1
	v_mov_b32_e32 v1, 0x400
	s_lshl_b32 s18, s28, 7
	s_mov_b32 s13, 0
	v_lshl_or_b32 v6, v0, 4, v1
	s_addk_i32 s18, 0xff80
	s_mov_b32 s12, s13
	s_mov_b32 s19, s9
	s_branch .LBB204_39
.LBB204_38:                             ;   in Loop: Header=BB204_39 Depth=1
	s_cmp_lt_i32 s19, 0
	s_cselect_b64 s[14:15], -1, 0
	s_add_i32 s12, s12, 1
	s_cmp_eq_u32 s12, 3
	s_cselect_b64 s[22:23], -1, 0
	s_or_b64 s[14:15], s[14:15], s[22:23]
	s_and_b64 vcc, exec, s[14:15]
	s_cbranch_vccnz .LBB204_56
.LBB204_39:                             ; =>This Loop Header: Depth=1
                                        ;     Child Loop BB204_42 Depth 2
                                        ;       Child Loop BB204_43 Depth 3
                                        ;       Child Loop BB204_45 Depth 3
                                        ;         Child Loop BB204_46 Depth 4
                                        ;       Child Loop BB204_50 Depth 3
                                        ;         Child Loop BB204_52 Depth 4
	s_lshl_b64 s[14:15], s[12:13], 2
	s_getpc_b64 s[22:23]
	s_add_u32 s22, s22, __const._ZL38rocblas_trsm_small_left_device_sharedBILi8ELi8ELb0E19rocblas_complex_numIdES1_PKS1_PS1_Ev13rocblas_fill_18rocblas_operation_17rocblas_diagonal_iiT3_T4_lilT5_lili.step_sizes@rel32@lo+4
	s_addc_u32 s23, s23, __const._ZL38rocblas_trsm_small_left_device_sharedBILi8ELi8ELb0E19rocblas_complex_numIdES1_PKS1_PS1_Ev13rocblas_fill_18rocblas_operation_17rocblas_diagonal_iiT3_T4_lilT5_lili.step_sizes@rel32@hi+12
	s_add_u32 s14, s22, s14
	s_addc_u32 s15, s23, s15
	s_load_dword s20, s[14:15], 0x0
	s_waitcnt lgkmcnt(0)
	s_add_i32 s22, s20, -1
	s_cmp_lt_i32 s19, s22
	s_cbranch_scc1 .LBB204_38
; %bb.40:                               ;   in Loop: Header=BB204_39 Depth=1
	s_lshl_b32 s14, s20, 7
	s_sub_i32 s26, 0, s14
	s_lshl_b32 s14, s19, 4
	s_add_i32 s27, s18, s14
	s_lshl_b32 s14, s20, 4
	s_max_i32 s23, s20, 1
	v_lshl_add_u32 v7, s19, 7, v6
	s_sub_i32 s29, 0, s14
	s_mul_i32 s30, s19, 0x90
	s_mul_i32 s31, s20, 0xffffff70
	s_branch .LBB204_42
.LBB204_41:                             ;   in Loop: Header=BB204_42 Depth=2
	s_sub_i32 s19, s19, s20
	s_add_i32 s27, s27, s29
	s_add_i32 s30, s30, s31
	s_cmp_lt_i32 s19, s22
	v_add_u32_e32 v7, s26, v7
	s_cbranch_scc1 .LBB204_38
.LBB204_42:                             ;   Parent Loop BB204_39 Depth=1
                                        ; =>  This Loop Header: Depth=2
                                        ;       Child Loop BB204_43 Depth 3
                                        ;       Child Loop BB204_45 Depth 3
                                        ;         Child Loop BB204_46 Depth 4
                                        ;       Child Loop BB204_50 Depth 3
                                        ;         Child Loop BB204_52 Depth 4
	s_mov_b32 s14, 0
	v_mov_b32_e32 v1, v7
	s_mov_b32 s15, s23
.LBB204_43:                             ;   Parent Loop BB204_39 Depth=1
                                        ;     Parent Loop BB204_42 Depth=2
                                        ; =>    This Inner Loop Header: Depth=3
	ds_read_b128 v[8:11], v1
	v_mov_b32_e32 v2, s14
	s_add_i32 s15, s15, -1
	s_add_i32 s14, s14, 16
	v_add_u32_e32 v1, 0xffffff80, v1
	s_cmp_eq_u32 s15, 0
	s_waitcnt lgkmcnt(0)
	buffer_store_dword v11, v2, s[0:3], 0 offen offset:12
	buffer_store_dword v10, v2, s[0:3], 0 offen offset:8
	;; [unrolled: 1-line block ×3, first 2 shown]
	buffer_store_dword v8, v2, s[0:3], 0 offen
	s_cbranch_scc0 .LBB204_43
; %bb.44:                               ;   in Loop: Header=BB204_42 Depth=2
	s_cmp_le_i32 s9, s19
	s_mov_b32 s14, s27
	s_mov_b32 s15, s9
	s_cbranch_scc1 .LBB204_48
.LBB204_45:                             ;   Parent Loop BB204_39 Depth=1
                                        ;     Parent Loop BB204_42 Depth=2
                                        ; =>    This Loop Header: Depth=3
                                        ;         Child Loop BB204_46 Depth 4
	v_lshl_add_u32 v1, s15, 7, v5
	ds_read_b128 v[1:4], v1
	s_mov_b32 s33, 0
	s_mov_b32 s34, s14
	;; [unrolled: 1-line block ×3, first 2 shown]
.LBB204_46:                             ;   Parent Loop BB204_39 Depth=1
                                        ;     Parent Loop BB204_42 Depth=2
                                        ;       Parent Loop BB204_45 Depth=3
                                        ; =>      This Inner Loop Header: Depth=4
	v_mov_b32_e32 v18, s33
	buffer_load_dword v12, v18, s[0:3], 0 offen
	buffer_load_dword v13, v18, s[0:3], 0 offen offset:4
	buffer_load_dword v14, v18, s[0:3], 0 offen offset:8
	;; [unrolled: 1-line block ×3, first 2 shown]
	v_mov_b32_e32 v8, s34
	ds_read_b128 v[8:11], v8
	s_add_i32 s35, s35, -1
	s_add_i32 s34, s34, -16
	s_add_i32 s33, s33, 16
	s_cmp_eq_u32 s35, 0
	s_waitcnt lgkmcnt(0)
	v_mul_f64 v[16:17], v[3:4], v[10:11]
	v_mul_f64 v[10:11], v[1:2], v[10:11]
	v_fma_f64 v[16:17], v[1:2], v[8:9], -v[16:17]
	v_fma_f64 v[8:9], v[3:4], v[8:9], v[10:11]
	s_waitcnt vmcnt(2)
	v_add_f64 v[10:11], v[12:13], -v[16:17]
	s_waitcnt vmcnt(0)
	v_add_f64 v[8:9], v[14:15], -v[8:9]
	buffer_store_dword v10, v18, s[0:3], 0 offen
	buffer_store_dword v11, v18, s[0:3], 0 offen offset:4
	buffer_store_dword v8, v18, s[0:3], 0 offen offset:8
	;; [unrolled: 1-line block ×3, first 2 shown]
	s_cbranch_scc0 .LBB204_46
; %bb.47:                               ;   in Loop: Header=BB204_45 Depth=3
	s_add_i32 s15, s15, -1
	s_addk_i32 s14, 0xff80
	s_cmp_le_i32 s15, s19
	s_cbranch_scc0 .LBB204_45
.LBB204_48:                             ;   in Loop: Header=BB204_42 Depth=2
	s_mov_b32 s33, 0
	s_mov_b32 s34, s30
	s_branch .LBB204_50
.LBB204_49:                             ;   in Loop: Header=BB204_50 Depth=3
	s_mul_i32 s14, s35, 0x90
	v_mov_b32_e32 v8, s14
	ds_read_b128 v[8:11], v8
	s_lshl_b32 s14, s33, 4
	s_add_i32 s33, s33, 1
	s_add_i32 s34, s34, -16
	s_cmp_eq_u32 s33, s23
	s_waitcnt vmcnt(0) lgkmcnt(0)
	v_mul_f64 v[12:13], v[10:11], v[3:4]
	v_mul_f64 v[3:4], v[8:9], v[3:4]
	v_fma_f64 v[8:9], v[8:9], v[1:2], -v[12:13]
	v_fma_f64 v[10:11], v[10:11], v[1:2], v[3:4]
	v_lshl_add_u32 v1, s35, 7, v5
	v_mov_b32_e32 v2, s14
	buffer_store_dword v9, v2, s[0:3], 0 offen offset:4
	buffer_store_dword v8, v2, s[0:3], 0 offen
	buffer_store_dword v11, v2, s[0:3], 0 offen offset:12
	buffer_store_dword v10, v2, s[0:3], 0 offen offset:8
	ds_write_b128 v1, v[8:11]
	s_cbranch_scc1 .LBB204_41
.LBB204_50:                             ;   Parent Loop BB204_39 Depth=1
                                        ;     Parent Loop BB204_42 Depth=2
                                        ; =>    This Loop Header: Depth=3
                                        ;         Child Loop BB204_52 Depth 4
	s_cmp_lg_u32 s33, 0
	s_cbranch_scc0 .LBB204_54
; %bb.51:                               ;   in Loop: Header=BB204_50 Depth=3
	s_lshl_b32 s14, s33, 4
	v_mov_b32_e32 v8, s14
	buffer_load_dword v1, v8, s[0:3], 0 offen
	buffer_load_dword v2, v8, s[0:3], 0 offen offset:4
	buffer_load_dword v3, v8, s[0:3], 0 offen offset:8
	;; [unrolled: 1-line block ×3, first 2 shown]
	s_sub_i32 s35, s19, s33
	s_mov_b32 s15, 0
	s_mov_b32 s36, s34
	;; [unrolled: 1-line block ×3, first 2 shown]
.LBB204_52:                             ;   Parent Loop BB204_39 Depth=1
                                        ;     Parent Loop BB204_42 Depth=2
                                        ;       Parent Loop BB204_50 Depth=3
                                        ; =>      This Inner Loop Header: Depth=4
	v_mov_b32_e32 v8, s15
	buffer_load_dword v12, v8, s[0:3], 0 offen offset:8
	buffer_load_dword v13, v8, s[0:3], 0 offen offset:12
	buffer_load_dword v14, v8, s[0:3], 0 offen
	buffer_load_dword v15, v8, s[0:3], 0 offen offset:4
	v_mov_b32_e32 v8, s36
	ds_read_b128 v[8:11], v8
	s_add_i32 s37, s37, -1
	s_addk_i32 s36, 0xff80
	s_add_i32 s15, s15, 16
	s_cmp_eq_u32 s37, 0
	s_waitcnt vmcnt(2) lgkmcnt(0)
	v_mul_f64 v[16:17], v[10:11], v[12:13]
	v_mul_f64 v[12:13], v[8:9], v[12:13]
	s_waitcnt vmcnt(0)
	v_fma_f64 v[8:9], v[8:9], v[14:15], -v[16:17]
	v_fma_f64 v[10:11], v[10:11], v[14:15], v[12:13]
	v_mov_b32_e32 v12, s14
	v_add_f64 v[1:2], v[1:2], -v[8:9]
	v_add_f64 v[3:4], v[3:4], -v[10:11]
	buffer_store_dword v1, v12, s[0:3], 0 offen
	buffer_store_dword v2, v12, s[0:3], 0 offen offset:4
	buffer_store_dword v3, v12, s[0:3], 0 offen offset:8
	;; [unrolled: 1-line block ×3, first 2 shown]
	s_cbranch_scc0 .LBB204_52
; %bb.53:                               ;   in Loop: Header=BB204_50 Depth=3
	s_branch .LBB204_49
.LBB204_54:                             ;   in Loop: Header=BB204_50 Depth=3
                                        ; implicit-def: $vgpr1_vgpr2
                                        ; implicit-def: $vgpr3_vgpr4
                                        ; implicit-def: $sgpr35
	s_cbranch_execz .LBB204_49
; %bb.55:                               ;   in Loop: Header=BB204_50 Depth=3
	buffer_load_dword v1, off, s[0:3], 0
	buffer_load_dword v2, off, s[0:3], 0 offset:4
	buffer_load_dword v3, off, s[0:3], 0 offset:8
	;; [unrolled: 1-line block ×3, first 2 shown]
	s_mov_b32 s35, s19
	s_branch .LBB204_49
.LBB204_56:
	s_waitcnt lgkmcnt(0)
	; wave barrier
	s_and_saveexec_b64 s[12:13], s[4:5]
	s_cbranch_execz .LBB204_60
; %bb.57:
	s_andn2_b64 vcc, exec, s[6:7]
	s_cbranch_vccnz .LBB204_60
; %bb.58:
	s_lshl_b64 s[4:5], s[16:17], 4
	s_add_u32 s6, s10, s4
	s_addc_u32 s7, s11, s5
	s_lshl_b64 s[4:5], s[24:25], 4
	s_add_u32 s9, s6, s4
	s_addc_u32 s10, s7, s5
	v_mad_i64_i32 v[1:2], s[6:7], s21, v0, 0
	s_mul_hi_i32 s5, s21, s8
	s_mul_i32 s4, s21, s8
	s_lshl_b64 s[4:5], s[4:5], 4
	s_add_u32 s4, s9, s4
	v_lshlrev_b64 v[1:2], 4, v[1:2]
	s_addc_u32 s5, s10, s5
	v_mov_b32_e32 v3, s5
	v_add_co_u32_e32 v1, vcc, s4, v1
	v_addc_co_u32_e32 v2, vcc, v3, v2, vcc
	v_mov_b32_e32 v3, 0x400
	v_lshl_or_b32 v0, v0, 4, v3
.LBB204_59:                             ; =>This Inner Loop Header: Depth=1
	ds_read2_b64 v[3:6], v0 offset1:1
	s_add_i32 s28, s28, -1
	v_add_u32_e32 v0, 0x80, v0
	s_cmp_lg_u32 s28, 0
	s_waitcnt lgkmcnt(0)
	global_store_dwordx4 v[1:2], v[3:6], off
	v_add_co_u32_e32 v1, vcc, 16, v1
	v_addc_co_u32_e32 v2, vcc, 0, v2, vcc
	s_cbranch_scc1 .LBB204_59
.LBB204_60:
	s_endpgm
	.section	.rodata,"a",@progbits
	.p2align	6, 0x0
	.amdhsa_kernel _ZL38rocblas_trsm_small_left_device_sharedBILi8ELi8ELb0E19rocblas_complex_numIdES1_PKS1_PS1_Ev13rocblas_fill_18rocblas_operation_17rocblas_diagonal_iiT3_T4_lilT5_lili
		.amdhsa_group_segment_fixed_size 2048
		.amdhsa_private_segment_fixed_size 144
		.amdhsa_kernarg_size 368
		.amdhsa_user_sgpr_count 6
		.amdhsa_user_sgpr_private_segment_buffer 1
		.amdhsa_user_sgpr_dispatch_ptr 0
		.amdhsa_user_sgpr_queue_ptr 0
		.amdhsa_user_sgpr_kernarg_segment_ptr 1
		.amdhsa_user_sgpr_dispatch_id 0
		.amdhsa_user_sgpr_flat_scratch_init 0
		.amdhsa_user_sgpr_private_segment_size 0
		.amdhsa_uses_dynamic_stack 0
		.amdhsa_system_sgpr_private_segment_wavefront_offset 1
		.amdhsa_system_sgpr_workgroup_id_x 1
		.amdhsa_system_sgpr_workgroup_id_y 0
		.amdhsa_system_sgpr_workgroup_id_z 1
		.amdhsa_system_sgpr_workgroup_info 0
		.amdhsa_system_vgpr_workitem_id 0
		.amdhsa_next_free_vgpr 29
		.amdhsa_next_free_sgpr 61
		.amdhsa_reserve_vcc 1
		.amdhsa_reserve_flat_scratch 0
		.amdhsa_float_round_mode_32 0
		.amdhsa_float_round_mode_16_64 0
		.amdhsa_float_denorm_mode_32 3
		.amdhsa_float_denorm_mode_16_64 3
		.amdhsa_dx10_clamp 1
		.amdhsa_ieee_mode 1
		.amdhsa_fp16_overflow 0
		.amdhsa_exception_fp_ieee_invalid_op 0
		.amdhsa_exception_fp_denorm_src 0
		.amdhsa_exception_fp_ieee_div_zero 0
		.amdhsa_exception_fp_ieee_overflow 0
		.amdhsa_exception_fp_ieee_underflow 0
		.amdhsa_exception_fp_ieee_inexact 0
		.amdhsa_exception_int_div_zero 0
	.end_amdhsa_kernel
	.section	.text._ZL38rocblas_trsm_small_left_device_sharedBILi8ELi8ELb0E19rocblas_complex_numIdES1_PKS1_PS1_Ev13rocblas_fill_18rocblas_operation_17rocblas_diagonal_iiT3_T4_lilT5_lili,"axG",@progbits,_ZL38rocblas_trsm_small_left_device_sharedBILi8ELi8ELb0E19rocblas_complex_numIdES1_PKS1_PS1_Ev13rocblas_fill_18rocblas_operation_17rocblas_diagonal_iiT3_T4_lilT5_lili,comdat
.Lfunc_end204:
	.size	_ZL38rocblas_trsm_small_left_device_sharedBILi8ELi8ELb0E19rocblas_complex_numIdES1_PKS1_PS1_Ev13rocblas_fill_18rocblas_operation_17rocblas_diagonal_iiT3_T4_lilT5_lili, .Lfunc_end204-_ZL38rocblas_trsm_small_left_device_sharedBILi8ELi8ELb0E19rocblas_complex_numIdES1_PKS1_PS1_Ev13rocblas_fill_18rocblas_operation_17rocblas_diagonal_iiT3_T4_lilT5_lili
                                        ; -- End function
	.set _ZL38rocblas_trsm_small_left_device_sharedBILi8ELi8ELb0E19rocblas_complex_numIdES1_PKS1_PS1_Ev13rocblas_fill_18rocblas_operation_17rocblas_diagonal_iiT3_T4_lilT5_lili.num_vgpr, 19
	.set _ZL38rocblas_trsm_small_left_device_sharedBILi8ELi8ELb0E19rocblas_complex_numIdES1_PKS1_PS1_Ev13rocblas_fill_18rocblas_operation_17rocblas_diagonal_iiT3_T4_lilT5_lili.num_agpr, 0
	.set _ZL38rocblas_trsm_small_left_device_sharedBILi8ELi8ELb0E19rocblas_complex_numIdES1_PKS1_PS1_Ev13rocblas_fill_18rocblas_operation_17rocblas_diagonal_iiT3_T4_lilT5_lili.numbered_sgpr, 38
	.set _ZL38rocblas_trsm_small_left_device_sharedBILi8ELi8ELb0E19rocblas_complex_numIdES1_PKS1_PS1_Ev13rocblas_fill_18rocblas_operation_17rocblas_diagonal_iiT3_T4_lilT5_lili.num_named_barrier, 0
	.set _ZL38rocblas_trsm_small_left_device_sharedBILi8ELi8ELb0E19rocblas_complex_numIdES1_PKS1_PS1_Ev13rocblas_fill_18rocblas_operation_17rocblas_diagonal_iiT3_T4_lilT5_lili.private_seg_size, 144
	.set _ZL38rocblas_trsm_small_left_device_sharedBILi8ELi8ELb0E19rocblas_complex_numIdES1_PKS1_PS1_Ev13rocblas_fill_18rocblas_operation_17rocblas_diagonal_iiT3_T4_lilT5_lili.uses_vcc, 1
	.set _ZL38rocblas_trsm_small_left_device_sharedBILi8ELi8ELb0E19rocblas_complex_numIdES1_PKS1_PS1_Ev13rocblas_fill_18rocblas_operation_17rocblas_diagonal_iiT3_T4_lilT5_lili.uses_flat_scratch, 0
	.set _ZL38rocblas_trsm_small_left_device_sharedBILi8ELi8ELb0E19rocblas_complex_numIdES1_PKS1_PS1_Ev13rocblas_fill_18rocblas_operation_17rocblas_diagonal_iiT3_T4_lilT5_lili.has_dyn_sized_stack, 0
	.set _ZL38rocblas_trsm_small_left_device_sharedBILi8ELi8ELb0E19rocblas_complex_numIdES1_PKS1_PS1_Ev13rocblas_fill_18rocblas_operation_17rocblas_diagonal_iiT3_T4_lilT5_lili.has_recursion, 0
	.set _ZL38rocblas_trsm_small_left_device_sharedBILi8ELi8ELb0E19rocblas_complex_numIdES1_PKS1_PS1_Ev13rocblas_fill_18rocblas_operation_17rocblas_diagonal_iiT3_T4_lilT5_lili.has_indirect_call, 0
	.section	.AMDGPU.csdata,"",@progbits
; Kernel info:
; codeLenInByte = 3076
; TotalNumSgprs: 42
; NumVgprs: 19
; ScratchSize: 144
; MemoryBound: 0
; FloatMode: 240
; IeeeMode: 1
; LDSByteSize: 2048 bytes/workgroup (compile time only)
; SGPRBlocks: 8
; VGPRBlocks: 7
; NumSGPRsForWavesPerEU: 65
; NumVGPRsForWavesPerEU: 29
; Occupancy: 8
; WaveLimiterHint : 0
; COMPUTE_PGM_RSRC2:SCRATCH_EN: 1
; COMPUTE_PGM_RSRC2:USER_SGPR: 6
; COMPUTE_PGM_RSRC2:TRAP_HANDLER: 0
; COMPUTE_PGM_RSRC2:TGID_X_EN: 1
; COMPUTE_PGM_RSRC2:TGID_Y_EN: 0
; COMPUTE_PGM_RSRC2:TGID_Z_EN: 1
; COMPUTE_PGM_RSRC2:TIDIG_COMP_CNT: 0
	.section	.text._ZL30rocblas_trsm_small_left_deviceILi8ELi8ELb0E19rocblas_complex_numIdES1_PKS1_PS1_Ev13rocblas_fill_18rocblas_operation_17rocblas_diagonal_iiT3_T4_lilT5_lili,"axG",@progbits,_ZL30rocblas_trsm_small_left_deviceILi8ELi8ELb0E19rocblas_complex_numIdES1_PKS1_PS1_Ev13rocblas_fill_18rocblas_operation_17rocblas_diagonal_iiT3_T4_lilT5_lili,comdat
	.globl	_ZL30rocblas_trsm_small_left_deviceILi8ELi8ELb0E19rocblas_complex_numIdES1_PKS1_PS1_Ev13rocblas_fill_18rocblas_operation_17rocblas_diagonal_iiT3_T4_lilT5_lili ; -- Begin function _ZL30rocblas_trsm_small_left_deviceILi8ELi8ELb0E19rocblas_complex_numIdES1_PKS1_PS1_Ev13rocblas_fill_18rocblas_operation_17rocblas_diagonal_iiT3_T4_lilT5_lili
	.p2align	8
	.type	_ZL30rocblas_trsm_small_left_deviceILi8ELi8ELb0E19rocblas_complex_numIdES1_PKS1_PS1_Ev13rocblas_fill_18rocblas_operation_17rocblas_diagonal_iiT3_T4_lilT5_lili,@function
_ZL30rocblas_trsm_small_left_deviceILi8ELi8ELb0E19rocblas_complex_numIdES1_PKS1_PS1_Ev13rocblas_fill_18rocblas_operation_17rocblas_diagonal_iiT3_T4_lilT5_lili: ; @_ZL30rocblas_trsm_small_left_deviceILi8ELi8ELb0E19rocblas_complex_numIdES1_PKS1_PS1_Ev13rocblas_fill_18rocblas_operation_17rocblas_diagonal_iiT3_T4_lilT5_lili
; %bb.0:
	s_add_u32 s0, s0, s8
	s_load_dwordx4 s[20:23], s[4:5], 0x4
	s_load_dwordx8 s[12:19], s[4:5], 0x18
	s_load_dwordx4 s[8:11], s[4:5], 0x40
	s_load_dwordx2 s[24:25], s[4:5], 0x50
	s_load_dword s29, s[4:5], 0x70
	s_addc_u32 s1, s1, 0
	s_waitcnt lgkmcnt(0)
	s_min_i32 s28, s22, 8
	v_cmp_gt_i32_e32 vcc, s28, v0
	s_and_saveexec_b64 s[26:27], vcc
	s_cbranch_execz .LBB205_11
; %bb.1:
	s_load_dword s30, s[4:5], 0x38
	s_mul_i32 s9, s9, s7
	s_mul_hi_u32 s22, s8, s7
	s_mul_i32 s8, s8, s7
	v_lshlrev_b32_e32 v3, 4, v0
	s_waitcnt lgkmcnt(0)
	s_ashr_i32 s31, s30, 31
	s_cmpk_eq_i32 s20, 0x71
	s_cselect_b64 vcc, -1, 0
	s_add_i32 s9, s22, s9
	s_lshl_b64 s[8:9], s[8:9], 4
	s_lshl_b64 s[18:19], s[18:19], 4
	s_add_u32 s8, s8, s18
	s_addc_u32 s9, s9, s19
	s_add_u32 s8, s16, s8
	s_addc_u32 s9, s17, s9
	v_mov_b32_e32 v1, s9
	v_add_co_u32_e64 v2, s[8:9], s8, v3
	v_addc_co_u32_e64 v4, s[8:9], 0, v1, s[8:9]
	v_add_co_u32_e64 v1, s[8:9], 8, v2
	s_lshl_b64 s[16:17], s[30:31], 4
	v_addc_co_u32_e64 v2, s[8:9], 0, v4, s[8:9]
	v_mov_b32_e32 v4, s17
	v_mov_b32_e32 v5, v3
	s_mov_b32 s17, s28
.LBB205_2:                              ; =>This Inner Loop Header: Depth=1
	global_load_dwordx4 v[6:9], v[1:2], off offset:-8
	s_add_i32 s17, s17, -1
	v_add_co_u32_e64 v1, s[8:9], s16, v1
	v_addc_co_u32_e64 v2, s[8:9], v2, v4, s[8:9]
	s_cmp_eq_u32 s17, 0
	s_waitcnt vmcnt(0)
	v_xor_b32_e32 v10, 0x80000000, v9
	v_cndmask_b32_e32 v9, v9, v10, vcc
	ds_write_b128 v5, v[6:9]
	v_add_u32_e32 v5, 0x80, v5
	s_cbranch_scc0 .LBB205_2
; %bb.3:
	v_lshlrev_b32_e32 v1, 7, v0
	s_cmpk_lg_i32 s21, 0x84
	v_add_u32_e32 v9, v3, v1
	s_cbranch_scc0 .LBB205_9
; %bb.4:
	ds_read_b128 v[1:4], v9
                                        ; implicit-def: $vgpr7_vgpr8
	s_waitcnt lgkmcnt(0)
	v_cmp_ngt_f64_e64 s[8:9], |v[1:2]|, |v[3:4]|
	s_and_saveexec_b64 s[16:17], s[8:9]
	s_xor_b64 s[8:9], exec, s[16:17]
	s_cbranch_execz .LBB205_6
; %bb.5:
	v_div_scale_f64 v[5:6], s[16:17], v[3:4], v[3:4], v[1:2]
	v_rcp_f64_e32 v[7:8], v[5:6]
	v_fma_f64 v[10:11], -v[5:6], v[7:8], 1.0
	v_fma_f64 v[7:8], v[7:8], v[10:11], v[7:8]
	v_div_scale_f64 v[10:11], vcc, v[1:2], v[3:4], v[1:2]
	v_fma_f64 v[12:13], -v[5:6], v[7:8], 1.0
	v_fma_f64 v[7:8], v[7:8], v[12:13], v[7:8]
	v_mul_f64 v[12:13], v[10:11], v[7:8]
	v_fma_f64 v[5:6], -v[5:6], v[12:13], v[10:11]
	v_div_fmas_f64 v[5:6], v[5:6], v[7:8], v[12:13]
	v_div_fixup_f64 v[5:6], v[5:6], v[3:4], v[1:2]
	v_fma_f64 v[1:2], v[1:2], v[5:6], v[3:4]
	v_div_scale_f64 v[3:4], s[16:17], v[1:2], v[1:2], 1.0
	v_rcp_f64_e32 v[7:8], v[3:4]
	v_fma_f64 v[10:11], -v[3:4], v[7:8], 1.0
	v_fma_f64 v[7:8], v[7:8], v[10:11], v[7:8]
	v_div_scale_f64 v[10:11], vcc, 1.0, v[1:2], 1.0
	v_fma_f64 v[12:13], -v[3:4], v[7:8], 1.0
	v_fma_f64 v[7:8], v[7:8], v[12:13], v[7:8]
	v_mul_f64 v[12:13], v[10:11], v[7:8]
	v_fma_f64 v[3:4], -v[3:4], v[12:13], v[10:11]
	v_div_fmas_f64 v[3:4], v[3:4], v[7:8], v[12:13]
	v_add_f64 v[7:8], v[5:6], 0
	v_div_fixup_f64 v[1:2], v[3:4], v[1:2], 1.0
	v_fma_f64 v[3:4], v[5:6], 0, -1.0
	v_mul_f64 v[5:6], v[7:8], v[1:2]
	v_mul_f64 v[7:8], v[3:4], v[1:2]
                                        ; implicit-def: $vgpr1_vgpr2
.LBB205_6:
	s_andn2_saveexec_b64 s[8:9], s[8:9]
	s_cbranch_execz .LBB205_8
; %bb.7:
	v_div_scale_f64 v[5:6], s[16:17], v[1:2], v[1:2], v[3:4]
	v_rcp_f64_e32 v[7:8], v[5:6]
	v_fma_f64 v[10:11], -v[5:6], v[7:8], 1.0
	v_fma_f64 v[7:8], v[7:8], v[10:11], v[7:8]
	v_div_scale_f64 v[10:11], vcc, v[3:4], v[1:2], v[3:4]
	v_fma_f64 v[12:13], -v[5:6], v[7:8], 1.0
	v_fma_f64 v[7:8], v[7:8], v[12:13], v[7:8]
	v_mul_f64 v[12:13], v[10:11], v[7:8]
	v_fma_f64 v[5:6], -v[5:6], v[12:13], v[10:11]
	v_div_fmas_f64 v[5:6], v[5:6], v[7:8], v[12:13]
	v_div_fixup_f64 v[5:6], v[5:6], v[1:2], v[3:4]
	v_fma_f64 v[1:2], v[3:4], v[5:6], v[1:2]
	v_div_scale_f64 v[3:4], s[16:17], v[1:2], v[1:2], 1.0
	v_rcp_f64_e32 v[7:8], v[3:4]
	v_fma_f64 v[10:11], -v[3:4], v[7:8], 1.0
	v_fma_f64 v[7:8], v[7:8], v[10:11], v[7:8]
	v_div_scale_f64 v[10:11], vcc, 1.0, v[1:2], 1.0
	v_fma_f64 v[12:13], -v[3:4], v[7:8], 1.0
	v_fma_f64 v[7:8], v[7:8], v[12:13], v[7:8]
	v_mul_f64 v[12:13], v[10:11], v[7:8]
	v_fma_f64 v[3:4], -v[3:4], v[12:13], v[10:11]
	v_div_fmas_f64 v[3:4], v[3:4], v[7:8], v[12:13]
	v_fma_f64 v[7:8], v[5:6], 0, 1.0
	v_div_fixup_f64 v[1:2], v[3:4], v[1:2], 1.0
	v_add_f64 v[3:4], -v[5:6], 0
	v_mul_f64 v[5:6], v[7:8], v[1:2]
	v_mul_f64 v[7:8], v[3:4], v[1:2]
.LBB205_8:
	s_or_b64 exec, exec, s[8:9]
	s_branch .LBB205_10
.LBB205_9:
	v_mov_b32_e32 v7, 0
	v_mov_b32_e32 v5, 0
	;; [unrolled: 1-line block ×4, first 2 shown]
.LBB205_10:
	ds_write_b128 v9, v[5:8]
.LBB205_11:
	s_or_b64 exec, exec, s[26:27]
	s_lshl_b32 s8, s6, 3
	s_add_i32 s29, s29, -1
	s_sub_i32 s9, s23, s8
	s_cmp_ge_u32 s6, s29
	s_cselect_b32 s6, s9, 8
	v_cmp_gt_i32_e32 vcc, s6, v0
	s_waitcnt lgkmcnt(0)
	; wave barrier
	s_and_saveexec_b64 s[16:17], vcc
	s_cbranch_execz .LBB205_54
; %bb.12:
	s_load_dwordx2 s[16:17], s[4:5], 0x60
	s_load_dword s6, s[4:5], 0x58
	v_add_u32_e32 v0, s8, v0
	s_waitcnt lgkmcnt(0)
	s_mul_i32 s5, s17, s7
	s_mul_hi_u32 s8, s16, s7
	s_mul_i32 s4, s16, s7
	s_add_i32 s5, s8, s5
	v_mad_i64_i32 v[0:1], s[6:7], s6, v0, 0
	s_lshl_b64 s[4:5], s[4:5], 4
	s_add_u32 s8, s10, s4
	s_addc_u32 s9, s11, s5
	s_lshl_b64 s[6:7], s[24:25], 4
	s_add_u32 s8, s8, s6
	v_lshlrev_b64 v[4:5], 4, v[0:1]
	s_addc_u32 s9, s9, s7
	v_mov_b32_e32 v0, s9
	v_add_co_u32_e32 v8, vcc, s8, v4
	v_addc_co_u32_e32 v9, vcc, v0, v5, vcc
	s_cmpk_eq_i32 s20, 0x6f
	s_mov_b64 s[8:9], -1
	s_cbranch_scc1 .LBB205_34
; %bb.13:
	s_add_u32 s8, s10, s6
	s_addc_u32 s9, s11, s7
	s_add_u32 s8, s8, s4
	s_addc_u32 s9, s9, s5
	v_mov_b32_e32 v0, s9
	v_add_co_u32_e32 v1, vcc, s8, v4
	v_addc_co_u32_e32 v0, vcc, v0, v5, vcc
	v_add_co_u32_e32 v10, vcc, 8, v1
	s_mov_b32 s9, 0
	v_addc_co_u32_e32 v11, vcc, 0, v0, vcc
	s_mov_b32 s16, s9
	s_mov_b32 s18, s9
	s_branch .LBB205_15
.LBB205_14:                             ;   in Loop: Header=BB205_15 Depth=1
	s_cmp_ge_i32 s18, s28
	s_cselect_b64 s[20:21], -1, 0
	s_add_i32 s16, s16, 1
	s_cmp_eq_u32 s16, 3
	s_cselect_b64 s[22:23], -1, 0
	s_or_b64 s[20:21], s[20:21], s[22:23]
	s_andn2_b64 vcc, exec, s[20:21]
	s_cbranch_vccz .LBB205_33
.LBB205_15:                             ; =>This Loop Header: Depth=1
                                        ;     Child Loop BB205_18 Depth 2
                                        ;       Child Loop BB205_19 Depth 3
                                        ;       Child Loop BB205_22 Depth 3
                                        ;         Child Loop BB205_23 Depth 4
                                        ;       Child Loop BB205_27 Depth 3
                                        ;         Child Loop BB205_29 Depth 4
	s_mov_b32 s17, s9
	s_lshl_b64 s[20:21], s[16:17], 2
	s_getpc_b64 s[22:23]
	s_add_u32 s22, s22, __const._ZL30rocblas_trsm_small_left_deviceILi8ELi8ELb0E19rocblas_complex_numIdES1_PKS1_PS1_Ev13rocblas_fill_18rocblas_operation_17rocblas_diagonal_iiT3_T4_lilT5_lili.step_sizes@rel32@lo+4
	s_addc_u32 s23, s23, __const._ZL30rocblas_trsm_small_left_deviceILi8ELi8ELb0E19rocblas_complex_numIdES1_PKS1_PS1_Ev13rocblas_fill_18rocblas_operation_17rocblas_diagonal_iiT3_T4_lilT5_lili.step_sizes@rel32@hi+12
	s_add_u32 s20, s22, s20
	s_addc_u32 s21, s23, s21
	s_load_dword s20, s[20:21], 0x0
	s_waitcnt lgkmcnt(0)
	s_add_i32 s17, s20, -1
	s_add_i32 s8, s17, s18
	s_cmp_ge_i32 s8, s28
	s_cbranch_scc1 .LBB205_14
; %bb.16:                               ;   in Loop: Header=BB205_15 Depth=1
	s_ashr_i32 s19, s18, 31
	s_lshl_b64 s[22:23], s[18:19], 4
	v_mov_b32_e32 v0, s23
	v_add_co_u32_e32 v6, vcc, s22, v10
	s_ashr_i32 s21, s20, 31
	s_max_i32 s29, s20, 1
	v_addc_co_u32_e32 v7, vcc, v11, v0, vcc
	s_lshl_b64 s[22:23], s[20:21], 4
	s_lshl_b32 s19, s18, 7
	s_lshl_b32 s21, s20, 7
	s_mul_i32 s30, s18, 0x90
	s_mul_i32 s31, s20, 0x90
	s_branch .LBB205_18
.LBB205_17:                             ;   in Loop: Header=BB205_18 Depth=2
	s_add_i32 s18, s18, s20
	s_add_i32 s8, s17, s18
	v_mov_b32_e32 v0, s23
	s_add_i32 s19, s19, s21
	s_add_i32 s30, s30, s31
	v_add_co_u32_e32 v6, vcc, s22, v6
	s_cmp_ge_i32 s8, s28
	v_addc_co_u32_e32 v7, vcc, v7, v0, vcc
	s_cbranch_scc1 .LBB205_14
.LBB205_18:                             ;   Parent Loop BB205_15 Depth=1
                                        ; =>  This Loop Header: Depth=2
                                        ;       Child Loop BB205_19 Depth 3
                                        ;       Child Loop BB205_22 Depth 3
                                        ;         Child Loop BB205_23 Depth 4
                                        ;       Child Loop BB205_27 Depth 3
                                        ;         Child Loop BB205_29 Depth 4
	v_mov_b32_e32 v0, v6
	s_mov_b32 s8, 0
	v_mov_b32_e32 v1, v7
	s_mov_b32 s24, s29
.LBB205_19:                             ;   Parent Loop BB205_15 Depth=1
                                        ;     Parent Loop BB205_18 Depth=2
                                        ; =>    This Inner Loop Header: Depth=3
	global_load_dwordx4 v[12:15], v[0:1], off offset:-8
	v_mov_b32_e32 v16, s8
	s_add_i32 s24, s24, -1
	v_add_co_u32_e32 v0, vcc, 16, v0
	s_add_i32 s8, s8, 16
	v_addc_co_u32_e32 v1, vcc, 0, v1, vcc
	s_cmp_eq_u32 s24, 0
	s_waitcnt vmcnt(0)
	v_mul_f64 v[2:3], s[14:15], v[14:15]
	v_mul_f64 v[14:15], s[12:13], v[14:15]
	v_fma_f64 v[2:3], s[12:13], v[12:13], -v[2:3]
	v_fma_f64 v[12:13], s[14:15], v[12:13], v[14:15]
	buffer_store_dword v3, v16, s[0:3], 0 offen offset:4
	buffer_store_dword v2, v16, s[0:3], 0 offen
	buffer_store_dword v13, v16, s[0:3], 0 offen offset:12
	buffer_store_dword v12, v16, s[0:3], 0 offen offset:8
	s_cbranch_scc0 .LBB205_19
; %bb.20:                               ;   in Loop: Header=BB205_18 Depth=2
	s_cmp_lt_i32 s18, 1
	s_cbranch_scc1 .LBB205_25
; %bb.21:                               ;   in Loop: Header=BB205_18 Depth=2
	s_mov_b32 s8, 0
	s_mov_b32 s24, s19
.LBB205_22:                             ;   Parent Loop BB205_15 Depth=1
                                        ;     Parent Loop BB205_18 Depth=2
                                        ; =>    This Loop Header: Depth=3
                                        ;         Child Loop BB205_23 Depth 4
	s_lshl_b64 s[26:27], s[8:9], 4
	v_mov_b32_e32 v1, s27
	v_add_co_u32_e32 v0, vcc, s26, v8
	v_addc_co_u32_e32 v1, vcc, v9, v1, vcc
	global_load_dwordx4 v[0:3], v[0:1], off
	s_mov_b32 s25, 0
	s_mov_b32 s26, s24
	;; [unrolled: 1-line block ×3, first 2 shown]
.LBB205_23:                             ;   Parent Loop BB205_15 Depth=1
                                        ;     Parent Loop BB205_18 Depth=2
                                        ;       Parent Loop BB205_22 Depth=3
                                        ; =>      This Inner Loop Header: Depth=4
	v_mov_b32_e32 v12, s26
	ds_read_b128 v[12:15], v12
	v_mov_b32_e32 v20, s25
	s_add_i32 s27, s27, -1
	s_addk_i32 s26, 0x80
	s_add_i32 s25, s25, 16
	s_waitcnt vmcnt(0) lgkmcnt(0)
	v_mul_f64 v[16:17], v[2:3], v[14:15]
	v_mul_f64 v[14:15], v[0:1], v[14:15]
	s_cmp_eq_u32 s27, 0
	v_fma_f64 v[16:17], v[0:1], v[12:13], -v[16:17]
	v_fma_f64 v[12:13], v[2:3], v[12:13], v[14:15]
	buffer_load_dword v14, v20, s[0:3], 0 offen
	buffer_load_dword v15, v20, s[0:3], 0 offen offset:4
	buffer_load_dword v18, v20, s[0:3], 0 offen offset:8
	;; [unrolled: 1-line block ×3, first 2 shown]
	s_waitcnt vmcnt(2)
	v_add_f64 v[14:15], v[14:15], -v[16:17]
	s_waitcnt vmcnt(0)
	v_add_f64 v[12:13], v[18:19], -v[12:13]
	buffer_store_dword v14, v20, s[0:3], 0 offen
	buffer_store_dword v15, v20, s[0:3], 0 offen offset:4
	buffer_store_dword v12, v20, s[0:3], 0 offen offset:8
	;; [unrolled: 1-line block ×3, first 2 shown]
	s_cbranch_scc0 .LBB205_23
; %bb.24:                               ;   in Loop: Header=BB205_22 Depth=3
	s_add_i32 s8, s8, 1
	s_add_i32 s24, s24, 16
	s_cmp_eq_u32 s8, s18
	s_cbranch_scc0 .LBB205_22
.LBB205_25:                             ;   in Loop: Header=BB205_18 Depth=2
	s_mov_b32 s8, 0
	s_mov_b32 s33, s30
	s_branch .LBB205_27
.LBB205_26:                             ;   in Loop: Header=BB205_27 Depth=3
	s_mul_i32 s25, s24, 0x90
	v_mov_b32_e32 v12, s25
	ds_read_b128 v[12:15], v12
	s_ashr_i32 s25, s24, 31
	s_lshl_b64 s[24:25], s[24:25], 4
	s_lshl_b32 s26, s8, 4
	s_add_i32 s8, s8, 1
	s_waitcnt vmcnt(0) lgkmcnt(0)
	v_mul_f64 v[16:17], v[14:15], v[2:3]
	v_mul_f64 v[2:3], v[12:13], v[2:3]
	s_addk_i32 s33, 0x80
	v_mov_b32_e32 v18, s26
	s_cmp_eq_u32 s8, s29
	v_fma_f64 v[12:13], v[12:13], v[0:1], -v[16:17]
	v_fma_f64 v[14:15], v[14:15], v[0:1], v[2:3]
	v_mov_b32_e32 v16, s25
	v_add_co_u32_e32 v0, vcc, s24, v8
	v_addc_co_u32_e32 v1, vcc, v9, v16, vcc
	buffer_store_dword v13, v18, s[0:3], 0 offen offset:4
	buffer_store_dword v12, v18, s[0:3], 0 offen
	buffer_store_dword v15, v18, s[0:3], 0 offen offset:12
	buffer_store_dword v14, v18, s[0:3], 0 offen offset:8
	global_store_dwordx4 v[0:1], v[12:15], off
	s_cbranch_scc1 .LBB205_17
.LBB205_27:                             ;   Parent Loop BB205_15 Depth=1
                                        ;     Parent Loop BB205_18 Depth=2
                                        ; =>    This Loop Header: Depth=3
                                        ;         Child Loop BB205_29 Depth 4
	s_cmp_lg_u32 s8, 0
	s_cbranch_scc0 .LBB205_31
; %bb.28:                               ;   in Loop: Header=BB205_27 Depth=3
	s_lshl_b32 s25, s8, 4
	v_mov_b32_e32 v12, s25
	buffer_load_dword v0, v12, s[0:3], 0 offen
	buffer_load_dword v1, v12, s[0:3], 0 offen offset:4
	buffer_load_dword v2, v12, s[0:3], 0 offen offset:8
	;; [unrolled: 1-line block ×3, first 2 shown]
	s_add_i32 s24, s8, s18
	s_mov_b32 s26, 0
	s_mov_b32 s27, s33
	;; [unrolled: 1-line block ×3, first 2 shown]
.LBB205_29:                             ;   Parent Loop BB205_15 Depth=1
                                        ;     Parent Loop BB205_18 Depth=2
                                        ;       Parent Loop BB205_27 Depth=3
                                        ; =>      This Inner Loop Header: Depth=4
	v_mov_b32_e32 v12, s26
	buffer_load_dword v16, v12, s[0:3], 0 offen offset:8
	buffer_load_dword v17, v12, s[0:3], 0 offen offset:12
	buffer_load_dword v18, v12, s[0:3], 0 offen
	buffer_load_dword v19, v12, s[0:3], 0 offen offset:4
	v_mov_b32_e32 v12, s27
	ds_read_b128 v[12:15], v12
	s_add_i32 s34, s34, -1
	s_add_i32 s26, s26, 16
	s_add_i32 s27, s27, 16
	s_cmp_eq_u32 s34, 0
	s_waitcnt vmcnt(2) lgkmcnt(0)
	v_mul_f64 v[20:21], v[14:15], v[16:17]
	v_mul_f64 v[16:17], v[12:13], v[16:17]
	s_waitcnt vmcnt(0)
	v_fma_f64 v[12:13], v[12:13], v[18:19], -v[20:21]
	v_fma_f64 v[14:15], v[14:15], v[18:19], v[16:17]
	v_mov_b32_e32 v16, s25
	v_add_f64 v[0:1], v[0:1], -v[12:13]
	v_add_f64 v[2:3], v[2:3], -v[14:15]
	buffer_store_dword v0, v16, s[0:3], 0 offen
	buffer_store_dword v1, v16, s[0:3], 0 offen offset:4
	buffer_store_dword v2, v16, s[0:3], 0 offen offset:8
	;; [unrolled: 1-line block ×3, first 2 shown]
	s_cbranch_scc0 .LBB205_29
; %bb.30:                               ;   in Loop: Header=BB205_27 Depth=3
	s_branch .LBB205_26
.LBB205_31:                             ;   in Loop: Header=BB205_27 Depth=3
                                        ; implicit-def: $vgpr0_vgpr1
                                        ; implicit-def: $vgpr2_vgpr3
                                        ; implicit-def: $sgpr24
	s_cbranch_execz .LBB205_26
; %bb.32:                               ;   in Loop: Header=BB205_27 Depth=3
	buffer_load_dword v0, off, s[0:3], 0
	buffer_load_dword v1, off, s[0:3], 0 offset:4
	buffer_load_dword v2, off, s[0:3], 0 offset:8
	;; [unrolled: 1-line block ×3, first 2 shown]
	s_mov_b32 s24, s18
	s_branch .LBB205_26
.LBB205_33:
	s_mov_b64 s[8:9], 0
.LBB205_34:
	s_and_b64 vcc, exec, s[8:9]
	s_cbranch_vccz .LBB205_54
; %bb.35:
	s_add_i32 s18, s28, -1
	s_add_u32 s6, s10, s6
	s_addc_u32 s7, s11, s7
	s_add_u32 s4, s6, s4
	s_addc_u32 s5, s7, s5
	v_mov_b32_e32 v0, s5
	v_add_co_u32_e32 v1, vcc, s4, v4
	v_addc_co_u32_e32 v0, vcc, v0, v5, vcc
	v_add_co_u32_e32 v4, vcc, 8, v1
	s_lshl_b32 s19, s28, 7
	s_mov_b32 s5, 0
	v_addc_co_u32_e32 v5, vcc, 0, v0, vcc
	s_addk_i32 s19, 0xff80
	s_mov_b32 s6, s18
	s_mov_b32 s4, s5
	s_branch .LBB205_37
.LBB205_36:                             ;   in Loop: Header=BB205_37 Depth=1
	s_cmp_lt_i32 s6, 0
	s_cselect_b64 s[8:9], -1, 0
	s_add_i32 s4, s4, 1
	s_cmp_eq_u32 s4, 3
	s_cselect_b64 s[10:11], -1, 0
	s_or_b64 s[8:9], s[8:9], s[10:11]
	s_and_b64 vcc, exec, s[8:9]
	s_cbranch_vccnz .LBB205_54
.LBB205_37:                             ; =>This Loop Header: Depth=1
                                        ;     Child Loop BB205_40 Depth 2
                                        ;       Child Loop BB205_41 Depth 3
                                        ;       Child Loop BB205_43 Depth 3
                                        ;         Child Loop BB205_44 Depth 4
                                        ;       Child Loop BB205_48 Depth 3
                                        ;         Child Loop BB205_50 Depth 4
	s_lshl_b64 s[8:9], s[4:5], 2
	s_getpc_b64 s[10:11]
	s_add_u32 s10, s10, __const._ZL30rocblas_trsm_small_left_deviceILi8ELi8ELb0E19rocblas_complex_numIdES1_PKS1_PS1_Ev13rocblas_fill_18rocblas_operation_17rocblas_diagonal_iiT3_T4_lilT5_lili.step_sizes@rel32@lo+4
	s_addc_u32 s11, s11, __const._ZL30rocblas_trsm_small_left_deviceILi8ELi8ELb0E19rocblas_complex_numIdES1_PKS1_PS1_Ev13rocblas_fill_18rocblas_operation_17rocblas_diagonal_iiT3_T4_lilT5_lili.step_sizes@rel32@hi+12
	s_add_u32 s8, s10, s8
	s_addc_u32 s9, s11, s9
	s_load_dword s20, s[8:9], 0x0
	s_waitcnt lgkmcnt(0)
	s_add_i32 s21, s20, -1
	s_cmp_lt_i32 s6, s21
	s_cbranch_scc1 .LBB205_36
; %bb.38:                               ;   in Loop: Header=BB205_37 Depth=1
	s_lshl_b32 s7, s6, 4
	s_add_i32 s23, s19, s7
	s_lshl_b32 s7, s20, 4
	s_max_i32 s22, s20, 1
	s_sub_i32 s24, 0, s7
	s_mul_i32 s25, s6, 0x90
	s_mul_i32 s26, s20, 0xffffff70
	s_branch .LBB205_40
.LBB205_39:                             ;   in Loop: Header=BB205_40 Depth=2
	s_sub_i32 s6, s6, s20
	s_add_i32 s23, s23, s24
	s_add_i32 s25, s25, s26
	s_cmp_lt_i32 s6, s21
	s_cbranch_scc1 .LBB205_36
.LBB205_40:                             ;   Parent Loop BB205_37 Depth=1
                                        ; =>  This Loop Header: Depth=2
                                        ;       Child Loop BB205_41 Depth 3
                                        ;       Child Loop BB205_43 Depth 3
                                        ;         Child Loop BB205_44 Depth 4
                                        ;       Child Loop BB205_48 Depth 3
                                        ;         Child Loop BB205_50 Depth 4
	s_ashr_i32 s7, s6, 31
	s_lshl_b64 s[8:9], s[6:7], 4
	v_mov_b32_e32 v1, s9
	v_add_co_u32_e32 v0, vcc, s8, v4
	v_addc_co_u32_e32 v1, vcc, v5, v1, vcc
	s_mov_b32 s8, 0
	s_mov_b32 s9, s22
.LBB205_41:                             ;   Parent Loop BB205_37 Depth=1
                                        ;     Parent Loop BB205_40 Depth=2
                                        ; =>    This Inner Loop Header: Depth=3
	global_load_dwordx4 v[10:13], v[0:1], off offset:-8
	s_add_i32 s9, s9, -1
	v_add_co_u32_e32 v0, vcc, -16, v0
	v_addc_co_u32_e32 v1, vcc, -1, v1, vcc
	s_waitcnt vmcnt(0)
	v_mul_f64 v[2:3], s[14:15], v[12:13]
	v_mul_f64 v[6:7], s[12:13], v[12:13]
	v_mov_b32_e32 v12, s8
	s_add_i32 s8, s8, 16
	s_cmp_eq_u32 s9, 0
	v_fma_f64 v[2:3], s[12:13], v[10:11], -v[2:3]
	v_fma_f64 v[6:7], s[14:15], v[10:11], v[6:7]
	buffer_store_dword v3, v12, s[0:3], 0 offen offset:4
	buffer_store_dword v2, v12, s[0:3], 0 offen
	buffer_store_dword v7, v12, s[0:3], 0 offen offset:12
	buffer_store_dword v6, v12, s[0:3], 0 offen offset:8
	s_cbranch_scc0 .LBB205_41
; %bb.42:                               ;   in Loop: Header=BB205_40 Depth=2
	s_cmp_le_i32 s18, s6
	s_mov_b32 s10, s23
	s_mov_b32 s8, s18
	s_cbranch_scc1 .LBB205_46
.LBB205_43:                             ;   Parent Loop BB205_37 Depth=1
                                        ;     Parent Loop BB205_40 Depth=2
                                        ; =>    This Loop Header: Depth=3
                                        ;         Child Loop BB205_44 Depth 4
	s_ashr_i32 s9, s8, 31
	s_lshl_b64 s[16:17], s[8:9], 4
	v_mov_b32_e32 v1, s17
	v_add_co_u32_e32 v0, vcc, s16, v8
	v_addc_co_u32_e32 v1, vcc, v9, v1, vcc
	global_load_dwordx4 v[0:3], v[0:1], off
	s_mov_b32 s9, 0
	s_mov_b32 s11, s10
	;; [unrolled: 1-line block ×3, first 2 shown]
.LBB205_44:                             ;   Parent Loop BB205_37 Depth=1
                                        ;     Parent Loop BB205_40 Depth=2
                                        ;       Parent Loop BB205_43 Depth=3
                                        ; =>      This Inner Loop Header: Depth=4
	v_mov_b32_e32 v18, s9
	buffer_load_dword v6, v18, s[0:3], 0 offen
	buffer_load_dword v7, v18, s[0:3], 0 offen offset:4
	buffer_load_dword v14, v18, s[0:3], 0 offen offset:8
	;; [unrolled: 1-line block ×3, first 2 shown]
	v_mov_b32_e32 v10, s11
	ds_read_b128 v[10:13], v10
	s_add_i32 s16, s16, -1
	s_add_i32 s11, s11, -16
	s_add_i32 s9, s9, 16
	s_cmp_eq_u32 s16, 0
	s_waitcnt vmcnt(4) lgkmcnt(0)
	v_mul_f64 v[16:17], v[2:3], v[12:13]
	v_mul_f64 v[12:13], v[0:1], v[12:13]
	v_fma_f64 v[16:17], v[0:1], v[10:11], -v[16:17]
	v_fma_f64 v[10:11], v[2:3], v[10:11], v[12:13]
	s_waitcnt vmcnt(2)
	v_add_f64 v[6:7], v[6:7], -v[16:17]
	s_waitcnt vmcnt(0)
	v_add_f64 v[10:11], v[14:15], -v[10:11]
	buffer_store_dword v6, v18, s[0:3], 0 offen
	buffer_store_dword v7, v18, s[0:3], 0 offen offset:4
	buffer_store_dword v10, v18, s[0:3], 0 offen offset:8
	;; [unrolled: 1-line block ×3, first 2 shown]
	s_cbranch_scc0 .LBB205_44
; %bb.45:                               ;   in Loop: Header=BB205_43 Depth=3
	s_add_i32 s8, s8, -1
	s_addk_i32 s10, 0xff80
	s_cmp_le_i32 s8, s6
	s_cbranch_scc0 .LBB205_43
.LBB205_46:                             ;   in Loop: Header=BB205_40 Depth=2
	s_mov_b32 s27, 0
	s_mov_b32 s28, s25
	s_branch .LBB205_48
.LBB205_47:                             ;   in Loop: Header=BB205_48 Depth=3
	s_mulk_i32 s10, 0x90
	v_mov_b32_e32 v6, s10
	ds_read_b128 v[10:13], v6
	s_lshl_b64 s[8:9], s[8:9], 4
	s_lshl_b32 s10, s27, 4
	s_add_i32 s27, s27, 1
	s_add_i32 s28, s28, -16
	s_waitcnt vmcnt(0) lgkmcnt(0)
	v_mul_f64 v[6:7], v[12:13], v[2:3]
	v_mul_f64 v[2:3], v[10:11], v[2:3]
	v_mov_b32_e32 v14, s10
	s_cmp_eq_u32 s27, s22
	v_fma_f64 v[10:11], v[10:11], v[0:1], -v[6:7]
	v_fma_f64 v[12:13], v[12:13], v[0:1], v[2:3]
	v_mov_b32_e32 v6, s9
	v_add_co_u32_e32 v0, vcc, s8, v8
	v_addc_co_u32_e32 v1, vcc, v9, v6, vcc
	buffer_store_dword v11, v14, s[0:3], 0 offen offset:4
	buffer_store_dword v10, v14, s[0:3], 0 offen
	buffer_store_dword v13, v14, s[0:3], 0 offen offset:12
	buffer_store_dword v12, v14, s[0:3], 0 offen offset:8
	global_store_dwordx4 v[0:1], v[10:13], off
	s_cbranch_scc1 .LBB205_39
.LBB205_48:                             ;   Parent Loop BB205_37 Depth=1
                                        ;     Parent Loop BB205_40 Depth=2
                                        ; =>    This Loop Header: Depth=3
                                        ;         Child Loop BB205_50 Depth 4
	s_cmp_lg_u32 s27, 0
	s_cbranch_scc0 .LBB205_52
; %bb.49:                               ;   in Loop: Header=BB205_48 Depth=3
	s_lshl_b32 s8, s27, 4
	v_mov_b32_e32 v6, s8
	buffer_load_dword v0, v6, s[0:3], 0 offen
	buffer_load_dword v1, v6, s[0:3], 0 offen offset:4
	buffer_load_dword v2, v6, s[0:3], 0 offen offset:8
	;; [unrolled: 1-line block ×3, first 2 shown]
	s_mov_b32 s9, 0
	s_mov_b32 s10, s28
	;; [unrolled: 1-line block ×3, first 2 shown]
.LBB205_50:                             ;   Parent Loop BB205_37 Depth=1
                                        ;     Parent Loop BB205_40 Depth=2
                                        ;       Parent Loop BB205_48 Depth=3
                                        ; =>      This Inner Loop Header: Depth=4
	v_mov_b32_e32 v10, s9
	buffer_load_dword v6, v10, s[0:3], 0 offen offset:8
	buffer_load_dword v7, v10, s[0:3], 0 offen offset:12
	buffer_load_dword v14, v10, s[0:3], 0 offen
	buffer_load_dword v15, v10, s[0:3], 0 offen offset:4
	v_mov_b32_e32 v10, s10
	ds_read_b128 v[10:13], v10
	s_add_i32 s11, s11, -1
	s_addk_i32 s10, 0xff80
	s_add_i32 s9, s9, 16
	s_cmp_eq_u32 s11, 0
	s_waitcnt vmcnt(2) lgkmcnt(0)
	v_mul_f64 v[16:17], v[12:13], v[6:7]
	v_mul_f64 v[6:7], v[10:11], v[6:7]
	s_waitcnt vmcnt(0)
	v_fma_f64 v[10:11], v[10:11], v[14:15], -v[16:17]
	v_fma_f64 v[6:7], v[12:13], v[14:15], v[6:7]
	v_mov_b32_e32 v12, s8
	v_add_f64 v[0:1], v[0:1], -v[10:11]
	v_add_f64 v[2:3], v[2:3], -v[6:7]
	buffer_store_dword v0, v12, s[0:3], 0 offen
	buffer_store_dword v1, v12, s[0:3], 0 offen offset:4
	buffer_store_dword v2, v12, s[0:3], 0 offen offset:8
	buffer_store_dword v3, v12, s[0:3], 0 offen offset:12
	s_cbranch_scc0 .LBB205_50
; %bb.51:                               ;   in Loop: Header=BB205_48 Depth=3
	s_sub_i32 s10, s6, s27
	s_ashr_i32 s11, s10, 31
	s_mov_b64 s[8:9], s[10:11]
	s_branch .LBB205_47
.LBB205_52:                             ;   in Loop: Header=BB205_48 Depth=3
                                        ; implicit-def: $vgpr0_vgpr1
                                        ; implicit-def: $vgpr2_vgpr3
                                        ; implicit-def: $sgpr10
                                        ; implicit-def: $sgpr8_sgpr9
	s_cbranch_execz .LBB205_47
; %bb.53:                               ;   in Loop: Header=BB205_48 Depth=3
	buffer_load_dword v0, off, s[0:3], 0
	buffer_load_dword v1, off, s[0:3], 0 offset:4
	buffer_load_dword v2, off, s[0:3], 0 offset:8
	;; [unrolled: 1-line block ×3, first 2 shown]
	s_mov_b64 s[8:9], s[6:7]
	s_mov_b32 s10, s6
	s_branch .LBB205_47
.LBB205_54:
	s_endpgm
	.section	.rodata,"a",@progbits
	.p2align	6, 0x0
	.amdhsa_kernel _ZL30rocblas_trsm_small_left_deviceILi8ELi8ELb0E19rocblas_complex_numIdES1_PKS1_PS1_Ev13rocblas_fill_18rocblas_operation_17rocblas_diagonal_iiT3_T4_lilT5_lili
		.amdhsa_group_segment_fixed_size 1024
		.amdhsa_private_segment_fixed_size 144
		.amdhsa_kernarg_size 368
		.amdhsa_user_sgpr_count 6
		.amdhsa_user_sgpr_private_segment_buffer 1
		.amdhsa_user_sgpr_dispatch_ptr 0
		.amdhsa_user_sgpr_queue_ptr 0
		.amdhsa_user_sgpr_kernarg_segment_ptr 1
		.amdhsa_user_sgpr_dispatch_id 0
		.amdhsa_user_sgpr_flat_scratch_init 0
		.amdhsa_user_sgpr_private_segment_size 0
		.amdhsa_uses_dynamic_stack 0
		.amdhsa_system_sgpr_private_segment_wavefront_offset 1
		.amdhsa_system_sgpr_workgroup_id_x 1
		.amdhsa_system_sgpr_workgroup_id_y 0
		.amdhsa_system_sgpr_workgroup_id_z 1
		.amdhsa_system_sgpr_workgroup_info 0
		.amdhsa_system_vgpr_workitem_id 0
		.amdhsa_next_free_vgpr 22
		.amdhsa_next_free_sgpr 35
		.amdhsa_reserve_vcc 1
		.amdhsa_reserve_flat_scratch 0
		.amdhsa_float_round_mode_32 0
		.amdhsa_float_round_mode_16_64 0
		.amdhsa_float_denorm_mode_32 3
		.amdhsa_float_denorm_mode_16_64 3
		.amdhsa_dx10_clamp 1
		.amdhsa_ieee_mode 1
		.amdhsa_fp16_overflow 0
		.amdhsa_exception_fp_ieee_invalid_op 0
		.amdhsa_exception_fp_denorm_src 0
		.amdhsa_exception_fp_ieee_div_zero 0
		.amdhsa_exception_fp_ieee_overflow 0
		.amdhsa_exception_fp_ieee_underflow 0
		.amdhsa_exception_fp_ieee_inexact 0
		.amdhsa_exception_int_div_zero 0
	.end_amdhsa_kernel
	.section	.text._ZL30rocblas_trsm_small_left_deviceILi8ELi8ELb0E19rocblas_complex_numIdES1_PKS1_PS1_Ev13rocblas_fill_18rocblas_operation_17rocblas_diagonal_iiT3_T4_lilT5_lili,"axG",@progbits,_ZL30rocblas_trsm_small_left_deviceILi8ELi8ELb0E19rocblas_complex_numIdES1_PKS1_PS1_Ev13rocblas_fill_18rocblas_operation_17rocblas_diagonal_iiT3_T4_lilT5_lili,comdat
.Lfunc_end205:
	.size	_ZL30rocblas_trsm_small_left_deviceILi8ELi8ELb0E19rocblas_complex_numIdES1_PKS1_PS1_Ev13rocblas_fill_18rocblas_operation_17rocblas_diagonal_iiT3_T4_lilT5_lili, .Lfunc_end205-_ZL30rocblas_trsm_small_left_deviceILi8ELi8ELb0E19rocblas_complex_numIdES1_PKS1_PS1_Ev13rocblas_fill_18rocblas_operation_17rocblas_diagonal_iiT3_T4_lilT5_lili
                                        ; -- End function
	.set _ZL30rocblas_trsm_small_left_deviceILi8ELi8ELb0E19rocblas_complex_numIdES1_PKS1_PS1_Ev13rocblas_fill_18rocblas_operation_17rocblas_diagonal_iiT3_T4_lilT5_lili.num_vgpr, 22
	.set _ZL30rocblas_trsm_small_left_deviceILi8ELi8ELb0E19rocblas_complex_numIdES1_PKS1_PS1_Ev13rocblas_fill_18rocblas_operation_17rocblas_diagonal_iiT3_T4_lilT5_lili.num_agpr, 0
	.set _ZL30rocblas_trsm_small_left_deviceILi8ELi8ELb0E19rocblas_complex_numIdES1_PKS1_PS1_Ev13rocblas_fill_18rocblas_operation_17rocblas_diagonal_iiT3_T4_lilT5_lili.numbered_sgpr, 35
	.set _ZL30rocblas_trsm_small_left_deviceILi8ELi8ELb0E19rocblas_complex_numIdES1_PKS1_PS1_Ev13rocblas_fill_18rocblas_operation_17rocblas_diagonal_iiT3_T4_lilT5_lili.num_named_barrier, 0
	.set _ZL30rocblas_trsm_small_left_deviceILi8ELi8ELb0E19rocblas_complex_numIdES1_PKS1_PS1_Ev13rocblas_fill_18rocblas_operation_17rocblas_diagonal_iiT3_T4_lilT5_lili.private_seg_size, 144
	.set _ZL30rocblas_trsm_small_left_deviceILi8ELi8ELb0E19rocblas_complex_numIdES1_PKS1_PS1_Ev13rocblas_fill_18rocblas_operation_17rocblas_diagonal_iiT3_T4_lilT5_lili.uses_vcc, 1
	.set _ZL30rocblas_trsm_small_left_deviceILi8ELi8ELb0E19rocblas_complex_numIdES1_PKS1_PS1_Ev13rocblas_fill_18rocblas_operation_17rocblas_diagonal_iiT3_T4_lilT5_lili.uses_flat_scratch, 0
	.set _ZL30rocblas_trsm_small_left_deviceILi8ELi8ELb0E19rocblas_complex_numIdES1_PKS1_PS1_Ev13rocblas_fill_18rocblas_operation_17rocblas_diagonal_iiT3_T4_lilT5_lili.has_dyn_sized_stack, 0
	.set _ZL30rocblas_trsm_small_left_deviceILi8ELi8ELb0E19rocblas_complex_numIdES1_PKS1_PS1_Ev13rocblas_fill_18rocblas_operation_17rocblas_diagonal_iiT3_T4_lilT5_lili.has_recursion, 0
	.set _ZL30rocblas_trsm_small_left_deviceILi8ELi8ELb0E19rocblas_complex_numIdES1_PKS1_PS1_Ev13rocblas_fill_18rocblas_operation_17rocblas_diagonal_iiT3_T4_lilT5_lili.has_indirect_call, 0
	.section	.AMDGPU.csdata,"",@progbits
; Kernel info:
; codeLenInByte = 2944
; TotalNumSgprs: 39
; NumVgprs: 22
; ScratchSize: 144
; MemoryBound: 0
; FloatMode: 240
; IeeeMode: 1
; LDSByteSize: 1024 bytes/workgroup (compile time only)
; SGPRBlocks: 4
; VGPRBlocks: 5
; NumSGPRsForWavesPerEU: 39
; NumVGPRsForWavesPerEU: 22
; Occupancy: 10
; WaveLimiterHint : 0
; COMPUTE_PGM_RSRC2:SCRATCH_EN: 1
; COMPUTE_PGM_RSRC2:USER_SGPR: 6
; COMPUTE_PGM_RSRC2:TRAP_HANDLER: 0
; COMPUTE_PGM_RSRC2:TGID_X_EN: 1
; COMPUTE_PGM_RSRC2:TGID_Y_EN: 0
; COMPUTE_PGM_RSRC2:TGID_Z_EN: 1
; COMPUTE_PGM_RSRC2:TIDIG_COMP_CNT: 0
	.section	.text._ZL38rocblas_trsm_small_left_device_sharedBILi8ELi8ELb1E19rocblas_complex_numIdES1_PKS1_PS1_Ev13rocblas_fill_18rocblas_operation_17rocblas_diagonal_iiT3_T4_lilT5_lili,"axG",@progbits,_ZL38rocblas_trsm_small_left_device_sharedBILi8ELi8ELb1E19rocblas_complex_numIdES1_PKS1_PS1_Ev13rocblas_fill_18rocblas_operation_17rocblas_diagonal_iiT3_T4_lilT5_lili,comdat
	.globl	_ZL38rocblas_trsm_small_left_device_sharedBILi8ELi8ELb1E19rocblas_complex_numIdES1_PKS1_PS1_Ev13rocblas_fill_18rocblas_operation_17rocblas_diagonal_iiT3_T4_lilT5_lili ; -- Begin function _ZL38rocblas_trsm_small_left_device_sharedBILi8ELi8ELb1E19rocblas_complex_numIdES1_PKS1_PS1_Ev13rocblas_fill_18rocblas_operation_17rocblas_diagonal_iiT3_T4_lilT5_lili
	.p2align	8
	.type	_ZL38rocblas_trsm_small_left_device_sharedBILi8ELi8ELb1E19rocblas_complex_numIdES1_PKS1_PS1_Ev13rocblas_fill_18rocblas_operation_17rocblas_diagonal_iiT3_T4_lilT5_lili,@function
_ZL38rocblas_trsm_small_left_device_sharedBILi8ELi8ELb1E19rocblas_complex_numIdES1_PKS1_PS1_Ev13rocblas_fill_18rocblas_operation_17rocblas_diagonal_iiT3_T4_lilT5_lili: ; @_ZL38rocblas_trsm_small_left_device_sharedBILi8ELi8ELb1E19rocblas_complex_numIdES1_PKS1_PS1_Ev13rocblas_fill_18rocblas_operation_17rocblas_diagonal_iiT3_T4_lilT5_lili
; %bb.0:
	s_add_u32 s0, s0, s8
	s_load_dwordx4 s[20:23], s[4:5], 0x4
	s_load_dwordx8 s[12:19], s[4:5], 0x18
	s_load_dwordx4 s[8:11], s[4:5], 0x40
	s_load_dwordx2 s[24:25], s[4:5], 0x50
	s_load_dword s29, s[4:5], 0x70
	s_addc_u32 s1, s1, 0
	s_waitcnt lgkmcnt(0)
	s_min_i32 s28, s22, 8
	v_cmp_gt_i32_e32 vcc, s28, v0
	s_and_saveexec_b64 s[26:27], vcc
	s_cbranch_execz .LBB206_11
; %bb.1:
	s_load_dword s30, s[4:5], 0x38
	s_mul_i32 s9, s9, s7
	s_mul_hi_u32 s33, s8, s7
	s_mul_i32 s8, s8, s7
	v_lshlrev_b32_e32 v3, 4, v0
	s_waitcnt lgkmcnt(0)
	s_ashr_i32 s31, s30, 31
	s_cmpk_eq_i32 s20, 0x71
	s_cselect_b64 vcc, -1, 0
	s_add_i32 s9, s33, s9
	s_lshl_b64 s[8:9], s[8:9], 4
	s_lshl_b64 s[18:19], s[18:19], 4
	s_add_u32 s8, s8, s18
	s_addc_u32 s9, s9, s19
	s_add_u32 s8, s16, s8
	s_addc_u32 s9, s17, s9
	v_mov_b32_e32 v1, s9
	v_add_co_u32_e64 v2, s[8:9], s8, v3
	v_addc_co_u32_e64 v4, s[8:9], 0, v1, s[8:9]
	v_add_co_u32_e64 v1, s[8:9], 8, v2
	s_lshl_b64 s[16:17], s[30:31], 4
	v_addc_co_u32_e64 v2, s[8:9], 0, v4, s[8:9]
	v_mov_b32_e32 v4, s17
	v_mov_b32_e32 v5, v3
	s_mov_b32 s17, s28
.LBB206_2:                              ; =>This Inner Loop Header: Depth=1
	global_load_dwordx4 v[6:9], v[1:2], off offset:-8
	s_add_i32 s17, s17, -1
	v_add_co_u32_e64 v1, s[8:9], s16, v1
	v_addc_co_u32_e64 v2, s[8:9], v2, v4, s[8:9]
	s_cmp_eq_u32 s17, 0
	s_waitcnt vmcnt(0)
	v_xor_b32_e32 v10, 0x80000000, v9
	v_cndmask_b32_e32 v9, v9, v10, vcc
	ds_write_b128 v5, v[6:9]
	v_add_u32_e32 v5, 0x80, v5
	s_cbranch_scc0 .LBB206_2
; %bb.3:
	v_lshlrev_b32_e32 v1, 7, v0
	s_cmpk_lg_i32 s21, 0x84
	v_add_u32_e32 v9, v3, v1
	s_cbranch_scc0 .LBB206_9
; %bb.4:
	ds_read_b128 v[1:4], v9
                                        ; implicit-def: $vgpr7_vgpr8
	s_waitcnt lgkmcnt(0)
	v_cmp_ngt_f64_e64 s[8:9], |v[1:2]|, |v[3:4]|
	s_and_saveexec_b64 s[16:17], s[8:9]
	s_xor_b64 s[8:9], exec, s[16:17]
	s_cbranch_execz .LBB206_6
; %bb.5:
	v_div_scale_f64 v[5:6], s[16:17], v[3:4], v[3:4], v[1:2]
	v_rcp_f64_e32 v[7:8], v[5:6]
	v_fma_f64 v[10:11], -v[5:6], v[7:8], 1.0
	v_fma_f64 v[7:8], v[7:8], v[10:11], v[7:8]
	v_div_scale_f64 v[10:11], vcc, v[1:2], v[3:4], v[1:2]
	v_fma_f64 v[12:13], -v[5:6], v[7:8], 1.0
	v_fma_f64 v[7:8], v[7:8], v[12:13], v[7:8]
	v_mul_f64 v[12:13], v[10:11], v[7:8]
	v_fma_f64 v[5:6], -v[5:6], v[12:13], v[10:11]
	v_div_fmas_f64 v[5:6], v[5:6], v[7:8], v[12:13]
	v_div_fixup_f64 v[5:6], v[5:6], v[3:4], v[1:2]
	v_fma_f64 v[1:2], v[1:2], v[5:6], v[3:4]
	v_div_scale_f64 v[3:4], s[16:17], v[1:2], v[1:2], 1.0
	v_rcp_f64_e32 v[7:8], v[3:4]
	v_fma_f64 v[10:11], -v[3:4], v[7:8], 1.0
	v_fma_f64 v[7:8], v[7:8], v[10:11], v[7:8]
	v_div_scale_f64 v[10:11], vcc, 1.0, v[1:2], 1.0
	v_fma_f64 v[12:13], -v[3:4], v[7:8], 1.0
	v_fma_f64 v[7:8], v[7:8], v[12:13], v[7:8]
	v_mul_f64 v[12:13], v[10:11], v[7:8]
	v_fma_f64 v[3:4], -v[3:4], v[12:13], v[10:11]
	v_div_fmas_f64 v[3:4], v[3:4], v[7:8], v[12:13]
	v_add_f64 v[7:8], v[5:6], 0
	v_div_fixup_f64 v[1:2], v[3:4], v[1:2], 1.0
	v_fma_f64 v[3:4], v[5:6], 0, -1.0
	v_mul_f64 v[5:6], v[7:8], v[1:2]
	v_mul_f64 v[7:8], v[3:4], v[1:2]
                                        ; implicit-def: $vgpr1_vgpr2
.LBB206_6:
	s_andn2_saveexec_b64 s[8:9], s[8:9]
	s_cbranch_execz .LBB206_8
; %bb.7:
	v_div_scale_f64 v[5:6], s[16:17], v[1:2], v[1:2], v[3:4]
	v_rcp_f64_e32 v[7:8], v[5:6]
	v_fma_f64 v[10:11], -v[5:6], v[7:8], 1.0
	v_fma_f64 v[7:8], v[7:8], v[10:11], v[7:8]
	v_div_scale_f64 v[10:11], vcc, v[3:4], v[1:2], v[3:4]
	v_fma_f64 v[12:13], -v[5:6], v[7:8], 1.0
	v_fma_f64 v[7:8], v[7:8], v[12:13], v[7:8]
	v_mul_f64 v[12:13], v[10:11], v[7:8]
	v_fma_f64 v[5:6], -v[5:6], v[12:13], v[10:11]
	v_div_fmas_f64 v[5:6], v[5:6], v[7:8], v[12:13]
	v_div_fixup_f64 v[5:6], v[5:6], v[1:2], v[3:4]
	v_fma_f64 v[1:2], v[3:4], v[5:6], v[1:2]
	v_div_scale_f64 v[3:4], s[16:17], v[1:2], v[1:2], 1.0
	v_rcp_f64_e32 v[7:8], v[3:4]
	v_fma_f64 v[10:11], -v[3:4], v[7:8], 1.0
	v_fma_f64 v[7:8], v[7:8], v[10:11], v[7:8]
	v_div_scale_f64 v[10:11], vcc, 1.0, v[1:2], 1.0
	v_fma_f64 v[12:13], -v[3:4], v[7:8], 1.0
	v_fma_f64 v[7:8], v[7:8], v[12:13], v[7:8]
	v_mul_f64 v[12:13], v[10:11], v[7:8]
	v_fma_f64 v[3:4], -v[3:4], v[12:13], v[10:11]
	v_div_fmas_f64 v[3:4], v[3:4], v[7:8], v[12:13]
	v_fma_f64 v[7:8], v[5:6], 0, 1.0
	v_div_fixup_f64 v[1:2], v[3:4], v[1:2], 1.0
	v_add_f64 v[3:4], -v[5:6], 0
	v_mul_f64 v[5:6], v[7:8], v[1:2]
	v_mul_f64 v[7:8], v[3:4], v[1:2]
.LBB206_8:
	s_or_b64 exec, exec, s[8:9]
	s_branch .LBB206_10
.LBB206_9:
	v_mov_b32_e32 v7, 0
	v_mov_b32_e32 v5, 0
	;; [unrolled: 1-line block ×4, first 2 shown]
.LBB206_10:
	ds_write_b128 v9, v[5:8]
.LBB206_11:
	s_or_b64 exec, exec, s[26:27]
	s_load_dword s21, s[4:5], 0x58
	s_load_dwordx2 s[8:9], s[4:5], 0x60
	s_add_i32 s29, s29, -1
	s_waitcnt lgkmcnt(0)
	s_ashr_i32 s26, s21, 31
	s_mul_i32 s4, s9, s7
	s_mul_hi_u32 s5, s8, s7
	s_mul_i32 s16, s8, s7
	s_lshl_b32 s8, s6, 3
	s_add_i32 s17, s5, s4
	s_sub_i32 s4, s23, s8
	s_cmp_ge_u32 s6, s29
	s_cselect_b32 s4, s4, 8
	s_ashr_i32 s9, s8, 31
	s_cmp_gt_i32 s22, 0
	v_cmp_gt_i32_e64 s[4:5], s4, v0
	s_cselect_b64 s[6:7], -1, 0
	s_and_b64 s[22:23], s[4:5], s[6:7]
	s_and_saveexec_b64 s[18:19], s[22:23]
	s_cbranch_execz .LBB206_14
; %bb.12:
	v_lshlrev_b32_e32 v3, 4, v0
	s_lshl_b64 s[30:31], s[8:9], 4
	s_lshl_b64 s[22:23], s[16:17], 4
	v_mov_b32_e32 v1, s31
	v_add_co_u32_e32 v4, vcc, s30, v3
	s_lshl_b64 s[30:31], s[24:25], 4
	s_add_u32 s9, s10, s30
	s_addc_u32 s27, s11, s31
	s_add_u32 s22, s9, s22
	v_addc_co_u32_e32 v5, vcc, 0, v1, vcc
	s_addc_u32 s23, s27, s23
	v_mov_b32_e32 v1, s22
	v_mov_b32_e32 v2, s23
	v_mad_u64_u32 v[1:2], s[22:23], v4, s21, v[1:2]
	v_mul_lo_u32 v4, v4, s26
	v_mul_lo_u32 v5, v5, s21
	v_add_co_u32_e32 v1, vcc, 8, v1
	v_or_b32_e32 v3, 0x400, v3
	v_add3_u32 v2, v5, v2, v4
	v_addc_co_u32_e32 v2, vcc, 0, v2, vcc
	s_mov_b32 s9, s28
.LBB206_13:                             ; =>This Inner Loop Header: Depth=1
	global_load_dwordx4 v[4:7], v[1:2], off offset:-8
	s_add_i32 s9, s9, -1
	v_add_co_u32_e32 v1, vcc, 16, v1
	v_addc_co_u32_e32 v2, vcc, 0, v2, vcc
	s_cmp_lg_u32 s9, 0
	s_waitcnt vmcnt(0)
	v_mul_f64 v[8:9], s[14:15], v[6:7]
	v_mul_f64 v[10:11], s[12:13], v[6:7]
	v_fma_f64 v[6:7], s[12:13], v[4:5], -v[8:9]
	v_fma_f64 v[8:9], s[14:15], v[4:5], v[10:11]
	ds_write_b128 v3, v[6:9]
	v_add_u32_e32 v3, 0x80, v3
	s_cbranch_scc1 .LBB206_13
.LBB206_14:
	s_or_b64 exec, exec, s[18:19]
	v_mov_b32_e32 v1, 0x400
	s_cmpk_eq_i32 s20, 0x6f
	v_lshl_or_b32 v5, v0, 4, v1
	s_mov_b64 s[12:13], -1
	s_waitcnt lgkmcnt(0)
	; wave barrier
	s_cbranch_scc1 .LBB206_35
; %bb.15:
	s_add_i32 s9, s28, -1
	s_lshl_b32 s18, s28, 4
	s_mov_b32 s13, 0
	s_add_i32 s18, s18, -16
	s_mov_b32 s12, s13
	s_mov_b32 s19, s9
	s_branch .LBB206_17
.LBB206_16:                             ;   in Loop: Header=BB206_17 Depth=1
	s_cmp_lt_i32 s19, 0
	s_cselect_b64 s[14:15], -1, 0
	s_add_i32 s12, s12, 1
	s_cmp_eq_u32 s12, 3
	s_cselect_b64 s[22:23], -1, 0
	s_or_b64 s[14:15], s[14:15], s[22:23]
	s_andn2_b64 vcc, exec, s[14:15]
	s_cbranch_vccz .LBB206_34
.LBB206_17:                             ; =>This Loop Header: Depth=1
                                        ;     Child Loop BB206_20 Depth 2
                                        ;       Child Loop BB206_21 Depth 3
                                        ;       Child Loop BB206_23 Depth 3
                                        ;         Child Loop BB206_24 Depth 4
                                        ;       Child Loop BB206_28 Depth 3
                                        ;         Child Loop BB206_30 Depth 4
	s_lshl_b64 s[14:15], s[12:13], 2
	s_getpc_b64 s[22:23]
	s_add_u32 s22, s22, __const._ZL38rocblas_trsm_small_left_device_sharedBILi8ELi8ELb1E19rocblas_complex_numIdES1_PKS1_PS1_Ev13rocblas_fill_18rocblas_operation_17rocblas_diagonal_iiT3_T4_lilT5_lili.step_sizes@rel32@lo+4
	s_addc_u32 s23, s23, __const._ZL38rocblas_trsm_small_left_device_sharedBILi8ELi8ELb1E19rocblas_complex_numIdES1_PKS1_PS1_Ev13rocblas_fill_18rocblas_operation_17rocblas_diagonal_iiT3_T4_lilT5_lili.step_sizes@rel32@hi+12
	s_add_u32 s14, s22, s14
	s_addc_u32 s15, s23, s15
	s_load_dword s20, s[14:15], 0x0
	s_waitcnt lgkmcnt(0)
	s_add_i32 s22, s20, -1
	s_cmp_lt_i32 s19, s22
	s_cbranch_scc1 .LBB206_16
; %bb.18:                               ;   in Loop: Header=BB206_17 Depth=1
	s_lshl_b32 s14, s19, 7
	s_lshl_b32 s15, s20, 7
	s_max_i32 s23, s20, 1
	v_add_u32_e32 v6, s14, v5
	s_sub_i32 s26, 0, s15
	s_add_i32 s27, s18, s14
	s_mul_i32 s29, s19, 0x90
	s_mul_i32 s30, s20, 0xffffff70
	s_branch .LBB206_20
.LBB206_19:                             ;   in Loop: Header=BB206_20 Depth=2
	s_sub_i32 s19, s19, s20
	s_add_i32 s27, s27, s26
	s_add_i32 s29, s29, s30
	s_cmp_lt_i32 s19, s22
	v_add_u32_e32 v6, s26, v6
	s_cbranch_scc1 .LBB206_16
.LBB206_20:                             ;   Parent Loop BB206_17 Depth=1
                                        ; =>  This Loop Header: Depth=2
                                        ;       Child Loop BB206_21 Depth 3
                                        ;       Child Loop BB206_23 Depth 3
                                        ;         Child Loop BB206_24 Depth 4
                                        ;       Child Loop BB206_28 Depth 3
                                        ;         Child Loop BB206_30 Depth 4
	s_mov_b32 s14, 0
	v_mov_b32_e32 v1, v6
	s_mov_b32 s15, s23
.LBB206_21:                             ;   Parent Loop BB206_17 Depth=1
                                        ;     Parent Loop BB206_20 Depth=2
                                        ; =>    This Inner Loop Header: Depth=3
	ds_read_b128 v[7:10], v1
	v_mov_b32_e32 v2, s14
	s_add_i32 s15, s15, -1
	s_add_i32 s14, s14, 16
	v_add_u32_e32 v1, 0xffffff80, v1
	s_cmp_eq_u32 s15, 0
	s_waitcnt lgkmcnt(0)
	buffer_store_dword v10, v2, s[0:3], 0 offen offset:12
	buffer_store_dword v9, v2, s[0:3], 0 offen offset:8
	;; [unrolled: 1-line block ×3, first 2 shown]
	buffer_store_dword v7, v2, s[0:3], 0 offen
	s_cbranch_scc0 .LBB206_21
; %bb.22:                               ;   in Loop: Header=BB206_20 Depth=2
	s_cmp_le_i32 s9, s19
	s_mov_b32 s14, s27
	s_mov_b32 s15, s9
	s_cbranch_scc1 .LBB206_26
.LBB206_23:                             ;   Parent Loop BB206_17 Depth=1
                                        ;     Parent Loop BB206_20 Depth=2
                                        ; =>    This Loop Header: Depth=3
                                        ;         Child Loop BB206_24 Depth 4
	v_lshl_add_u32 v1, s15, 7, v5
	ds_read_b128 v[1:4], v1
	s_mov_b32 s31, 0
	s_mov_b32 s33, s14
	;; [unrolled: 1-line block ×3, first 2 shown]
.LBB206_24:                             ;   Parent Loop BB206_17 Depth=1
                                        ;     Parent Loop BB206_20 Depth=2
                                        ;       Parent Loop BB206_23 Depth=3
                                        ; =>      This Inner Loop Header: Depth=4
	v_mov_b32_e32 v17, s31
	buffer_load_dword v11, v17, s[0:3], 0 offen
	buffer_load_dword v12, v17, s[0:3], 0 offen offset:4
	buffer_load_dword v13, v17, s[0:3], 0 offen offset:8
	buffer_load_dword v14, v17, s[0:3], 0 offen offset:12
	v_mov_b32_e32 v7, s33
	ds_read_b128 v[7:10], v7
	s_add_i32 s34, s34, -1
	s_addk_i32 s33, 0xff80
	s_add_i32 s31, s31, 16
	s_cmp_eq_u32 s34, 0
	s_waitcnt lgkmcnt(0)
	v_mul_f64 v[15:16], v[3:4], v[9:10]
	v_mul_f64 v[9:10], v[1:2], v[9:10]
	v_fma_f64 v[15:16], v[1:2], v[7:8], -v[15:16]
	v_fma_f64 v[7:8], v[3:4], v[7:8], v[9:10]
	s_waitcnt vmcnt(2)
	v_add_f64 v[9:10], v[11:12], -v[15:16]
	s_waitcnt vmcnt(0)
	v_add_f64 v[7:8], v[13:14], -v[7:8]
	buffer_store_dword v9, v17, s[0:3], 0 offen
	buffer_store_dword v10, v17, s[0:3], 0 offen offset:4
	buffer_store_dword v7, v17, s[0:3], 0 offen offset:8
	buffer_store_dword v8, v17, s[0:3], 0 offen offset:12
	s_cbranch_scc0 .LBB206_24
; %bb.25:                               ;   in Loop: Header=BB206_23 Depth=3
	s_add_i32 s15, s15, -1
	s_add_i32 s14, s14, -16
	s_cmp_le_i32 s15, s19
	s_cbranch_scc0 .LBB206_23
.LBB206_26:                             ;   in Loop: Header=BB206_20 Depth=2
	s_lshl_b32 s31, s19, 7
	s_mov_b32 s33, 0
	s_mov_b32 s34, s29
	s_branch .LBB206_28
.LBB206_27:                             ;   in Loop: Header=BB206_28 Depth=3
	s_mul_i32 s14, s36, 0x90
	v_mov_b32_e32 v7, s14
	ds_read_b128 v[7:10], v7
	s_lshl_b32 s14, s33, 4
	s_add_i32 s33, s33, 1
	s_addk_i32 s34, 0xff80
	s_cmp_eq_u32 s33, s23
	s_waitcnt vmcnt(0) lgkmcnt(0)
	v_mul_f64 v[11:12], v[9:10], v[3:4]
	v_mul_f64 v[3:4], v[7:8], v[3:4]
	v_fma_f64 v[7:8], v[7:8], v[1:2], -v[11:12]
	v_fma_f64 v[9:10], v[9:10], v[1:2], v[3:4]
	v_add_u32_e32 v1, s35, v5
	v_mov_b32_e32 v2, s14
	buffer_store_dword v8, v2, s[0:3], 0 offen offset:4
	buffer_store_dword v7, v2, s[0:3], 0 offen
	buffer_store_dword v10, v2, s[0:3], 0 offen offset:12
	buffer_store_dword v9, v2, s[0:3], 0 offen offset:8
	ds_write_b128 v1, v[7:10]
	s_cbranch_scc1 .LBB206_19
.LBB206_28:                             ;   Parent Loop BB206_17 Depth=1
                                        ;     Parent Loop BB206_20 Depth=2
                                        ; =>    This Loop Header: Depth=3
                                        ;         Child Loop BB206_30 Depth 4
	s_cmp_lg_u32 s33, 0
	s_cbranch_scc0 .LBB206_32
; %bb.29:                               ;   in Loop: Header=BB206_28 Depth=3
	s_lshl_b32 s14, s33, 4
	v_mov_b32_e32 v7, s14
	buffer_load_dword v1, v7, s[0:3], 0 offen
	buffer_load_dword v2, v7, s[0:3], 0 offen offset:4
	buffer_load_dword v3, v7, s[0:3], 0 offen offset:8
	buffer_load_dword v4, v7, s[0:3], 0 offen offset:12
	s_sub_i32 s36, s19, s33
	s_lshl_b32 s35, s36, 7
	s_mov_b32 s15, 0
	s_mov_b32 s37, s34
	;; [unrolled: 1-line block ×3, first 2 shown]
.LBB206_30:                             ;   Parent Loop BB206_17 Depth=1
                                        ;     Parent Loop BB206_20 Depth=2
                                        ;       Parent Loop BB206_28 Depth=3
                                        ; =>      This Inner Loop Header: Depth=4
	v_mov_b32_e32 v7, s15
	buffer_load_dword v11, v7, s[0:3], 0 offen offset:8
	buffer_load_dword v12, v7, s[0:3], 0 offen offset:12
	buffer_load_dword v13, v7, s[0:3], 0 offen
	buffer_load_dword v14, v7, s[0:3], 0 offen offset:4
	v_mov_b32_e32 v7, s37
	ds_read_b128 v[7:10], v7
	s_add_i32 s38, s38, -1
	s_add_i32 s37, s37, -16
	s_add_i32 s15, s15, 16
	s_cmp_eq_u32 s38, 0
	s_waitcnt vmcnt(2) lgkmcnt(0)
	v_mul_f64 v[15:16], v[9:10], v[11:12]
	v_mul_f64 v[11:12], v[7:8], v[11:12]
	s_waitcnt vmcnt(0)
	v_fma_f64 v[7:8], v[7:8], v[13:14], -v[15:16]
	v_fma_f64 v[9:10], v[9:10], v[13:14], v[11:12]
	v_mov_b32_e32 v11, s14
	v_add_f64 v[1:2], v[1:2], -v[7:8]
	v_add_f64 v[3:4], v[3:4], -v[9:10]
	buffer_store_dword v1, v11, s[0:3], 0 offen
	buffer_store_dword v2, v11, s[0:3], 0 offen offset:4
	buffer_store_dword v3, v11, s[0:3], 0 offen offset:8
	;; [unrolled: 1-line block ×3, first 2 shown]
	s_cbranch_scc0 .LBB206_30
; %bb.31:                               ;   in Loop: Header=BB206_28 Depth=3
	s_branch .LBB206_27
.LBB206_32:                             ;   in Loop: Header=BB206_28 Depth=3
                                        ; implicit-def: $vgpr1_vgpr2
                                        ; implicit-def: $vgpr3_vgpr4
                                        ; implicit-def: $sgpr36
                                        ; implicit-def: $sgpr35
	s_cbranch_execz .LBB206_27
; %bb.33:                               ;   in Loop: Header=BB206_28 Depth=3
	buffer_load_dword v1, off, s[0:3], 0
	buffer_load_dword v2, off, s[0:3], 0 offset:4
	buffer_load_dword v3, off, s[0:3], 0 offset:8
	;; [unrolled: 1-line block ×3, first 2 shown]
	s_mov_b32 s35, s31
	s_mov_b32 s36, s19
	s_branch .LBB206_27
.LBB206_34:
	s_mov_b64 s[12:13], 0
.LBB206_35:
	s_and_b64 vcc, exec, s[12:13]
	s_cbranch_vccz .LBB206_56
; %bb.36:
	v_mov_b32_e32 v1, 0x400
	s_mov_b32 s13, 0
	v_lshl_or_b32 v6, v0, 4, v1
	s_mov_b32 s12, s13
	s_mov_b32 s9, s13
	s_branch .LBB206_38
.LBB206_37:                             ;   in Loop: Header=BB206_38 Depth=1
	s_cmp_ge_i32 s9, s28
	s_cselect_b64 s[14:15], -1, 0
	s_add_i32 s12, s12, 1
	s_cmp_eq_u32 s12, 3
	s_cselect_b64 s[18:19], -1, 0
	s_or_b64 s[14:15], s[14:15], s[18:19]
	s_and_b64 vcc, exec, s[14:15]
	s_cbranch_vccnz .LBB206_56
.LBB206_38:                             ; =>This Loop Header: Depth=1
                                        ;     Child Loop BB206_41 Depth 2
                                        ;       Child Loop BB206_42 Depth 3
                                        ;       Child Loop BB206_45 Depth 3
                                        ;         Child Loop BB206_46 Depth 4
                                        ;       Child Loop BB206_50 Depth 3
                                        ;         Child Loop BB206_52 Depth 4
	s_lshl_b64 s[14:15], s[12:13], 2
	s_getpc_b64 s[18:19]
	s_add_u32 s18, s18, __const._ZL38rocblas_trsm_small_left_device_sharedBILi8ELi8ELb1E19rocblas_complex_numIdES1_PKS1_PS1_Ev13rocblas_fill_18rocblas_operation_17rocblas_diagonal_iiT3_T4_lilT5_lili.step_sizes@rel32@lo+4
	s_addc_u32 s19, s19, __const._ZL38rocblas_trsm_small_left_device_sharedBILi8ELi8ELb1E19rocblas_complex_numIdES1_PKS1_PS1_Ev13rocblas_fill_18rocblas_operation_17rocblas_diagonal_iiT3_T4_lilT5_lili.step_sizes@rel32@hi+12
	s_add_u32 s14, s18, s14
	s_addc_u32 s15, s19, s15
	s_load_dword s18, s[14:15], 0x0
	s_waitcnt lgkmcnt(0)
	s_add_i32 s19, s18, -1
	s_add_i32 s14, s19, s9
	s_cmp_ge_i32 s14, s28
	s_cbranch_scc1 .LBB206_37
; %bb.39:                               ;   in Loop: Header=BB206_38 Depth=1
	s_max_i32 s20, s18, 1
	v_lshl_add_u32 v7, s9, 7, v6
	s_lshl_b32 s22, s18, 7
	s_lshl_b32 s23, s9, 4
	;; [unrolled: 1-line block ×3, first 2 shown]
	s_mul_i32 s27, s9, 0x90
	s_mul_i32 s29, s18, 0x90
	s_branch .LBB206_41
.LBB206_40:                             ;   in Loop: Header=BB206_41 Depth=2
	s_add_i32 s9, s9, s18
	s_add_i32 s14, s19, s9
	;; [unrolled: 1-line block ×4, first 2 shown]
	s_cmp_ge_i32 s14, s28
	v_add_u32_e32 v7, s22, v7
	s_cbranch_scc1 .LBB206_37
.LBB206_41:                             ;   Parent Loop BB206_38 Depth=1
                                        ; =>  This Loop Header: Depth=2
                                        ;       Child Loop BB206_42 Depth 3
                                        ;       Child Loop BB206_45 Depth 3
                                        ;         Child Loop BB206_46 Depth 4
                                        ;       Child Loop BB206_50 Depth 3
                                        ;         Child Loop BB206_52 Depth 4
	s_mov_b32 s14, 0
	v_mov_b32_e32 v1, v7
	s_mov_b32 s15, s20
.LBB206_42:                             ;   Parent Loop BB206_38 Depth=1
                                        ;     Parent Loop BB206_41 Depth=2
                                        ; =>    This Inner Loop Header: Depth=3
	ds_read_b128 v[8:11], v1
	v_mov_b32_e32 v2, s14
	s_add_i32 s15, s15, -1
	s_add_i32 s14, s14, 16
	v_add_u32_e32 v1, 0x80, v1
	s_cmp_eq_u32 s15, 0
	s_waitcnt lgkmcnt(0)
	buffer_store_dword v11, v2, s[0:3], 0 offen offset:12
	buffer_store_dword v10, v2, s[0:3], 0 offen offset:8
	;; [unrolled: 1-line block ×3, first 2 shown]
	buffer_store_dword v8, v2, s[0:3], 0 offen
	s_cbranch_scc0 .LBB206_42
; %bb.43:                               ;   in Loop: Header=BB206_41 Depth=2
	s_cmp_lt_i32 s9, 1
	s_cbranch_scc1 .LBB206_48
; %bb.44:                               ;   in Loop: Header=BB206_41 Depth=2
	s_mov_b32 s14, 0
	s_mov_b32 s15, s23
.LBB206_45:                             ;   Parent Loop BB206_38 Depth=1
                                        ;     Parent Loop BB206_41 Depth=2
                                        ; =>    This Loop Header: Depth=3
                                        ;         Child Loop BB206_46 Depth 4
	v_lshl_add_u32 v1, s14, 7, v5
	ds_read_b128 v[1:4], v1
	s_mov_b32 s30, 0
	s_mov_b32 s31, s15
	;; [unrolled: 1-line block ×3, first 2 shown]
.LBB206_46:                             ;   Parent Loop BB206_38 Depth=1
                                        ;     Parent Loop BB206_41 Depth=2
                                        ;       Parent Loop BB206_45 Depth=3
                                        ; =>      This Inner Loop Header: Depth=4
	v_mov_b32_e32 v18, s30
	buffer_load_dword v12, v18, s[0:3], 0 offen
	buffer_load_dword v13, v18, s[0:3], 0 offen offset:4
	buffer_load_dword v14, v18, s[0:3], 0 offen offset:8
	;; [unrolled: 1-line block ×3, first 2 shown]
	v_mov_b32_e32 v8, s31
	ds_read_b128 v[8:11], v8
	s_add_i32 s33, s33, -1
	s_add_i32 s31, s31, 16
	s_add_i32 s30, s30, 16
	s_cmp_eq_u32 s33, 0
	s_waitcnt lgkmcnt(0)
	v_mul_f64 v[16:17], v[3:4], v[10:11]
	v_mul_f64 v[10:11], v[1:2], v[10:11]
	v_fma_f64 v[16:17], v[1:2], v[8:9], -v[16:17]
	v_fma_f64 v[8:9], v[3:4], v[8:9], v[10:11]
	s_waitcnt vmcnt(2)
	v_add_f64 v[10:11], v[12:13], -v[16:17]
	s_waitcnt vmcnt(0)
	v_add_f64 v[8:9], v[14:15], -v[8:9]
	buffer_store_dword v10, v18, s[0:3], 0 offen
	buffer_store_dword v11, v18, s[0:3], 0 offen offset:4
	buffer_store_dword v8, v18, s[0:3], 0 offen offset:8
	;; [unrolled: 1-line block ×3, first 2 shown]
	s_cbranch_scc0 .LBB206_46
; %bb.47:                               ;   in Loop: Header=BB206_45 Depth=3
	s_add_i32 s14, s14, 1
	s_addk_i32 s15, 0x80
	s_cmp_eq_u32 s14, s9
	s_cbranch_scc0 .LBB206_45
.LBB206_48:                             ;   in Loop: Header=BB206_41 Depth=2
	s_mov_b32 s30, 0
	s_mov_b32 s31, s27
	s_branch .LBB206_50
.LBB206_49:                             ;   in Loop: Header=BB206_50 Depth=3
	s_add_i32 s14, s30, s9
	s_mul_i32 s15, s14, 0x90
	v_mov_b32_e32 v8, s15
	ds_read_b128 v[8:11], v8
	s_lshl_b32 s15, s30, 4
	s_add_i32 s30, s30, 1
	s_add_i32 s31, s31, 16
	s_cmp_eq_u32 s30, s20
	s_waitcnt vmcnt(0) lgkmcnt(0)
	v_mul_f64 v[12:13], v[10:11], v[3:4]
	v_mul_f64 v[3:4], v[8:9], v[3:4]
	v_fma_f64 v[8:9], v[8:9], v[1:2], -v[12:13]
	v_fma_f64 v[10:11], v[10:11], v[1:2], v[3:4]
	v_mov_b32_e32 v1, s15
	v_lshl_add_u32 v2, s14, 7, v5
	buffer_store_dword v9, v1, s[0:3], 0 offen offset:4
	buffer_store_dword v8, v1, s[0:3], 0 offen
	buffer_store_dword v11, v1, s[0:3], 0 offen offset:12
	buffer_store_dword v10, v1, s[0:3], 0 offen offset:8
	ds_write_b128 v2, v[8:11]
	s_cbranch_scc1 .LBB206_40
.LBB206_50:                             ;   Parent Loop BB206_38 Depth=1
                                        ;     Parent Loop BB206_41 Depth=2
                                        ; =>    This Loop Header: Depth=3
                                        ;         Child Loop BB206_52 Depth 4
	s_cmp_lg_u32 s30, 0
	s_cbranch_scc0 .LBB206_54
; %bb.51:                               ;   in Loop: Header=BB206_50 Depth=3
	s_lshl_b32 s14, s30, 4
	v_mov_b32_e32 v8, s14
	buffer_load_dword v1, v8, s[0:3], 0 offen
	buffer_load_dword v2, v8, s[0:3], 0 offen offset:4
	buffer_load_dword v3, v8, s[0:3], 0 offen offset:8
	;; [unrolled: 1-line block ×3, first 2 shown]
	s_mov_b32 s15, 0
	s_mov_b32 s33, s31
	;; [unrolled: 1-line block ×3, first 2 shown]
.LBB206_52:                             ;   Parent Loop BB206_38 Depth=1
                                        ;     Parent Loop BB206_41 Depth=2
                                        ;       Parent Loop BB206_50 Depth=3
                                        ; =>      This Inner Loop Header: Depth=4
	v_mov_b32_e32 v8, s15
	buffer_load_dword v12, v8, s[0:3], 0 offen offset:8
	buffer_load_dword v13, v8, s[0:3], 0 offen offset:12
	buffer_load_dword v14, v8, s[0:3], 0 offen
	buffer_load_dword v15, v8, s[0:3], 0 offen offset:4
	v_mov_b32_e32 v8, s33
	ds_read_b128 v[8:11], v8
	s_add_i32 s34, s34, -1
	s_addk_i32 s33, 0x80
	s_add_i32 s15, s15, 16
	s_cmp_eq_u32 s34, 0
	s_waitcnt vmcnt(2) lgkmcnt(0)
	v_mul_f64 v[16:17], v[10:11], v[12:13]
	v_mul_f64 v[12:13], v[8:9], v[12:13]
	s_waitcnt vmcnt(0)
	v_fma_f64 v[8:9], v[8:9], v[14:15], -v[16:17]
	v_fma_f64 v[10:11], v[10:11], v[14:15], v[12:13]
	v_mov_b32_e32 v12, s14
	v_add_f64 v[1:2], v[1:2], -v[8:9]
	v_add_f64 v[3:4], v[3:4], -v[10:11]
	buffer_store_dword v1, v12, s[0:3], 0 offen
	buffer_store_dword v2, v12, s[0:3], 0 offen offset:4
	buffer_store_dword v3, v12, s[0:3], 0 offen offset:8
	;; [unrolled: 1-line block ×3, first 2 shown]
	s_cbranch_scc0 .LBB206_52
; %bb.53:                               ;   in Loop: Header=BB206_50 Depth=3
	s_branch .LBB206_49
.LBB206_54:                             ;   in Loop: Header=BB206_50 Depth=3
                                        ; implicit-def: $vgpr1_vgpr2
                                        ; implicit-def: $vgpr3_vgpr4
	s_cbranch_execz .LBB206_49
; %bb.55:                               ;   in Loop: Header=BB206_50 Depth=3
	buffer_load_dword v1, off, s[0:3], 0
	buffer_load_dword v2, off, s[0:3], 0 offset:4
	buffer_load_dword v3, off, s[0:3], 0 offset:8
	buffer_load_dword v4, off, s[0:3], 0 offset:12
	s_branch .LBB206_49
.LBB206_56:
	s_waitcnt lgkmcnt(0)
	; wave barrier
	s_and_saveexec_b64 s[12:13], s[4:5]
	s_cbranch_execz .LBB206_60
; %bb.57:
	s_andn2_b64 vcc, exec, s[6:7]
	s_cbranch_vccnz .LBB206_60
; %bb.58:
	s_lshl_b64 s[4:5], s[16:17], 4
	s_add_u32 s6, s10, s4
	s_addc_u32 s7, s11, s5
	s_lshl_b64 s[4:5], s[24:25], 4
	s_add_u32 s9, s6, s4
	s_addc_u32 s10, s7, s5
	v_mad_i64_i32 v[1:2], s[6:7], s21, v0, 0
	s_mul_hi_i32 s5, s21, s8
	s_mul_i32 s4, s21, s8
	s_lshl_b64 s[4:5], s[4:5], 4
	s_add_u32 s4, s9, s4
	v_lshlrev_b64 v[1:2], 4, v[1:2]
	s_addc_u32 s5, s10, s5
	v_mov_b32_e32 v3, s5
	v_add_co_u32_e32 v1, vcc, s4, v1
	v_addc_co_u32_e32 v2, vcc, v3, v2, vcc
	v_mov_b32_e32 v3, 0x400
	v_lshl_or_b32 v0, v0, 4, v3
.LBB206_59:                             ; =>This Inner Loop Header: Depth=1
	ds_read2_b64 v[3:6], v0 offset1:1
	s_add_i32 s28, s28, -1
	v_add_u32_e32 v0, 0x80, v0
	s_cmp_lg_u32 s28, 0
	s_waitcnt lgkmcnt(0)
	global_store_dwordx4 v[1:2], v[3:6], off
	v_add_co_u32_e32 v1, vcc, 16, v1
	v_addc_co_u32_e32 v2, vcc, 0, v2, vcc
	s_cbranch_scc1 .LBB206_59
.LBB206_60:
	s_endpgm
	.section	.rodata,"a",@progbits
	.p2align	6, 0x0
	.amdhsa_kernel _ZL38rocblas_trsm_small_left_device_sharedBILi8ELi8ELb1E19rocblas_complex_numIdES1_PKS1_PS1_Ev13rocblas_fill_18rocblas_operation_17rocblas_diagonal_iiT3_T4_lilT5_lili
		.amdhsa_group_segment_fixed_size 2048
		.amdhsa_private_segment_fixed_size 144
		.amdhsa_kernarg_size 368
		.amdhsa_user_sgpr_count 6
		.amdhsa_user_sgpr_private_segment_buffer 1
		.amdhsa_user_sgpr_dispatch_ptr 0
		.amdhsa_user_sgpr_queue_ptr 0
		.amdhsa_user_sgpr_kernarg_segment_ptr 1
		.amdhsa_user_sgpr_dispatch_id 0
		.amdhsa_user_sgpr_flat_scratch_init 0
		.amdhsa_user_sgpr_private_segment_size 0
		.amdhsa_uses_dynamic_stack 0
		.amdhsa_system_sgpr_private_segment_wavefront_offset 1
		.amdhsa_system_sgpr_workgroup_id_x 1
		.amdhsa_system_sgpr_workgroup_id_y 0
		.amdhsa_system_sgpr_workgroup_id_z 1
		.amdhsa_system_sgpr_workgroup_info 0
		.amdhsa_system_vgpr_workitem_id 0
		.amdhsa_next_free_vgpr 29
		.amdhsa_next_free_sgpr 61
		.amdhsa_reserve_vcc 1
		.amdhsa_reserve_flat_scratch 0
		.amdhsa_float_round_mode_32 0
		.amdhsa_float_round_mode_16_64 0
		.amdhsa_float_denorm_mode_32 3
		.amdhsa_float_denorm_mode_16_64 3
		.amdhsa_dx10_clamp 1
		.amdhsa_ieee_mode 1
		.amdhsa_fp16_overflow 0
		.amdhsa_exception_fp_ieee_invalid_op 0
		.amdhsa_exception_fp_denorm_src 0
		.amdhsa_exception_fp_ieee_div_zero 0
		.amdhsa_exception_fp_ieee_overflow 0
		.amdhsa_exception_fp_ieee_underflow 0
		.amdhsa_exception_fp_ieee_inexact 0
		.amdhsa_exception_int_div_zero 0
	.end_amdhsa_kernel
	.section	.text._ZL38rocblas_trsm_small_left_device_sharedBILi8ELi8ELb1E19rocblas_complex_numIdES1_PKS1_PS1_Ev13rocblas_fill_18rocblas_operation_17rocblas_diagonal_iiT3_T4_lilT5_lili,"axG",@progbits,_ZL38rocblas_trsm_small_left_device_sharedBILi8ELi8ELb1E19rocblas_complex_numIdES1_PKS1_PS1_Ev13rocblas_fill_18rocblas_operation_17rocblas_diagonal_iiT3_T4_lilT5_lili,comdat
.Lfunc_end206:
	.size	_ZL38rocblas_trsm_small_left_device_sharedBILi8ELi8ELb1E19rocblas_complex_numIdES1_PKS1_PS1_Ev13rocblas_fill_18rocblas_operation_17rocblas_diagonal_iiT3_T4_lilT5_lili, .Lfunc_end206-_ZL38rocblas_trsm_small_left_device_sharedBILi8ELi8ELb1E19rocblas_complex_numIdES1_PKS1_PS1_Ev13rocblas_fill_18rocblas_operation_17rocblas_diagonal_iiT3_T4_lilT5_lili
                                        ; -- End function
	.set _ZL38rocblas_trsm_small_left_device_sharedBILi8ELi8ELb1E19rocblas_complex_numIdES1_PKS1_PS1_Ev13rocblas_fill_18rocblas_operation_17rocblas_diagonal_iiT3_T4_lilT5_lili.num_vgpr, 19
	.set _ZL38rocblas_trsm_small_left_device_sharedBILi8ELi8ELb1E19rocblas_complex_numIdES1_PKS1_PS1_Ev13rocblas_fill_18rocblas_operation_17rocblas_diagonal_iiT3_T4_lilT5_lili.num_agpr, 0
	.set _ZL38rocblas_trsm_small_left_device_sharedBILi8ELi8ELb1E19rocblas_complex_numIdES1_PKS1_PS1_Ev13rocblas_fill_18rocblas_operation_17rocblas_diagonal_iiT3_T4_lilT5_lili.numbered_sgpr, 39
	.set _ZL38rocblas_trsm_small_left_device_sharedBILi8ELi8ELb1E19rocblas_complex_numIdES1_PKS1_PS1_Ev13rocblas_fill_18rocblas_operation_17rocblas_diagonal_iiT3_T4_lilT5_lili.num_named_barrier, 0
	.set _ZL38rocblas_trsm_small_left_device_sharedBILi8ELi8ELb1E19rocblas_complex_numIdES1_PKS1_PS1_Ev13rocblas_fill_18rocblas_operation_17rocblas_diagonal_iiT3_T4_lilT5_lili.private_seg_size, 144
	.set _ZL38rocblas_trsm_small_left_device_sharedBILi8ELi8ELb1E19rocblas_complex_numIdES1_PKS1_PS1_Ev13rocblas_fill_18rocblas_operation_17rocblas_diagonal_iiT3_T4_lilT5_lili.uses_vcc, 1
	.set _ZL38rocblas_trsm_small_left_device_sharedBILi8ELi8ELb1E19rocblas_complex_numIdES1_PKS1_PS1_Ev13rocblas_fill_18rocblas_operation_17rocblas_diagonal_iiT3_T4_lilT5_lili.uses_flat_scratch, 0
	.set _ZL38rocblas_trsm_small_left_device_sharedBILi8ELi8ELb1E19rocblas_complex_numIdES1_PKS1_PS1_Ev13rocblas_fill_18rocblas_operation_17rocblas_diagonal_iiT3_T4_lilT5_lili.has_dyn_sized_stack, 0
	.set _ZL38rocblas_trsm_small_left_device_sharedBILi8ELi8ELb1E19rocblas_complex_numIdES1_PKS1_PS1_Ev13rocblas_fill_18rocblas_operation_17rocblas_diagonal_iiT3_T4_lilT5_lili.has_recursion, 0
	.set _ZL38rocblas_trsm_small_left_device_sharedBILi8ELi8ELb1E19rocblas_complex_numIdES1_PKS1_PS1_Ev13rocblas_fill_18rocblas_operation_17rocblas_diagonal_iiT3_T4_lilT5_lili.has_indirect_call, 0
	.section	.AMDGPU.csdata,"",@progbits
; Kernel info:
; codeLenInByte = 3068
; TotalNumSgprs: 43
; NumVgprs: 19
; ScratchSize: 144
; MemoryBound: 0
; FloatMode: 240
; IeeeMode: 1
; LDSByteSize: 2048 bytes/workgroup (compile time only)
; SGPRBlocks: 8
; VGPRBlocks: 7
; NumSGPRsForWavesPerEU: 65
; NumVGPRsForWavesPerEU: 29
; Occupancy: 8
; WaveLimiterHint : 0
; COMPUTE_PGM_RSRC2:SCRATCH_EN: 1
; COMPUTE_PGM_RSRC2:USER_SGPR: 6
; COMPUTE_PGM_RSRC2:TRAP_HANDLER: 0
; COMPUTE_PGM_RSRC2:TGID_X_EN: 1
; COMPUTE_PGM_RSRC2:TGID_Y_EN: 0
; COMPUTE_PGM_RSRC2:TGID_Z_EN: 1
; COMPUTE_PGM_RSRC2:TIDIG_COMP_CNT: 0
	.section	.text._ZL30rocblas_trsm_small_left_deviceILi8ELi8ELb1E19rocblas_complex_numIdES1_PKS1_PS1_Ev13rocblas_fill_18rocblas_operation_17rocblas_diagonal_iiT3_T4_lilT5_lili,"axG",@progbits,_ZL30rocblas_trsm_small_left_deviceILi8ELi8ELb1E19rocblas_complex_numIdES1_PKS1_PS1_Ev13rocblas_fill_18rocblas_operation_17rocblas_diagonal_iiT3_T4_lilT5_lili,comdat
	.globl	_ZL30rocblas_trsm_small_left_deviceILi8ELi8ELb1E19rocblas_complex_numIdES1_PKS1_PS1_Ev13rocblas_fill_18rocblas_operation_17rocblas_diagonal_iiT3_T4_lilT5_lili ; -- Begin function _ZL30rocblas_trsm_small_left_deviceILi8ELi8ELb1E19rocblas_complex_numIdES1_PKS1_PS1_Ev13rocblas_fill_18rocblas_operation_17rocblas_diagonal_iiT3_T4_lilT5_lili
	.p2align	8
	.type	_ZL30rocblas_trsm_small_left_deviceILi8ELi8ELb1E19rocblas_complex_numIdES1_PKS1_PS1_Ev13rocblas_fill_18rocblas_operation_17rocblas_diagonal_iiT3_T4_lilT5_lili,@function
_ZL30rocblas_trsm_small_left_deviceILi8ELi8ELb1E19rocblas_complex_numIdES1_PKS1_PS1_Ev13rocblas_fill_18rocblas_operation_17rocblas_diagonal_iiT3_T4_lilT5_lili: ; @_ZL30rocblas_trsm_small_left_deviceILi8ELi8ELb1E19rocblas_complex_numIdES1_PKS1_PS1_Ev13rocblas_fill_18rocblas_operation_17rocblas_diagonal_iiT3_T4_lilT5_lili
; %bb.0:
	s_add_u32 s0, s0, s8
	s_load_dwordx4 s[20:23], s[4:5], 0x4
	s_load_dwordx8 s[12:19], s[4:5], 0x18
	s_load_dwordx4 s[8:11], s[4:5], 0x40
	s_load_dwordx2 s[24:25], s[4:5], 0x50
	s_load_dword s29, s[4:5], 0x70
	s_addc_u32 s1, s1, 0
	s_waitcnt lgkmcnt(0)
	s_min_i32 s28, s22, 8
	v_cmp_gt_i32_e32 vcc, s28, v0
	s_and_saveexec_b64 s[26:27], vcc
	s_cbranch_execz .LBB207_11
; %bb.1:
	s_load_dword s30, s[4:5], 0x38
	s_mul_i32 s9, s9, s7
	s_mul_hi_u32 s22, s8, s7
	s_mul_i32 s8, s8, s7
	v_lshlrev_b32_e32 v3, 4, v0
	s_waitcnt lgkmcnt(0)
	s_ashr_i32 s31, s30, 31
	s_cmpk_eq_i32 s20, 0x71
	s_cselect_b64 vcc, -1, 0
	s_add_i32 s9, s22, s9
	s_lshl_b64 s[8:9], s[8:9], 4
	s_lshl_b64 s[18:19], s[18:19], 4
	s_add_u32 s8, s8, s18
	s_addc_u32 s9, s9, s19
	s_add_u32 s8, s16, s8
	s_addc_u32 s9, s17, s9
	v_mov_b32_e32 v1, s9
	v_add_co_u32_e64 v2, s[8:9], s8, v3
	v_addc_co_u32_e64 v4, s[8:9], 0, v1, s[8:9]
	v_add_co_u32_e64 v1, s[8:9], 8, v2
	s_lshl_b64 s[16:17], s[30:31], 4
	v_addc_co_u32_e64 v2, s[8:9], 0, v4, s[8:9]
	v_mov_b32_e32 v4, s17
	v_mov_b32_e32 v5, v3
	s_mov_b32 s17, s28
.LBB207_2:                              ; =>This Inner Loop Header: Depth=1
	global_load_dwordx4 v[6:9], v[1:2], off offset:-8
	s_add_i32 s17, s17, -1
	v_add_co_u32_e64 v1, s[8:9], s16, v1
	v_addc_co_u32_e64 v2, s[8:9], v2, v4, s[8:9]
	s_cmp_eq_u32 s17, 0
	s_waitcnt vmcnt(0)
	v_xor_b32_e32 v10, 0x80000000, v9
	v_cndmask_b32_e32 v9, v9, v10, vcc
	ds_write_b128 v5, v[6:9]
	v_add_u32_e32 v5, 0x80, v5
	s_cbranch_scc0 .LBB207_2
; %bb.3:
	v_lshlrev_b32_e32 v1, 7, v0
	s_cmpk_lg_i32 s21, 0x84
	v_add_u32_e32 v9, v3, v1
	s_cbranch_scc0 .LBB207_9
; %bb.4:
	ds_read_b128 v[1:4], v9
                                        ; implicit-def: $vgpr7_vgpr8
	s_waitcnt lgkmcnt(0)
	v_cmp_ngt_f64_e64 s[8:9], |v[1:2]|, |v[3:4]|
	s_and_saveexec_b64 s[16:17], s[8:9]
	s_xor_b64 s[8:9], exec, s[16:17]
	s_cbranch_execz .LBB207_6
; %bb.5:
	v_div_scale_f64 v[5:6], s[16:17], v[3:4], v[3:4], v[1:2]
	v_rcp_f64_e32 v[7:8], v[5:6]
	v_fma_f64 v[10:11], -v[5:6], v[7:8], 1.0
	v_fma_f64 v[7:8], v[7:8], v[10:11], v[7:8]
	v_div_scale_f64 v[10:11], vcc, v[1:2], v[3:4], v[1:2]
	v_fma_f64 v[12:13], -v[5:6], v[7:8], 1.0
	v_fma_f64 v[7:8], v[7:8], v[12:13], v[7:8]
	v_mul_f64 v[12:13], v[10:11], v[7:8]
	v_fma_f64 v[5:6], -v[5:6], v[12:13], v[10:11]
	v_div_fmas_f64 v[5:6], v[5:6], v[7:8], v[12:13]
	v_div_fixup_f64 v[5:6], v[5:6], v[3:4], v[1:2]
	v_fma_f64 v[1:2], v[1:2], v[5:6], v[3:4]
	v_div_scale_f64 v[3:4], s[16:17], v[1:2], v[1:2], 1.0
	v_rcp_f64_e32 v[7:8], v[3:4]
	v_fma_f64 v[10:11], -v[3:4], v[7:8], 1.0
	v_fma_f64 v[7:8], v[7:8], v[10:11], v[7:8]
	v_div_scale_f64 v[10:11], vcc, 1.0, v[1:2], 1.0
	v_fma_f64 v[12:13], -v[3:4], v[7:8], 1.0
	v_fma_f64 v[7:8], v[7:8], v[12:13], v[7:8]
	v_mul_f64 v[12:13], v[10:11], v[7:8]
	v_fma_f64 v[3:4], -v[3:4], v[12:13], v[10:11]
	v_div_fmas_f64 v[3:4], v[3:4], v[7:8], v[12:13]
	v_add_f64 v[7:8], v[5:6], 0
	v_div_fixup_f64 v[1:2], v[3:4], v[1:2], 1.0
	v_fma_f64 v[3:4], v[5:6], 0, -1.0
	v_mul_f64 v[5:6], v[7:8], v[1:2]
	v_mul_f64 v[7:8], v[3:4], v[1:2]
                                        ; implicit-def: $vgpr1_vgpr2
.LBB207_6:
	s_andn2_saveexec_b64 s[8:9], s[8:9]
	s_cbranch_execz .LBB207_8
; %bb.7:
	v_div_scale_f64 v[5:6], s[16:17], v[1:2], v[1:2], v[3:4]
	v_rcp_f64_e32 v[7:8], v[5:6]
	v_fma_f64 v[10:11], -v[5:6], v[7:8], 1.0
	v_fma_f64 v[7:8], v[7:8], v[10:11], v[7:8]
	v_div_scale_f64 v[10:11], vcc, v[3:4], v[1:2], v[3:4]
	v_fma_f64 v[12:13], -v[5:6], v[7:8], 1.0
	v_fma_f64 v[7:8], v[7:8], v[12:13], v[7:8]
	v_mul_f64 v[12:13], v[10:11], v[7:8]
	v_fma_f64 v[5:6], -v[5:6], v[12:13], v[10:11]
	v_div_fmas_f64 v[5:6], v[5:6], v[7:8], v[12:13]
	v_div_fixup_f64 v[5:6], v[5:6], v[1:2], v[3:4]
	v_fma_f64 v[1:2], v[3:4], v[5:6], v[1:2]
	v_div_scale_f64 v[3:4], s[16:17], v[1:2], v[1:2], 1.0
	v_rcp_f64_e32 v[7:8], v[3:4]
	v_fma_f64 v[10:11], -v[3:4], v[7:8], 1.0
	v_fma_f64 v[7:8], v[7:8], v[10:11], v[7:8]
	v_div_scale_f64 v[10:11], vcc, 1.0, v[1:2], 1.0
	v_fma_f64 v[12:13], -v[3:4], v[7:8], 1.0
	v_fma_f64 v[7:8], v[7:8], v[12:13], v[7:8]
	v_mul_f64 v[12:13], v[10:11], v[7:8]
	v_fma_f64 v[3:4], -v[3:4], v[12:13], v[10:11]
	v_div_fmas_f64 v[3:4], v[3:4], v[7:8], v[12:13]
	v_fma_f64 v[7:8], v[5:6], 0, 1.0
	v_div_fixup_f64 v[1:2], v[3:4], v[1:2], 1.0
	v_add_f64 v[3:4], -v[5:6], 0
	v_mul_f64 v[5:6], v[7:8], v[1:2]
	v_mul_f64 v[7:8], v[3:4], v[1:2]
.LBB207_8:
	s_or_b64 exec, exec, s[8:9]
	s_branch .LBB207_10
.LBB207_9:
	v_mov_b32_e32 v7, 0
	v_mov_b32_e32 v5, 0
	;; [unrolled: 1-line block ×4, first 2 shown]
.LBB207_10:
	ds_write_b128 v9, v[5:8]
.LBB207_11:
	s_or_b64 exec, exec, s[26:27]
	s_lshl_b32 s8, s6, 3
	s_add_i32 s29, s29, -1
	s_sub_i32 s9, s23, s8
	s_cmp_ge_u32 s6, s29
	s_cselect_b32 s6, s9, 8
	v_cmp_gt_i32_e32 vcc, s6, v0
	s_waitcnt lgkmcnt(0)
	; wave barrier
	s_and_saveexec_b64 s[16:17], vcc
	s_cbranch_execz .LBB207_54
; %bb.12:
	s_load_dwordx2 s[16:17], s[4:5], 0x60
	s_load_dword s6, s[4:5], 0x58
	v_add_u32_e32 v0, s8, v0
	s_waitcnt lgkmcnt(0)
	s_mul_i32 s5, s17, s7
	s_mul_hi_u32 s8, s16, s7
	s_mul_i32 s4, s16, s7
	s_add_i32 s5, s8, s5
	v_mad_i64_i32 v[0:1], s[6:7], s6, v0, 0
	s_lshl_b64 s[4:5], s[4:5], 4
	s_add_u32 s8, s10, s4
	s_addc_u32 s9, s11, s5
	s_lshl_b64 s[6:7], s[24:25], 4
	s_add_u32 s8, s8, s6
	v_lshlrev_b64 v[4:5], 4, v[0:1]
	s_addc_u32 s9, s9, s7
	v_mov_b32_e32 v0, s9
	v_add_co_u32_e32 v6, vcc, s8, v4
	v_addc_co_u32_e32 v7, vcc, v0, v5, vcc
	s_cmpk_eq_i32 s20, 0x6f
	s_mov_b64 s[8:9], -1
	s_cbranch_scc1 .LBB207_33
; %bb.13:
	s_add_i32 s24, s28, -1
	s_add_u32 s8, s10, s6
	s_addc_u32 s9, s11, s7
	s_add_u32 s8, s8, s4
	s_addc_u32 s9, s9, s5
	v_mov_b32_e32 v0, s9
	v_add_co_u32_e32 v1, vcc, s8, v4
	v_addc_co_u32_e32 v0, vcc, v0, v5, vcc
	v_add_co_u32_e32 v8, vcc, 8, v1
	s_lshl_b32 s25, s28, 4
	s_mov_b32 s9, 0
	v_addc_co_u32_e32 v9, vcc, 0, v0, vcc
	s_add_i32 s25, s25, -16
	s_mov_b32 s8, s9
	s_mov_b32 s16, s24
	s_branch .LBB207_15
.LBB207_14:                             ;   in Loop: Header=BB207_15 Depth=1
	s_cmp_lt_i32 s16, 0
	s_cselect_b64 s[18:19], -1, 0
	s_add_i32 s8, s8, 1
	s_cmp_eq_u32 s8, 3
	s_cselect_b64 s[20:21], -1, 0
	s_or_b64 s[18:19], s[18:19], s[20:21]
	s_andn2_b64 vcc, exec, s[18:19]
	s_cbranch_vccz .LBB207_32
.LBB207_15:                             ; =>This Loop Header: Depth=1
                                        ;     Child Loop BB207_18 Depth 2
                                        ;       Child Loop BB207_19 Depth 3
                                        ;       Child Loop BB207_21 Depth 3
                                        ;         Child Loop BB207_22 Depth 4
                                        ;       Child Loop BB207_26 Depth 3
                                        ;         Child Loop BB207_28 Depth 4
	s_lshl_b64 s[18:19], s[8:9], 2
	s_getpc_b64 s[20:21]
	s_add_u32 s20, s20, __const._ZL30rocblas_trsm_small_left_deviceILi8ELi8ELb1E19rocblas_complex_numIdES1_PKS1_PS1_Ev13rocblas_fill_18rocblas_operation_17rocblas_diagonal_iiT3_T4_lilT5_lili.step_sizes@rel32@lo+4
	s_addc_u32 s21, s21, __const._ZL30rocblas_trsm_small_left_deviceILi8ELi8ELb1E19rocblas_complex_numIdES1_PKS1_PS1_Ev13rocblas_fill_18rocblas_operation_17rocblas_diagonal_iiT3_T4_lilT5_lili.step_sizes@rel32@hi+12
	s_add_u32 s18, s20, s18
	s_addc_u32 s19, s21, s19
	s_load_dword s26, s[18:19], 0x0
	s_waitcnt lgkmcnt(0)
	s_add_i32 s27, s26, -1
	s_cmp_lt_i32 s16, s27
	s_cbranch_scc1 .LBB207_14
; %bb.16:                               ;   in Loop: Header=BB207_15 Depth=1
	s_lshl_b32 s17, s16, 7
	s_add_i32 s30, s25, s17
	s_lshl_b32 s17, s26, 7
	s_max_i32 s29, s26, 1
	s_sub_i32 s31, 0, s17
	s_mul_i32 s33, s16, 0x90
	s_mul_i32 s34, s26, 0xffffff70
	s_branch .LBB207_18
.LBB207_17:                             ;   in Loop: Header=BB207_18 Depth=2
	s_sub_i32 s16, s16, s26
	s_add_i32 s30, s30, s31
	s_add_i32 s33, s33, s34
	s_cmp_lt_i32 s16, s27
	s_cbranch_scc1 .LBB207_14
.LBB207_18:                             ;   Parent Loop BB207_15 Depth=1
                                        ; =>  This Loop Header: Depth=2
                                        ;       Child Loop BB207_19 Depth 3
                                        ;       Child Loop BB207_21 Depth 3
                                        ;         Child Loop BB207_22 Depth 4
                                        ;       Child Loop BB207_26 Depth 3
                                        ;         Child Loop BB207_28 Depth 4
	s_ashr_i32 s17, s16, 31
	s_lshl_b64 s[18:19], s[16:17], 4
	v_mov_b32_e32 v1, s19
	v_add_co_u32_e32 v0, vcc, s18, v8
	v_addc_co_u32_e32 v1, vcc, v9, v1, vcc
	s_mov_b32 s18, 0
	s_mov_b32 s19, s29
.LBB207_19:                             ;   Parent Loop BB207_15 Depth=1
                                        ;     Parent Loop BB207_18 Depth=2
                                        ; =>    This Inner Loop Header: Depth=3
	global_load_dwordx4 v[10:13], v[0:1], off offset:-8
	v_mov_b32_e32 v14, s18
	s_add_i32 s19, s19, -1
	v_add_co_u32_e32 v0, vcc, -16, v0
	s_add_i32 s18, s18, 16
	v_addc_co_u32_e32 v1, vcc, -1, v1, vcc
	s_cmp_eq_u32 s19, 0
	s_waitcnt vmcnt(0)
	v_mul_f64 v[2:3], s[14:15], v[12:13]
	v_mul_f64 v[12:13], s[12:13], v[12:13]
	v_fma_f64 v[2:3], s[12:13], v[10:11], -v[2:3]
	v_fma_f64 v[10:11], s[14:15], v[10:11], v[12:13]
	buffer_store_dword v3, v14, s[0:3], 0 offen offset:4
	buffer_store_dword v2, v14, s[0:3], 0 offen
	buffer_store_dword v11, v14, s[0:3], 0 offen offset:12
	buffer_store_dword v10, v14, s[0:3], 0 offen offset:8
	s_cbranch_scc0 .LBB207_19
; %bb.20:                               ;   in Loop: Header=BB207_18 Depth=2
	s_cmp_le_i32 s24, s16
	s_mov_b32 s20, s30
	s_mov_b32 s18, s24
	s_cbranch_scc1 .LBB207_24
.LBB207_21:                             ;   Parent Loop BB207_15 Depth=1
                                        ;     Parent Loop BB207_18 Depth=2
                                        ; =>    This Loop Header: Depth=3
                                        ;         Child Loop BB207_22 Depth 4
	s_ashr_i32 s19, s18, 31
	s_lshl_b64 s[22:23], s[18:19], 4
	v_mov_b32_e32 v1, s23
	v_add_co_u32_e32 v0, vcc, s22, v6
	v_addc_co_u32_e32 v1, vcc, v7, v1, vcc
	global_load_dwordx4 v[0:3], v[0:1], off
	s_mov_b32 s19, 0
	s_mov_b32 s21, s20
	;; [unrolled: 1-line block ×3, first 2 shown]
.LBB207_22:                             ;   Parent Loop BB207_15 Depth=1
                                        ;     Parent Loop BB207_18 Depth=2
                                        ;       Parent Loop BB207_21 Depth=3
                                        ; =>      This Inner Loop Header: Depth=4
	v_mov_b32_e32 v20, s19
	buffer_load_dword v14, v20, s[0:3], 0 offen
	buffer_load_dword v15, v20, s[0:3], 0 offen offset:4
	buffer_load_dword v16, v20, s[0:3], 0 offen offset:8
	;; [unrolled: 1-line block ×3, first 2 shown]
	v_mov_b32_e32 v10, s21
	ds_read_b128 v[10:13], v10
	s_add_i32 s22, s22, -1
	s_addk_i32 s21, 0xff80
	s_add_i32 s19, s19, 16
	s_cmp_eq_u32 s22, 0
	s_waitcnt vmcnt(4) lgkmcnt(0)
	v_mul_f64 v[18:19], v[2:3], v[12:13]
	v_mul_f64 v[12:13], v[0:1], v[12:13]
	v_fma_f64 v[18:19], v[0:1], v[10:11], -v[18:19]
	v_fma_f64 v[10:11], v[2:3], v[10:11], v[12:13]
	s_waitcnt vmcnt(2)
	v_add_f64 v[12:13], v[14:15], -v[18:19]
	s_waitcnt vmcnt(0)
	v_add_f64 v[10:11], v[16:17], -v[10:11]
	buffer_store_dword v12, v20, s[0:3], 0 offen
	buffer_store_dword v13, v20, s[0:3], 0 offen offset:4
	buffer_store_dword v10, v20, s[0:3], 0 offen offset:8
	;; [unrolled: 1-line block ×3, first 2 shown]
	s_cbranch_scc0 .LBB207_22
; %bb.23:                               ;   in Loop: Header=BB207_21 Depth=3
	s_add_i32 s18, s18, -1
	s_add_i32 s20, s20, -16
	s_cmp_le_i32 s18, s16
	s_cbranch_scc0 .LBB207_21
.LBB207_24:                             ;   in Loop: Header=BB207_18 Depth=2
	s_mov_b32 s35, 0
	s_mov_b32 s36, s33
	s_branch .LBB207_26
.LBB207_25:                             ;   in Loop: Header=BB207_26 Depth=3
	s_mulk_i32 s20, 0x90
	v_mov_b32_e32 v10, s20
	ds_read_b128 v[10:13], v10
	s_lshl_b64 s[18:19], s[18:19], 4
	s_lshl_b32 s20, s35, 4
	s_add_i32 s35, s35, 1
	s_addk_i32 s36, 0xff80
	s_waitcnt vmcnt(0) lgkmcnt(0)
	v_mul_f64 v[14:15], v[12:13], v[2:3]
	v_mul_f64 v[2:3], v[10:11], v[2:3]
	v_mov_b32_e32 v16, s20
	s_cmp_eq_u32 s35, s29
	v_fma_f64 v[10:11], v[10:11], v[0:1], -v[14:15]
	v_fma_f64 v[12:13], v[12:13], v[0:1], v[2:3]
	v_mov_b32_e32 v14, s19
	v_add_co_u32_e32 v0, vcc, s18, v6
	v_addc_co_u32_e32 v1, vcc, v7, v14, vcc
	buffer_store_dword v11, v16, s[0:3], 0 offen offset:4
	buffer_store_dword v10, v16, s[0:3], 0 offen
	buffer_store_dword v13, v16, s[0:3], 0 offen offset:12
	buffer_store_dword v12, v16, s[0:3], 0 offen offset:8
	global_store_dwordx4 v[0:1], v[10:13], off
	s_cbranch_scc1 .LBB207_17
.LBB207_26:                             ;   Parent Loop BB207_15 Depth=1
                                        ;     Parent Loop BB207_18 Depth=2
                                        ; =>    This Loop Header: Depth=3
                                        ;         Child Loop BB207_28 Depth 4
	s_cmp_lg_u32 s35, 0
	s_cbranch_scc0 .LBB207_30
; %bb.27:                               ;   in Loop: Header=BB207_26 Depth=3
	s_lshl_b32 s18, s35, 4
	v_mov_b32_e32 v10, s18
	buffer_load_dword v0, v10, s[0:3], 0 offen
	buffer_load_dword v1, v10, s[0:3], 0 offen offset:4
	buffer_load_dword v2, v10, s[0:3], 0 offen offset:8
	buffer_load_dword v3, v10, s[0:3], 0 offen offset:12
	s_mov_b32 s19, 0
	s_mov_b32 s20, s36
	;; [unrolled: 1-line block ×3, first 2 shown]
.LBB207_28:                             ;   Parent Loop BB207_15 Depth=1
                                        ;     Parent Loop BB207_18 Depth=2
                                        ;       Parent Loop BB207_26 Depth=3
                                        ; =>      This Inner Loop Header: Depth=4
	v_mov_b32_e32 v10, s19
	buffer_load_dword v14, v10, s[0:3], 0 offen offset:8
	buffer_load_dword v15, v10, s[0:3], 0 offen offset:12
	buffer_load_dword v16, v10, s[0:3], 0 offen
	buffer_load_dword v17, v10, s[0:3], 0 offen offset:4
	v_mov_b32_e32 v10, s20
	ds_read_b128 v[10:13], v10
	s_add_i32 s21, s21, -1
	s_add_i32 s20, s20, -16
	s_add_i32 s19, s19, 16
	s_cmp_eq_u32 s21, 0
	s_waitcnt vmcnt(2) lgkmcnt(0)
	v_mul_f64 v[18:19], v[12:13], v[14:15]
	v_mul_f64 v[14:15], v[10:11], v[14:15]
	s_waitcnt vmcnt(0)
	v_fma_f64 v[10:11], v[10:11], v[16:17], -v[18:19]
	v_fma_f64 v[12:13], v[12:13], v[16:17], v[14:15]
	v_mov_b32_e32 v14, s18
	v_add_f64 v[0:1], v[0:1], -v[10:11]
	v_add_f64 v[2:3], v[2:3], -v[12:13]
	buffer_store_dword v0, v14, s[0:3], 0 offen
	buffer_store_dword v1, v14, s[0:3], 0 offen offset:4
	buffer_store_dword v2, v14, s[0:3], 0 offen offset:8
	;; [unrolled: 1-line block ×3, first 2 shown]
	s_cbranch_scc0 .LBB207_28
; %bb.29:                               ;   in Loop: Header=BB207_26 Depth=3
	s_sub_i32 s20, s16, s35
	s_ashr_i32 s21, s20, 31
	s_mov_b64 s[18:19], s[20:21]
	s_branch .LBB207_25
.LBB207_30:                             ;   in Loop: Header=BB207_26 Depth=3
                                        ; implicit-def: $vgpr0_vgpr1
                                        ; implicit-def: $vgpr2_vgpr3
                                        ; implicit-def: $sgpr20
                                        ; implicit-def: $sgpr18_sgpr19
	s_cbranch_execz .LBB207_25
; %bb.31:                               ;   in Loop: Header=BB207_26 Depth=3
	buffer_load_dword v0, off, s[0:3], 0
	buffer_load_dword v1, off, s[0:3], 0 offset:4
	buffer_load_dword v2, off, s[0:3], 0 offset:8
	;; [unrolled: 1-line block ×3, first 2 shown]
	s_mov_b64 s[18:19], s[16:17]
	s_mov_b32 s20, s16
	s_branch .LBB207_25
.LBB207_32:
	s_mov_b64 s[8:9], 0
.LBB207_33:
	s_and_b64 vcc, exec, s[8:9]
	s_cbranch_vccz .LBB207_54
; %bb.34:
	s_add_u32 s6, s10, s6
	s_addc_u32 s7, s11, s7
	s_add_u32 s4, s6, s4
	s_addc_u32 s5, s7, s5
	v_mov_b32_e32 v0, s5
	v_add_co_u32_e32 v1, vcc, s4, v4
	v_addc_co_u32_e32 v0, vcc, v0, v5, vcc
	v_add_co_u32_e32 v8, vcc, 8, v1
	s_mov_b32 s5, 0
	v_addc_co_u32_e32 v9, vcc, 0, v0, vcc
	s_mov_b32 s6, s5
	s_mov_b32 s8, s5
	s_branch .LBB207_36
.LBB207_35:                             ;   in Loop: Header=BB207_36 Depth=1
	s_cmp_ge_i32 s6, s28
	s_cselect_b64 s[10:11], -1, 0
	s_add_i32 s8, s8, 1
	s_cmp_eq_u32 s8, 3
	s_cselect_b64 s[16:17], -1, 0
	s_or_b64 s[10:11], s[10:11], s[16:17]
	s_and_b64 vcc, exec, s[10:11]
	s_cbranch_vccnz .LBB207_54
.LBB207_36:                             ; =>This Loop Header: Depth=1
                                        ;     Child Loop BB207_39 Depth 2
                                        ;       Child Loop BB207_40 Depth 3
                                        ;       Child Loop BB207_43 Depth 3
                                        ;         Child Loop BB207_44 Depth 4
                                        ;       Child Loop BB207_48 Depth 3
                                        ;         Child Loop BB207_50 Depth 4
	s_mov_b32 s9, s5
	s_lshl_b64 s[10:11], s[8:9], 2
	s_getpc_b64 s[16:17]
	s_add_u32 s16, s16, __const._ZL30rocblas_trsm_small_left_deviceILi8ELi8ELb1E19rocblas_complex_numIdES1_PKS1_PS1_Ev13rocblas_fill_18rocblas_operation_17rocblas_diagonal_iiT3_T4_lilT5_lili.step_sizes@rel32@lo+4
	s_addc_u32 s17, s17, __const._ZL30rocblas_trsm_small_left_deviceILi8ELi8ELb1E19rocblas_complex_numIdES1_PKS1_PS1_Ev13rocblas_fill_18rocblas_operation_17rocblas_diagonal_iiT3_T4_lilT5_lili.step_sizes@rel32@hi+12
	s_add_u32 s10, s16, s10
	s_addc_u32 s11, s17, s11
	s_load_dword s10, s[10:11], 0x0
	s_waitcnt lgkmcnt(0)
	s_add_i32 s9, s10, -1
	s_add_i32 s4, s9, s6
	s_cmp_ge_i32 s4, s28
	s_cbranch_scc1 .LBB207_35
; %bb.37:                               ;   in Loop: Header=BB207_36 Depth=1
	s_ashr_i32 s7, s6, 31
	s_lshl_b64 s[16:17], s[6:7], 4
	v_mov_b32_e32 v0, s17
	v_add_co_u32_e32 v4, vcc, s16, v8
	s_ashr_i32 s11, s10, 31
	s_max_i32 s20, s10, 1
	v_addc_co_u32_e32 v5, vcc, v9, v0, vcc
	s_lshl_b64 s[16:17], s[10:11], 4
	s_lshl_b32 s7, s6, 4
	s_lshl_b32 s11, s10, 4
	s_mul_i32 s21, s6, 0x90
	s_mul_i32 s22, s10, 0x90
	s_branch .LBB207_39
.LBB207_38:                             ;   in Loop: Header=BB207_39 Depth=2
	s_add_i32 s6, s6, s10
	s_add_i32 s4, s9, s6
	v_mov_b32_e32 v0, s17
	s_add_i32 s7, s7, s11
	s_add_i32 s21, s21, s22
	v_add_co_u32_e32 v4, vcc, s16, v4
	s_cmp_ge_i32 s4, s28
	v_addc_co_u32_e32 v5, vcc, v5, v0, vcc
	s_cbranch_scc1 .LBB207_35
.LBB207_39:                             ;   Parent Loop BB207_36 Depth=1
                                        ; =>  This Loop Header: Depth=2
                                        ;       Child Loop BB207_40 Depth 3
                                        ;       Child Loop BB207_43 Depth 3
                                        ;         Child Loop BB207_44 Depth 4
                                        ;       Child Loop BB207_48 Depth 3
                                        ;         Child Loop BB207_50 Depth 4
	v_mov_b32_e32 v0, v4
	s_mov_b32 s4, 0
	v_mov_b32_e32 v1, v5
	s_mov_b32 s18, s20
.LBB207_40:                             ;   Parent Loop BB207_36 Depth=1
                                        ;     Parent Loop BB207_39 Depth=2
                                        ; =>    This Inner Loop Header: Depth=3
	global_load_dwordx4 v[10:13], v[0:1], off offset:-8
	v_mov_b32_e32 v14, s4
	s_add_i32 s18, s18, -1
	v_add_co_u32_e32 v0, vcc, 16, v0
	s_add_i32 s4, s4, 16
	v_addc_co_u32_e32 v1, vcc, 0, v1, vcc
	s_cmp_eq_u32 s18, 0
	s_waitcnt vmcnt(0)
	v_mul_f64 v[2:3], s[14:15], v[12:13]
	v_mul_f64 v[12:13], s[12:13], v[12:13]
	v_fma_f64 v[2:3], s[12:13], v[10:11], -v[2:3]
	v_fma_f64 v[10:11], s[14:15], v[10:11], v[12:13]
	buffer_store_dword v3, v14, s[0:3], 0 offen offset:4
	buffer_store_dword v2, v14, s[0:3], 0 offen
	buffer_store_dword v11, v14, s[0:3], 0 offen offset:12
	buffer_store_dword v10, v14, s[0:3], 0 offen offset:8
	s_cbranch_scc0 .LBB207_40
; %bb.41:                               ;   in Loop: Header=BB207_39 Depth=2
	s_cmp_lt_i32 s6, 1
	s_cbranch_scc1 .LBB207_46
; %bb.42:                               ;   in Loop: Header=BB207_39 Depth=2
	s_mov_b32 s4, 0
	s_mov_b32 s18, s7
.LBB207_43:                             ;   Parent Loop BB207_36 Depth=1
                                        ;     Parent Loop BB207_39 Depth=2
                                        ; =>    This Loop Header: Depth=3
                                        ;         Child Loop BB207_44 Depth 4
	s_lshl_b64 s[24:25], s[4:5], 4
	v_mov_b32_e32 v1, s25
	v_add_co_u32_e32 v0, vcc, s24, v6
	v_addc_co_u32_e32 v1, vcc, v7, v1, vcc
	global_load_dwordx4 v[0:3], v[0:1], off
	s_mov_b32 s19, 0
	s_mov_b32 s23, s18
	;; [unrolled: 1-line block ×3, first 2 shown]
.LBB207_44:                             ;   Parent Loop BB207_36 Depth=1
                                        ;     Parent Loop BB207_39 Depth=2
                                        ;       Parent Loop BB207_43 Depth=3
                                        ; =>      This Inner Loop Header: Depth=4
	v_mov_b32_e32 v20, s19
	buffer_load_dword v14, v20, s[0:3], 0 offen
	buffer_load_dword v15, v20, s[0:3], 0 offen offset:4
	buffer_load_dword v16, v20, s[0:3], 0 offen offset:8
	;; [unrolled: 1-line block ×3, first 2 shown]
	v_mov_b32_e32 v10, s23
	ds_read_b128 v[10:13], v10
	s_add_i32 s24, s24, -1
	s_add_i32 s23, s23, 16
	s_add_i32 s19, s19, 16
	s_cmp_eq_u32 s24, 0
	s_waitcnt vmcnt(4) lgkmcnt(0)
	v_mul_f64 v[18:19], v[2:3], v[12:13]
	v_mul_f64 v[12:13], v[0:1], v[12:13]
	v_fma_f64 v[18:19], v[0:1], v[10:11], -v[18:19]
	v_fma_f64 v[10:11], v[2:3], v[10:11], v[12:13]
	s_waitcnt vmcnt(2)
	v_add_f64 v[12:13], v[14:15], -v[18:19]
	s_waitcnt vmcnt(0)
	v_add_f64 v[10:11], v[16:17], -v[10:11]
	buffer_store_dword v12, v20, s[0:3], 0 offen
	buffer_store_dword v13, v20, s[0:3], 0 offen offset:4
	buffer_store_dword v10, v20, s[0:3], 0 offen offset:8
	;; [unrolled: 1-line block ×3, first 2 shown]
	s_cbranch_scc0 .LBB207_44
; %bb.45:                               ;   in Loop: Header=BB207_43 Depth=3
	s_add_i32 s4, s4, 1
	s_addk_i32 s18, 0x80
	s_cmp_eq_u32 s4, s6
	s_cbranch_scc0 .LBB207_43
.LBB207_46:                             ;   in Loop: Header=BB207_39 Depth=2
	s_mov_b32 s4, 0
	s_mov_b32 s23, s21
	s_branch .LBB207_48
.LBB207_47:                             ;   in Loop: Header=BB207_48 Depth=3
	s_add_i32 s18, s4, s6
	s_mul_i32 s19, s18, 0x90
	v_mov_b32_e32 v10, s19
	ds_read_b128 v[10:13], v10
	s_lshl_b32 s19, s4, 4
	v_mov_b32_e32 v16, s19
	s_ashr_i32 s19, s18, 31
	s_lshl_b64 s[18:19], s[18:19], 4
	s_waitcnt vmcnt(0) lgkmcnt(0)
	v_mul_f64 v[14:15], v[12:13], v[2:3]
	v_mul_f64 v[2:3], v[10:11], v[2:3]
	s_add_i32 s4, s4, 1
	s_add_i32 s23, s23, 16
	s_cmp_eq_u32 s4, s20
	v_fma_f64 v[10:11], v[10:11], v[0:1], -v[14:15]
	v_fma_f64 v[12:13], v[12:13], v[0:1], v[2:3]
	v_mov_b32_e32 v14, s19
	v_add_co_u32_e32 v0, vcc, s18, v6
	v_addc_co_u32_e32 v1, vcc, v7, v14, vcc
	buffer_store_dword v11, v16, s[0:3], 0 offen offset:4
	buffer_store_dword v10, v16, s[0:3], 0 offen
	buffer_store_dword v13, v16, s[0:3], 0 offen offset:12
	buffer_store_dword v12, v16, s[0:3], 0 offen offset:8
	global_store_dwordx4 v[0:1], v[10:13], off
	s_cbranch_scc1 .LBB207_38
.LBB207_48:                             ;   Parent Loop BB207_36 Depth=1
                                        ;     Parent Loop BB207_39 Depth=2
                                        ; =>    This Loop Header: Depth=3
                                        ;         Child Loop BB207_50 Depth 4
	s_cmp_lg_u32 s4, 0
	s_cbranch_scc0 .LBB207_52
; %bb.49:                               ;   in Loop: Header=BB207_48 Depth=3
	s_lshl_b32 s18, s4, 4
	v_mov_b32_e32 v10, s18
	buffer_load_dword v0, v10, s[0:3], 0 offen
	buffer_load_dword v1, v10, s[0:3], 0 offen offset:4
	buffer_load_dword v2, v10, s[0:3], 0 offen offset:8
	buffer_load_dword v3, v10, s[0:3], 0 offen offset:12
	s_mov_b32 s19, 0
	s_mov_b32 s24, s23
	;; [unrolled: 1-line block ×3, first 2 shown]
.LBB207_50:                             ;   Parent Loop BB207_36 Depth=1
                                        ;     Parent Loop BB207_39 Depth=2
                                        ;       Parent Loop BB207_48 Depth=3
                                        ; =>      This Inner Loop Header: Depth=4
	v_mov_b32_e32 v10, s19
	buffer_load_dword v14, v10, s[0:3], 0 offen offset:8
	buffer_load_dword v15, v10, s[0:3], 0 offen offset:12
	buffer_load_dword v16, v10, s[0:3], 0 offen
	buffer_load_dword v17, v10, s[0:3], 0 offen offset:4
	v_mov_b32_e32 v10, s24
	ds_read_b128 v[10:13], v10
	s_add_i32 s25, s25, -1
	s_addk_i32 s24, 0x80
	s_add_i32 s19, s19, 16
	s_cmp_eq_u32 s25, 0
	s_waitcnt vmcnt(2) lgkmcnt(0)
	v_mul_f64 v[18:19], v[12:13], v[14:15]
	v_mul_f64 v[14:15], v[10:11], v[14:15]
	s_waitcnt vmcnt(0)
	v_fma_f64 v[10:11], v[10:11], v[16:17], -v[18:19]
	v_fma_f64 v[12:13], v[12:13], v[16:17], v[14:15]
	v_mov_b32_e32 v14, s18
	v_add_f64 v[0:1], v[0:1], -v[10:11]
	v_add_f64 v[2:3], v[2:3], -v[12:13]
	buffer_store_dword v0, v14, s[0:3], 0 offen
	buffer_store_dword v1, v14, s[0:3], 0 offen offset:4
	buffer_store_dword v2, v14, s[0:3], 0 offen offset:8
	;; [unrolled: 1-line block ×3, first 2 shown]
	s_cbranch_scc0 .LBB207_50
; %bb.51:                               ;   in Loop: Header=BB207_48 Depth=3
	s_branch .LBB207_47
.LBB207_52:                             ;   in Loop: Header=BB207_48 Depth=3
                                        ; implicit-def: $vgpr0_vgpr1
                                        ; implicit-def: $vgpr2_vgpr3
	s_cbranch_execz .LBB207_47
; %bb.53:                               ;   in Loop: Header=BB207_48 Depth=3
	buffer_load_dword v0, off, s[0:3], 0
	buffer_load_dword v1, off, s[0:3], 0 offset:4
	buffer_load_dword v2, off, s[0:3], 0 offset:8
	;; [unrolled: 1-line block ×3, first 2 shown]
	s_branch .LBB207_47
.LBB207_54:
	s_endpgm
	.section	.rodata,"a",@progbits
	.p2align	6, 0x0
	.amdhsa_kernel _ZL30rocblas_trsm_small_left_deviceILi8ELi8ELb1E19rocblas_complex_numIdES1_PKS1_PS1_Ev13rocblas_fill_18rocblas_operation_17rocblas_diagonal_iiT3_T4_lilT5_lili
		.amdhsa_group_segment_fixed_size 1024
		.amdhsa_private_segment_fixed_size 144
		.amdhsa_kernarg_size 368
		.amdhsa_user_sgpr_count 6
		.amdhsa_user_sgpr_private_segment_buffer 1
		.amdhsa_user_sgpr_dispatch_ptr 0
		.amdhsa_user_sgpr_queue_ptr 0
		.amdhsa_user_sgpr_kernarg_segment_ptr 1
		.amdhsa_user_sgpr_dispatch_id 0
		.amdhsa_user_sgpr_flat_scratch_init 0
		.amdhsa_user_sgpr_private_segment_size 0
		.amdhsa_uses_dynamic_stack 0
		.amdhsa_system_sgpr_private_segment_wavefront_offset 1
		.amdhsa_system_sgpr_workgroup_id_x 1
		.amdhsa_system_sgpr_workgroup_id_y 0
		.amdhsa_system_sgpr_workgroup_id_z 1
		.amdhsa_system_sgpr_workgroup_info 0
		.amdhsa_system_vgpr_workitem_id 0
		.amdhsa_next_free_vgpr 21
		.amdhsa_next_free_sgpr 37
		.amdhsa_reserve_vcc 1
		.amdhsa_reserve_flat_scratch 0
		.amdhsa_float_round_mode_32 0
		.amdhsa_float_round_mode_16_64 0
		.amdhsa_float_denorm_mode_32 3
		.amdhsa_float_denorm_mode_16_64 3
		.amdhsa_dx10_clamp 1
		.amdhsa_ieee_mode 1
		.amdhsa_fp16_overflow 0
		.amdhsa_exception_fp_ieee_invalid_op 0
		.amdhsa_exception_fp_denorm_src 0
		.amdhsa_exception_fp_ieee_div_zero 0
		.amdhsa_exception_fp_ieee_overflow 0
		.amdhsa_exception_fp_ieee_underflow 0
		.amdhsa_exception_fp_ieee_inexact 0
		.amdhsa_exception_int_div_zero 0
	.end_amdhsa_kernel
	.section	.text._ZL30rocblas_trsm_small_left_deviceILi8ELi8ELb1E19rocblas_complex_numIdES1_PKS1_PS1_Ev13rocblas_fill_18rocblas_operation_17rocblas_diagonal_iiT3_T4_lilT5_lili,"axG",@progbits,_ZL30rocblas_trsm_small_left_deviceILi8ELi8ELb1E19rocblas_complex_numIdES1_PKS1_PS1_Ev13rocblas_fill_18rocblas_operation_17rocblas_diagonal_iiT3_T4_lilT5_lili,comdat
.Lfunc_end207:
	.size	_ZL30rocblas_trsm_small_left_deviceILi8ELi8ELb1E19rocblas_complex_numIdES1_PKS1_PS1_Ev13rocblas_fill_18rocblas_operation_17rocblas_diagonal_iiT3_T4_lilT5_lili, .Lfunc_end207-_ZL30rocblas_trsm_small_left_deviceILi8ELi8ELb1E19rocblas_complex_numIdES1_PKS1_PS1_Ev13rocblas_fill_18rocblas_operation_17rocblas_diagonal_iiT3_T4_lilT5_lili
                                        ; -- End function
	.set _ZL30rocblas_trsm_small_left_deviceILi8ELi8ELb1E19rocblas_complex_numIdES1_PKS1_PS1_Ev13rocblas_fill_18rocblas_operation_17rocblas_diagonal_iiT3_T4_lilT5_lili.num_vgpr, 21
	.set _ZL30rocblas_trsm_small_left_deviceILi8ELi8ELb1E19rocblas_complex_numIdES1_PKS1_PS1_Ev13rocblas_fill_18rocblas_operation_17rocblas_diagonal_iiT3_T4_lilT5_lili.num_agpr, 0
	.set _ZL30rocblas_trsm_small_left_deviceILi8ELi8ELb1E19rocblas_complex_numIdES1_PKS1_PS1_Ev13rocblas_fill_18rocblas_operation_17rocblas_diagonal_iiT3_T4_lilT5_lili.numbered_sgpr, 37
	.set _ZL30rocblas_trsm_small_left_deviceILi8ELi8ELb1E19rocblas_complex_numIdES1_PKS1_PS1_Ev13rocblas_fill_18rocblas_operation_17rocblas_diagonal_iiT3_T4_lilT5_lili.num_named_barrier, 0
	.set _ZL30rocblas_trsm_small_left_deviceILi8ELi8ELb1E19rocblas_complex_numIdES1_PKS1_PS1_Ev13rocblas_fill_18rocblas_operation_17rocblas_diagonal_iiT3_T4_lilT5_lili.private_seg_size, 144
	.set _ZL30rocblas_trsm_small_left_deviceILi8ELi8ELb1E19rocblas_complex_numIdES1_PKS1_PS1_Ev13rocblas_fill_18rocblas_operation_17rocblas_diagonal_iiT3_T4_lilT5_lili.uses_vcc, 1
	.set _ZL30rocblas_trsm_small_left_deviceILi8ELi8ELb1E19rocblas_complex_numIdES1_PKS1_PS1_Ev13rocblas_fill_18rocblas_operation_17rocblas_diagonal_iiT3_T4_lilT5_lili.uses_flat_scratch, 0
	.set _ZL30rocblas_trsm_small_left_deviceILi8ELi8ELb1E19rocblas_complex_numIdES1_PKS1_PS1_Ev13rocblas_fill_18rocblas_operation_17rocblas_diagonal_iiT3_T4_lilT5_lili.has_dyn_sized_stack, 0
	.set _ZL30rocblas_trsm_small_left_deviceILi8ELi8ELb1E19rocblas_complex_numIdES1_PKS1_PS1_Ev13rocblas_fill_18rocblas_operation_17rocblas_diagonal_iiT3_T4_lilT5_lili.has_recursion, 0
	.set _ZL30rocblas_trsm_small_left_deviceILi8ELi8ELb1E19rocblas_complex_numIdES1_PKS1_PS1_Ev13rocblas_fill_18rocblas_operation_17rocblas_diagonal_iiT3_T4_lilT5_lili.has_indirect_call, 0
	.section	.AMDGPU.csdata,"",@progbits
; Kernel info:
; codeLenInByte = 2940
; TotalNumSgprs: 41
; NumVgprs: 21
; ScratchSize: 144
; MemoryBound: 0
; FloatMode: 240
; IeeeMode: 1
; LDSByteSize: 1024 bytes/workgroup (compile time only)
; SGPRBlocks: 5
; VGPRBlocks: 5
; NumSGPRsForWavesPerEU: 41
; NumVGPRsForWavesPerEU: 21
; Occupancy: 10
; WaveLimiterHint : 0
; COMPUTE_PGM_RSRC2:SCRATCH_EN: 1
; COMPUTE_PGM_RSRC2:USER_SGPR: 6
; COMPUTE_PGM_RSRC2:TRAP_HANDLER: 0
; COMPUTE_PGM_RSRC2:TGID_X_EN: 1
; COMPUTE_PGM_RSRC2:TGID_Y_EN: 0
; COMPUTE_PGM_RSRC2:TGID_Z_EN: 1
; COMPUTE_PGM_RSRC2:TIDIG_COMP_CNT: 0
	.section	.text._ZL31rocblas_trsm_small_right_deviceI19rocblas_complex_numIdES1_PKS1_PS1_Li8EEv13rocblas_fill_18rocblas_operation_17rocblas_diagonal_iiT0_T1_lilT2_lili,"axG",@progbits,_ZL31rocblas_trsm_small_right_deviceI19rocblas_complex_numIdES1_PKS1_PS1_Li8EEv13rocblas_fill_18rocblas_operation_17rocblas_diagonal_iiT0_T1_lilT2_lili,comdat
	.globl	_ZL31rocblas_trsm_small_right_deviceI19rocblas_complex_numIdES1_PKS1_PS1_Li8EEv13rocblas_fill_18rocblas_operation_17rocblas_diagonal_iiT0_T1_lilT2_lili ; -- Begin function _ZL31rocblas_trsm_small_right_deviceI19rocblas_complex_numIdES1_PKS1_PS1_Li8EEv13rocblas_fill_18rocblas_operation_17rocblas_diagonal_iiT0_T1_lilT2_lili
	.p2align	8
	.type	_ZL31rocblas_trsm_small_right_deviceI19rocblas_complex_numIdES1_PKS1_PS1_Li8EEv13rocblas_fill_18rocblas_operation_17rocblas_diagonal_iiT0_T1_lilT2_lili,@function
_ZL31rocblas_trsm_small_right_deviceI19rocblas_complex_numIdES1_PKS1_PS1_Li8EEv13rocblas_fill_18rocblas_operation_17rocblas_diagonal_iiT0_T1_lilT2_lili: ; @_ZL31rocblas_trsm_small_right_deviceI19rocblas_complex_numIdES1_PKS1_PS1_Li8EEv13rocblas_fill_18rocblas_operation_17rocblas_diagonal_iiT0_T1_lilT2_lili
; %bb.0:
	s_load_dwordx4 s[16:19], s[4:5], 0x0
	s_load_dword s24, s[4:5], 0x10
	s_load_dwordx8 s[8:15], s[4:5], 0x18
	s_load_dwordx2 s[20:21], s[4:5], 0x50
	s_load_dwordx4 s[0:3], s[4:5], 0x40
	s_waitcnt lgkmcnt(0)
	s_min_i32 s25, s24, 8
	v_cmp_gt_i32_e32 vcc, s25, v0
	s_and_saveexec_b64 s[22:23], vcc
	s_cbranch_execz .LBB208_5
; %bb.1:
	s_load_dword s26, s[4:5], 0x38
	s_mul_i32 s1, s1, s7
	s_mul_hi_u32 s28, s0, s7
	s_mul_i32 s0, s0, s7
	v_lshlrev_b32_e32 v3, 4, v0
	s_waitcnt lgkmcnt(0)
	s_ashr_i32 s27, s26, 31
	s_cmpk_eq_i32 s17, 0x71
	s_cselect_b64 vcc, -1, 0
	s_add_i32 s1, s28, s1
	s_lshl_b64 s[0:1], s[0:1], 4
	s_lshl_b64 s[14:15], s[14:15], 4
	s_add_u32 s0, s0, s14
	s_addc_u32 s1, s1, s15
	s_add_u32 s0, s12, s0
	s_addc_u32 s1, s13, s1
	v_mov_b32_e32 v1, s1
	v_add_co_u32_e64 v2, s[0:1], s0, v3
	v_addc_co_u32_e64 v4, s[0:1], 0, v1, s[0:1]
	v_add_co_u32_e64 v1, s[0:1], 8, v2
	s_lshl_b64 s[12:13], s[26:27], 4
	v_addc_co_u32_e64 v2, s[0:1], 0, v4, s[0:1]
	v_mov_b32_e32 v4, s13
	v_mov_b32_e32 v5, v3
	s_mov_b32 s13, s25
.LBB208_2:                              ; =>This Inner Loop Header: Depth=1
	global_load_dwordx4 v[6:9], v[1:2], off offset:-8
	s_add_i32 s13, s13, -1
	v_add_co_u32_e64 v1, s[0:1], s12, v1
	v_addc_co_u32_e64 v2, s[0:1], v2, v4, s[0:1]
	s_cmp_eq_u32 s13, 0
	s_waitcnt vmcnt(0)
	v_xor_b32_e32 v10, 0x80000000, v9
	v_cndmask_b32_e32 v9, v9, v10, vcc
	ds_write_b128 v5, v[6:9]
	v_add_u32_e32 v5, 0x80, v5
	s_cbranch_scc0 .LBB208_2
; %bb.3:
	s_cmpk_eq_i32 s18, 0x84
	s_cbranch_scc0 .LBB208_5
; %bb.4:
	v_mov_b32_e32 v1, 0
	v_lshl_or_b32 v5, v0, 7, v3
	v_mov_b32_e32 v2, 0x3ff00000
	v_mov_b32_e32 v3, v1
	;; [unrolled: 1-line block ×3, first 2 shown]
	ds_write_b128 v5, v[1:4]
.LBB208_5:
	s_or_b64 exec, exec, s[22:23]
	s_load_dword s0, s[4:5], 0x70
	s_load_dwordx2 s[14:15], s[4:5], 0x60
	s_load_dword s12, s[4:5], 0x58
	s_waitcnt lgkmcnt(0)
	s_add_i32 s0, s0, -1
	s_mul_i32 s1, s15, s7
	s_mul_hi_u32 s5, s14, s7
	s_add_i32 s5, s5, s1
	s_lshl_b32 s1, s6, 3
	s_sub_i32 s1, s19, s1
	s_cmp_ge_u32 s6, s0
	s_mul_i32 s4, s14, s7
	s_cselect_b32 s0, s1, 8
	s_ashr_i32 s7, s6, 31
	s_lshl_b64 s[6:7], s[6:7], 7
	v_cmp_gt_i32_e64 s[0:1], s0, v0
	s_and_saveexec_b64 s[14:15], s[0:1]
	s_cbranch_execz .LBB208_9
; %bb.6:
	s_cmp_lt_i32 s24, 1
	s_cbranch_scc1 .LBB208_9
; %bb.7:
	s_ashr_i32 s13, s12, 31
	s_lshl_b64 s[18:19], s[4:5], 4
	s_add_u32 s22, s18, s6
	s_addc_u32 s23, s19, s7
	s_lshl_b64 s[18:19], s[20:21], 4
	s_add_u32 s18, s22, s18
	s_addc_u32 s19, s23, s19
	s_add_u32 s18, s2, s18
	v_lshlrev_b32_e32 v3, 4, v0
	s_addc_u32 s19, s3, s19
	v_mov_b32_e32 v1, s19
	v_add_co_u32_e32 v2, vcc, s18, v3
	v_addc_co_u32_e32 v4, vcc, 0, v1, vcc
	v_add_co_u32_e32 v1, vcc, 8, v2
	s_lshl_b64 s[18:19], s[12:13], 4
	v_addc_co_u32_e32 v2, vcc, 0, v4, vcc
	v_or_b32_e32 v3, 0x400, v3
	v_mov_b32_e32 v4, s19
	s_mov_b32 s13, s24
.LBB208_8:                              ; =>This Inner Loop Header: Depth=1
	global_load_dwordx4 v[5:8], v[1:2], off offset:-8
	s_add_i32 s13, s13, -1
	v_add_co_u32_e32 v1, vcc, s18, v1
	v_addc_co_u32_e32 v2, vcc, v2, v4, vcc
	s_cmp_lg_u32 s13, 0
	s_waitcnt vmcnt(0)
	v_mul_f64 v[9:10], s[10:11], v[7:8]
	v_mul_f64 v[11:12], s[8:9], v[7:8]
	v_fma_f64 v[7:8], s[8:9], v[5:6], -v[9:10]
	v_fma_f64 v[9:10], s[10:11], v[5:6], v[11:12]
	ds_write_b128 v3, v[7:10]
	v_add_u32_e32 v3, 0x80, v3
	s_cbranch_scc1 .LBB208_8
.LBB208_9:
	s_or_b64 exec, exec, s[14:15]
	s_cmpk_eq_i32 s17, 0x6f
	s_cselect_b64 s[8:9], -1, 0
	s_cmpk_lg_i32 s16, 0x79
	s_cselect_b64 s[10:11], -1, 0
	s_cmpk_eq_i32 s16, 0x79
	s_cselect_b64 s[14:15], -1, 0
	s_and_b64 s[14:15], s[14:15], s[8:9]
	s_andn2_b64 vcc, exec, s[14:15]
	s_mov_b64 s[14:15], -1
	s_waitcnt lgkmcnt(0)
	; wave barrier
	s_cbranch_vccz .LBB208_110
; %bb.10:
	s_cmpk_lg_i32 s16, 0x7a
	s_cselect_b64 s[16:17], -1, 0
	s_xor_b64 s[8:9], s[8:9], -1
	s_add_i32 s13, s25, -1
	s_or_b64 s[16:17], s[16:17], s[8:9]
	v_mov_b32_e32 v1, 0x400
	s_cmp_gt_i32 s24, 3
	v_lshl_or_b32 v25, v0, 4, v1
	s_cselect_b64 s[8:9], -1, 0
	s_and_b64 vcc, exec, s[16:17]
	s_cbranch_vccz .LBB208_77
; %bb.11:
	s_andn2_b64 vcc, exec, s[10:11]
	s_mov_b64 s[10:11], -1
	s_cbranch_vccnz .LBB208_44
; %bb.12:
	s_andn2_b64 vcc, exec, s[8:9]
	s_mov_b32 s16, 0
	s_cbranch_vccnz .LBB208_34
; %bb.13:
	v_mov_b32_e32 v1, 0x400
	v_lshl_or_b32 v26, v0, 4, v1
	s_mov_b32 s14, 0
	s_mov_b32 s15, 0
.LBB208_14:                             ; =>This Loop Header: Depth=1
                                        ;     Child Loop BB208_15 Depth 2
	s_lshl_b32 s10, s15, 7
	s_or_b32 s16, s15, 2
	v_add_u32_e32 v30, s10, v25
	s_or_b32 s17, s15, 1
	v_lshl_add_u32 v28, s16, 7, v25
	s_or_b32 s11, s10, 0x180
	v_lshl_add_u32 v29, s17, 7, v25
	ds_read_b128 v[17:20], v30
	ds_read_b128 v[13:16], v29
	v_add_u32_e32 v27, s11, v25
	ds_read_b128 v[5:8], v28
	ds_read_b128 v[1:4], v27
	s_cmp_eq_u32 s15, 0
	v_mov_b32_e32 v9, v26
	s_mov_b32 s11, s14
	s_mov_b32 s18, s15
	s_cbranch_scc1 .LBB208_16
.LBB208_15:                             ;   Parent Loop BB208_14 Depth=1
                                        ; =>  This Inner Loop Header: Depth=2
	ds_read_b128 v[21:24], v9
	v_mov_b32_e32 v10, s11
	ds_read_b128 v[31:34], v10
	ds_read_b128 v[35:38], v10 offset:16
	ds_read_b128 v[39:42], v10 offset:32
	;; [unrolled: 1-line block ×3, first 2 shown]
	s_add_i32 s18, s18, -1
	s_addk_i32 s11, 0x80
	s_waitcnt lgkmcnt(3)
	v_mul_f64 v[10:11], v[23:24], v[33:34]
	v_mul_f64 v[33:34], v[21:22], v[33:34]
	v_add_u32_e32 v9, 0x80, v9
	s_cmp_eq_u32 s18, 0
	v_fma_f64 v[10:11], v[21:22], v[31:32], -v[10:11]
	v_fma_f64 v[31:32], v[23:24], v[31:32], v[33:34]
	v_add_f64 v[17:18], v[17:18], -v[10:11]
	s_waitcnt lgkmcnt(2)
	v_mul_f64 v[10:11], v[23:24], v[37:38]
	v_add_f64 v[19:20], v[19:20], -v[31:32]
	v_mul_f64 v[31:32], v[21:22], v[37:38]
	v_fma_f64 v[10:11], v[21:22], v[35:36], -v[10:11]
	v_fma_f64 v[31:32], v[23:24], v[35:36], v[31:32]
	v_add_f64 v[13:14], v[13:14], -v[10:11]
	s_waitcnt lgkmcnt(1)
	v_mul_f64 v[10:11], v[23:24], v[41:42]
	v_add_f64 v[15:16], v[15:16], -v[31:32]
	v_mul_f64 v[31:32], v[21:22], v[41:42]
	v_fma_f64 v[10:11], v[21:22], v[39:40], -v[10:11]
	v_fma_f64 v[31:32], v[23:24], v[39:40], v[31:32]
	v_add_f64 v[5:6], v[5:6], -v[10:11]
	s_waitcnt lgkmcnt(0)
	v_mul_f64 v[10:11], v[23:24], v[45:46]
	v_add_f64 v[7:8], v[7:8], -v[31:32]
	v_fma_f64 v[10:11], v[21:22], v[43:44], -v[10:11]
	v_mul_f64 v[21:22], v[21:22], v[45:46]
	v_add_f64 v[1:2], v[1:2], -v[10:11]
	v_fma_f64 v[21:22], v[23:24], v[43:44], v[21:22]
	v_add_f64 v[3:4], v[3:4], -v[21:22]
	s_cbranch_scc0 .LBB208_15
.LBB208_16:                             ;   in Loop: Header=BB208_14 Depth=1
	s_lshl_b32 s18, s15, 4
	s_add_i32 s19, s18, s10
	v_mov_b32_e32 v9, s19
	ds_read_b128 v[21:24], v9
	s_mov_b64 s[10:11], -1
                                        ; implicit-def: $vgpr11_vgpr12
	s_waitcnt lgkmcnt(0)
	v_cmp_ngt_f64_e64 s[22:23], |v[21:22]|, |v[23:24]|
	s_and_b64 vcc, exec, s[22:23]
	s_cbranch_vccz .LBB208_18
; %bb.17:                               ;   in Loop: Header=BB208_14 Depth=1
	v_div_scale_f64 v[9:10], s[10:11], v[23:24], v[23:24], v[21:22]
	v_rcp_f64_e32 v[11:12], v[9:10]
	v_fma_f64 v[31:32], -v[9:10], v[11:12], 1.0
	v_fma_f64 v[11:12], v[11:12], v[31:32], v[11:12]
	v_div_scale_f64 v[31:32], vcc, v[21:22], v[23:24], v[21:22]
	v_fma_f64 v[33:34], -v[9:10], v[11:12], 1.0
	v_fma_f64 v[11:12], v[11:12], v[33:34], v[11:12]
	v_mul_f64 v[33:34], v[31:32], v[11:12]
	v_fma_f64 v[9:10], -v[9:10], v[33:34], v[31:32]
	v_div_fmas_f64 v[9:10], v[9:10], v[11:12], v[33:34]
	v_div_fixup_f64 v[9:10], v[9:10], v[23:24], v[21:22]
	v_fma_f64 v[11:12], v[21:22], v[9:10], v[23:24]
	v_div_scale_f64 v[31:32], s[10:11], v[11:12], v[11:12], 1.0
	s_mov_b64 s[10:11], 0
	v_rcp_f64_e32 v[33:34], v[31:32]
	v_fma_f64 v[35:36], -v[31:32], v[33:34], 1.0
	v_fma_f64 v[33:34], v[33:34], v[35:36], v[33:34]
	v_div_scale_f64 v[35:36], vcc, 1.0, v[11:12], 1.0
	v_fma_f64 v[37:38], -v[31:32], v[33:34], 1.0
	v_fma_f64 v[33:34], v[33:34], v[37:38], v[33:34]
	v_mul_f64 v[37:38], v[35:36], v[33:34]
	v_fma_f64 v[31:32], -v[31:32], v[37:38], v[35:36]
	v_div_fmas_f64 v[31:32], v[31:32], v[33:34], v[37:38]
	v_fma_f64 v[33:34], v[17:18], v[9:10], v[19:20]
	v_div_fixup_f64 v[11:12], v[31:32], v[11:12], 1.0
	v_fma_f64 v[31:32], v[19:20], v[9:10], -v[17:18]
	v_mul_f64 v[9:10], v[33:34], v[11:12]
	v_mul_f64 v[11:12], v[31:32], v[11:12]
.LBB208_18:                             ;   in Loop: Header=BB208_14 Depth=1
	s_andn2_b64 vcc, exec, s[10:11]
	s_cbranch_vccnz .LBB208_20
; %bb.19:                               ;   in Loop: Header=BB208_14 Depth=1
	v_div_scale_f64 v[9:10], s[10:11], v[21:22], v[21:22], v[23:24]
	v_rcp_f64_e32 v[11:12], v[9:10]
	v_fma_f64 v[31:32], -v[9:10], v[11:12], 1.0
	v_fma_f64 v[11:12], v[11:12], v[31:32], v[11:12]
	v_div_scale_f64 v[31:32], vcc, v[23:24], v[21:22], v[23:24]
	v_fma_f64 v[33:34], -v[9:10], v[11:12], 1.0
	v_fma_f64 v[11:12], v[11:12], v[33:34], v[11:12]
	v_mul_f64 v[33:34], v[31:32], v[11:12]
	v_fma_f64 v[9:10], -v[9:10], v[33:34], v[31:32]
	v_div_fmas_f64 v[9:10], v[9:10], v[11:12], v[33:34]
	v_div_fixup_f64 v[9:10], v[9:10], v[21:22], v[23:24]
	v_fma_f64 v[11:12], v[23:24], v[9:10], v[21:22]
	v_div_scale_f64 v[21:22], s[10:11], v[11:12], v[11:12], 1.0
	v_rcp_f64_e32 v[23:24], v[21:22]
	v_fma_f64 v[31:32], -v[21:22], v[23:24], 1.0
	v_fma_f64 v[23:24], v[23:24], v[31:32], v[23:24]
	v_div_scale_f64 v[31:32], vcc, 1.0, v[11:12], 1.0
	v_fma_f64 v[33:34], -v[21:22], v[23:24], 1.0
	v_fma_f64 v[23:24], v[23:24], v[33:34], v[23:24]
	v_mul_f64 v[33:34], v[31:32], v[23:24]
	v_fma_f64 v[21:22], -v[21:22], v[33:34], v[31:32]
	v_div_fmas_f64 v[21:22], v[21:22], v[23:24], v[33:34]
	v_fma_f64 v[23:24], v[19:20], v[9:10], v[17:18]
	v_fma_f64 v[17:18], -v[17:18], v[9:10], v[19:20]
	v_div_fixup_f64 v[11:12], v[21:22], v[11:12], 1.0
	v_mul_f64 v[9:10], v[23:24], v[11:12]
	v_mul_f64 v[11:12], v[17:18], v[11:12]
.LBB208_20:                             ;   in Loop: Header=BB208_14 Depth=1
	v_mov_b32_e32 v17, s19
	ds_read_b128 v[21:24], v17 offset:16
	ds_read_b128 v[17:20], v17 offset:144
	s_mov_b64 s[10:11], -1
	ds_write_b128 v30, v[9:12]
	s_waitcnt lgkmcnt(2)
	v_mul_f64 v[31:32], v[11:12], v[23:24]
	v_mul_f64 v[23:24], v[9:10], v[23:24]
	s_waitcnt lgkmcnt(1)
	v_cmp_ngt_f64_e64 s[22:23], |v[17:18]|, |v[19:20]|
	v_fma_f64 v[31:32], v[9:10], v[21:22], -v[31:32]
	v_fma_f64 v[23:24], v[11:12], v[21:22], v[23:24]
	s_and_b64 vcc, exec, s[22:23]
	v_add_f64 v[21:22], v[13:14], -v[31:32]
	v_add_f64 v[23:24], v[15:16], -v[23:24]
                                        ; implicit-def: $vgpr15_vgpr16
	s_cbranch_vccz .LBB208_22
; %bb.21:                               ;   in Loop: Header=BB208_14 Depth=1
	v_div_scale_f64 v[13:14], s[10:11], v[19:20], v[19:20], v[17:18]
	v_rcp_f64_e32 v[15:16], v[13:14]
	v_fma_f64 v[30:31], -v[13:14], v[15:16], 1.0
	v_fma_f64 v[15:16], v[15:16], v[30:31], v[15:16]
	v_div_scale_f64 v[30:31], vcc, v[17:18], v[19:20], v[17:18]
	v_fma_f64 v[32:33], -v[13:14], v[15:16], 1.0
	v_fma_f64 v[15:16], v[15:16], v[32:33], v[15:16]
	v_mul_f64 v[32:33], v[30:31], v[15:16]
	v_fma_f64 v[13:14], -v[13:14], v[32:33], v[30:31]
	v_div_fmas_f64 v[13:14], v[13:14], v[15:16], v[32:33]
	v_div_fixup_f64 v[13:14], v[13:14], v[19:20], v[17:18]
	v_fma_f64 v[15:16], v[17:18], v[13:14], v[19:20]
	v_div_scale_f64 v[30:31], s[10:11], v[15:16], v[15:16], 1.0
	s_mov_b64 s[10:11], 0
	v_rcp_f64_e32 v[32:33], v[30:31]
	v_fma_f64 v[34:35], -v[30:31], v[32:33], 1.0
	v_fma_f64 v[32:33], v[32:33], v[34:35], v[32:33]
	v_div_scale_f64 v[34:35], vcc, 1.0, v[15:16], 1.0
	v_fma_f64 v[36:37], -v[30:31], v[32:33], 1.0
	v_fma_f64 v[32:33], v[32:33], v[36:37], v[32:33]
	v_mul_f64 v[36:37], v[34:35], v[32:33]
	v_fma_f64 v[30:31], -v[30:31], v[36:37], v[34:35]
	v_div_fmas_f64 v[30:31], v[30:31], v[32:33], v[36:37]
	v_fma_f64 v[32:33], v[13:14], v[21:22], v[23:24]
	v_div_fixup_f64 v[15:16], v[30:31], v[15:16], 1.0
	v_fma_f64 v[30:31], v[13:14], v[23:24], -v[21:22]
	v_mul_f64 v[13:14], v[32:33], v[15:16]
	v_mul_f64 v[15:16], v[30:31], v[15:16]
.LBB208_22:                             ;   in Loop: Header=BB208_14 Depth=1
	s_andn2_b64 vcc, exec, s[10:11]
	s_cbranch_vccnz .LBB208_24
; %bb.23:                               ;   in Loop: Header=BB208_14 Depth=1
	v_div_scale_f64 v[13:14], s[10:11], v[17:18], v[17:18], v[19:20]
	v_rcp_f64_e32 v[15:16], v[13:14]
	v_fma_f64 v[30:31], -v[13:14], v[15:16], 1.0
	v_fma_f64 v[15:16], v[15:16], v[30:31], v[15:16]
	v_div_scale_f64 v[30:31], vcc, v[19:20], v[17:18], v[19:20]
	v_fma_f64 v[32:33], -v[13:14], v[15:16], 1.0
	v_fma_f64 v[15:16], v[15:16], v[32:33], v[15:16]
	v_mul_f64 v[32:33], v[30:31], v[15:16]
	v_fma_f64 v[13:14], -v[13:14], v[32:33], v[30:31]
	v_div_fmas_f64 v[13:14], v[13:14], v[15:16], v[32:33]
	v_div_fixup_f64 v[13:14], v[13:14], v[17:18], v[19:20]
	v_fma_f64 v[15:16], v[19:20], v[13:14], v[17:18]
	v_div_scale_f64 v[17:18], s[10:11], v[15:16], v[15:16], 1.0
	v_rcp_f64_e32 v[19:20], v[17:18]
	v_fma_f64 v[30:31], -v[17:18], v[19:20], 1.0
	v_fma_f64 v[19:20], v[19:20], v[30:31], v[19:20]
	v_div_scale_f64 v[30:31], vcc, 1.0, v[15:16], 1.0
	v_fma_f64 v[32:33], -v[17:18], v[19:20], 1.0
	v_fma_f64 v[19:20], v[19:20], v[32:33], v[19:20]
	v_mul_f64 v[32:33], v[30:31], v[19:20]
	v_fma_f64 v[17:18], -v[17:18], v[32:33], v[30:31]
	v_div_fmas_f64 v[17:18], v[17:18], v[19:20], v[32:33]
	v_fma_f64 v[19:20], v[13:14], v[23:24], v[21:22]
	v_div_fixup_f64 v[15:16], v[17:18], v[15:16], 1.0
	v_fma_f64 v[17:18], -v[13:14], v[21:22], v[23:24]
	v_mul_f64 v[13:14], v[19:20], v[15:16]
	v_mul_f64 v[15:16], v[17:18], v[15:16]
.LBB208_24:                             ;   in Loop: Header=BB208_14 Depth=1
	v_mov_b32_e32 v21, s19
	ds_read_b128 v[17:20], v21 offset:32
	s_add_i32 s22, s19, 0x90
	s_lshl_b32 s10, s17, 4
	s_sub_i32 s17, s22, s10
	s_add_i32 s17, s17, s18
	v_mov_b32_e32 v30, s17
	ds_read_b128 v[30:33], v30 offset:32
	s_waitcnt lgkmcnt(1)
	v_mul_f64 v[34:35], v[11:12], v[19:20]
	v_mul_f64 v[19:20], v[9:10], v[19:20]
	ds_read_b128 v[21:24], v21 offset:288
	s_mov_b64 s[10:11], -1
	s_waitcnt lgkmcnt(1)
	v_mul_f64 v[36:37], v[15:16], v[32:33]
	v_mul_f64 v[32:33], v[13:14], v[32:33]
	ds_write_b128 v29, v[13:16]
	s_waitcnt lgkmcnt(1)
	v_cmp_ngt_f64_e64 s[26:27], |v[21:22]|, |v[23:24]|
	v_fma_f64 v[34:35], v[9:10], v[17:18], -v[34:35]
	v_fma_f64 v[17:18], v[11:12], v[17:18], v[19:20]
	v_fma_f64 v[19:20], v[13:14], v[30:31], -v[36:37]
	v_fma_f64 v[30:31], v[15:16], v[30:31], v[32:33]
	s_and_b64 vcc, exec, s[26:27]
	v_add_f64 v[5:6], v[5:6], -v[34:35]
	v_add_f64 v[7:8], v[7:8], -v[17:18]
	;; [unrolled: 1-line block ×4, first 2 shown]
                                        ; implicit-def: $vgpr19_vgpr20
	s_cbranch_vccz .LBB208_26
; %bb.25:                               ;   in Loop: Header=BB208_14 Depth=1
	v_div_scale_f64 v[17:18], s[10:11], v[23:24], v[23:24], v[21:22]
	v_rcp_f64_e32 v[19:20], v[17:18]
	v_fma_f64 v[29:30], -v[17:18], v[19:20], 1.0
	v_fma_f64 v[19:20], v[19:20], v[29:30], v[19:20]
	v_div_scale_f64 v[29:30], vcc, v[21:22], v[23:24], v[21:22]
	v_fma_f64 v[31:32], -v[17:18], v[19:20], 1.0
	v_fma_f64 v[19:20], v[19:20], v[31:32], v[19:20]
	v_mul_f64 v[31:32], v[29:30], v[19:20]
	v_fma_f64 v[17:18], -v[17:18], v[31:32], v[29:30]
	v_div_fmas_f64 v[17:18], v[17:18], v[19:20], v[31:32]
	v_div_fixup_f64 v[17:18], v[17:18], v[23:24], v[21:22]
	v_fma_f64 v[19:20], v[21:22], v[17:18], v[23:24]
	v_div_scale_f64 v[29:30], s[10:11], v[19:20], v[19:20], 1.0
	s_mov_b64 s[10:11], 0
	v_rcp_f64_e32 v[31:32], v[29:30]
	v_fma_f64 v[33:34], -v[29:30], v[31:32], 1.0
	v_fma_f64 v[31:32], v[31:32], v[33:34], v[31:32]
	v_div_scale_f64 v[33:34], vcc, 1.0, v[19:20], 1.0
	v_fma_f64 v[35:36], -v[29:30], v[31:32], 1.0
	v_fma_f64 v[31:32], v[31:32], v[35:36], v[31:32]
	v_mul_f64 v[35:36], v[33:34], v[31:32]
	v_fma_f64 v[29:30], -v[29:30], v[35:36], v[33:34]
	v_div_fmas_f64 v[29:30], v[29:30], v[31:32], v[35:36]
	v_fma_f64 v[31:32], v[17:18], v[5:6], v[7:8]
	v_div_fixup_f64 v[19:20], v[29:30], v[19:20], 1.0
	v_fma_f64 v[29:30], v[17:18], v[7:8], -v[5:6]
	v_mul_f64 v[17:18], v[31:32], v[19:20]
	v_mul_f64 v[19:20], v[29:30], v[19:20]
.LBB208_26:                             ;   in Loop: Header=BB208_14 Depth=1
	s_andn2_b64 vcc, exec, s[10:11]
	s_cbranch_vccnz .LBB208_28
; %bb.27:                               ;   in Loop: Header=BB208_14 Depth=1
	v_div_scale_f64 v[17:18], s[10:11], v[21:22], v[21:22], v[23:24]
	v_rcp_f64_e32 v[19:20], v[17:18]
	v_fma_f64 v[29:30], -v[17:18], v[19:20], 1.0
	v_fma_f64 v[19:20], v[19:20], v[29:30], v[19:20]
	v_div_scale_f64 v[29:30], vcc, v[23:24], v[21:22], v[23:24]
	v_fma_f64 v[31:32], -v[17:18], v[19:20], 1.0
	v_fma_f64 v[19:20], v[19:20], v[31:32], v[19:20]
	v_mul_f64 v[31:32], v[29:30], v[19:20]
	v_fma_f64 v[17:18], -v[17:18], v[31:32], v[29:30]
	v_div_fmas_f64 v[17:18], v[17:18], v[19:20], v[31:32]
	v_div_fixup_f64 v[17:18], v[17:18], v[21:22], v[23:24]
	v_fma_f64 v[19:20], v[23:24], v[17:18], v[21:22]
	v_div_scale_f64 v[21:22], s[10:11], v[19:20], v[19:20], 1.0
	v_rcp_f64_e32 v[23:24], v[21:22]
	v_fma_f64 v[29:30], -v[21:22], v[23:24], 1.0
	v_fma_f64 v[23:24], v[23:24], v[29:30], v[23:24]
	v_div_scale_f64 v[29:30], vcc, 1.0, v[19:20], 1.0
	v_fma_f64 v[31:32], -v[21:22], v[23:24], 1.0
	v_fma_f64 v[23:24], v[23:24], v[31:32], v[23:24]
	v_mul_f64 v[31:32], v[29:30], v[23:24]
	v_fma_f64 v[21:22], -v[21:22], v[31:32], v[29:30]
	v_div_fmas_f64 v[21:22], v[21:22], v[23:24], v[31:32]
	v_fma_f64 v[23:24], v[17:18], v[7:8], v[5:6]
	v_fma_f64 v[5:6], -v[17:18], v[5:6], v[7:8]
	v_div_fixup_f64 v[19:20], v[21:22], v[19:20], 1.0
	v_mul_f64 v[17:18], v[23:24], v[19:20]
	v_mul_f64 v[19:20], v[5:6], v[19:20]
.LBB208_28:                             ;   in Loop: Header=BB208_14 Depth=1
	v_mov_b32_e32 v5, s19
	ds_read_b128 v[21:24], v5 offset:48
	v_mov_b32_e32 v6, s17
	ds_read_b128 v[29:32], v6 offset:48
	ds_read_b128 v[5:8], v5 offset:432
	s_lshl_b32 s10, s16, 4
	s_sub_i32 s10, s22, s10
	s_waitcnt lgkmcnt(2)
	v_mul_f64 v[37:38], v[11:12], v[23:24]
	v_mul_f64 v[23:24], v[9:10], v[23:24]
	s_waitcnt lgkmcnt(1)
	v_mul_f64 v[39:40], v[15:16], v[31:32]
	v_mul_f64 v[31:32], v[13:14], v[31:32]
	s_add_i32 s10, s10, s18
	v_mov_b32_e32 v33, s10
	ds_read_b128 v[33:36], v33 offset:192
	s_waitcnt lgkmcnt(1)
	v_cmp_ngt_f64_e64 s[16:17], |v[5:6]|, |v[7:8]|
	v_fma_f64 v[9:10], v[9:10], v[21:22], -v[37:38]
	v_fma_f64 v[11:12], v[11:12], v[21:22], v[23:24]
	v_fma_f64 v[13:14], v[13:14], v[29:30], -v[39:40]
	s_waitcnt lgkmcnt(0)
	v_mul_f64 v[21:22], v[19:20], v[35:36]
	v_mul_f64 v[23:24], v[17:18], v[35:36]
	v_fma_f64 v[15:16], v[15:16], v[29:30], v[31:32]
	s_mov_b64 s[10:11], -1
	s_and_b64 vcc, exec, s[16:17]
	v_add_f64 v[1:2], v[1:2], -v[9:10]
	v_add_f64 v[3:4], v[3:4], -v[11:12]
	ds_write_b128 v28, v[17:20]
	v_fma_f64 v[9:10], v[17:18], v[33:34], -v[21:22]
	v_fma_f64 v[11:12], v[19:20], v[33:34], v[23:24]
	v_add_f64 v[1:2], v[1:2], -v[13:14]
	v_add_f64 v[3:4], v[3:4], -v[15:16]
	;; [unrolled: 1-line block ×4, first 2 shown]
                                        ; implicit-def: $vgpr3_vgpr4
	s_cbranch_vccz .LBB208_30
; %bb.29:                               ;   in Loop: Header=BB208_14 Depth=1
	v_div_scale_f64 v[1:2], s[10:11], v[7:8], v[7:8], v[5:6]
	v_rcp_f64_e32 v[3:4], v[1:2]
	v_fma_f64 v[13:14], -v[1:2], v[3:4], 1.0
	v_fma_f64 v[3:4], v[3:4], v[13:14], v[3:4]
	v_div_scale_f64 v[13:14], vcc, v[5:6], v[7:8], v[5:6]
	v_fma_f64 v[15:16], -v[1:2], v[3:4], 1.0
	v_fma_f64 v[3:4], v[3:4], v[15:16], v[3:4]
	v_mul_f64 v[15:16], v[13:14], v[3:4]
	v_fma_f64 v[1:2], -v[1:2], v[15:16], v[13:14]
	v_div_fmas_f64 v[1:2], v[1:2], v[3:4], v[15:16]
	v_div_fixup_f64 v[1:2], v[1:2], v[7:8], v[5:6]
	v_fma_f64 v[3:4], v[5:6], v[1:2], v[7:8]
	v_div_scale_f64 v[13:14], s[10:11], v[3:4], v[3:4], 1.0
	s_mov_b64 s[10:11], 0
	v_rcp_f64_e32 v[15:16], v[13:14]
	v_fma_f64 v[17:18], -v[13:14], v[15:16], 1.0
	v_fma_f64 v[15:16], v[15:16], v[17:18], v[15:16]
	v_div_scale_f64 v[17:18], vcc, 1.0, v[3:4], 1.0
	v_fma_f64 v[19:20], -v[13:14], v[15:16], 1.0
	v_fma_f64 v[15:16], v[15:16], v[19:20], v[15:16]
	v_mul_f64 v[19:20], v[17:18], v[15:16]
	v_fma_f64 v[13:14], -v[13:14], v[19:20], v[17:18]
	v_div_fmas_f64 v[13:14], v[13:14], v[15:16], v[19:20]
	v_fma_f64 v[15:16], v[1:2], v[9:10], v[11:12]
	v_div_fixup_f64 v[3:4], v[13:14], v[3:4], 1.0
	v_fma_f64 v[13:14], v[1:2], v[11:12], -v[9:10]
	v_mul_f64 v[1:2], v[15:16], v[3:4]
	v_mul_f64 v[3:4], v[13:14], v[3:4]
.LBB208_30:                             ;   in Loop: Header=BB208_14 Depth=1
	s_andn2_b64 vcc, exec, s[10:11]
	s_cbranch_vccnz .LBB208_32
; %bb.31:                               ;   in Loop: Header=BB208_14 Depth=1
	v_div_scale_f64 v[1:2], s[10:11], v[5:6], v[5:6], v[7:8]
	v_rcp_f64_e32 v[3:4], v[1:2]
	v_fma_f64 v[13:14], -v[1:2], v[3:4], 1.0
	v_fma_f64 v[3:4], v[3:4], v[13:14], v[3:4]
	v_div_scale_f64 v[13:14], vcc, v[7:8], v[5:6], v[7:8]
	v_fma_f64 v[15:16], -v[1:2], v[3:4], 1.0
	v_fma_f64 v[3:4], v[3:4], v[15:16], v[3:4]
	v_mul_f64 v[15:16], v[13:14], v[3:4]
	v_fma_f64 v[1:2], -v[1:2], v[15:16], v[13:14]
	v_div_fmas_f64 v[1:2], v[1:2], v[3:4], v[15:16]
	v_div_fixup_f64 v[1:2], v[1:2], v[5:6], v[7:8]
	v_fma_f64 v[3:4], v[7:8], v[1:2], v[5:6]
	v_div_scale_f64 v[5:6], s[10:11], v[3:4], v[3:4], 1.0
	v_rcp_f64_e32 v[7:8], v[5:6]
	v_fma_f64 v[13:14], -v[5:6], v[7:8], 1.0
	v_fma_f64 v[7:8], v[7:8], v[13:14], v[7:8]
	v_div_scale_f64 v[13:14], vcc, 1.0, v[3:4], 1.0
	v_fma_f64 v[15:16], -v[5:6], v[7:8], 1.0
	v_fma_f64 v[7:8], v[7:8], v[15:16], v[7:8]
	v_mul_f64 v[15:16], v[13:14], v[7:8]
	v_fma_f64 v[5:6], -v[5:6], v[15:16], v[13:14]
	v_div_fmas_f64 v[5:6], v[5:6], v[7:8], v[15:16]
	v_fma_f64 v[7:8], v[1:2], v[11:12], v[9:10]
	v_div_fixup_f64 v[3:4], v[5:6], v[3:4], 1.0
	v_fma_f64 v[5:6], -v[1:2], v[9:10], v[11:12]
	v_mul_f64 v[1:2], v[7:8], v[3:4]
	v_mul_f64 v[3:4], v[5:6], v[3:4]
.LBB208_32:                             ;   in Loop: Header=BB208_14 Depth=1
	s_add_i32 s16, s15, 4
	s_add_i32 s10, s15, 7
	;; [unrolled: 1-line block ×3, first 2 shown]
	s_cmp_ge_i32 s10, s25
	ds_write_b128 v27, v[1:4]
	s_cbranch_scc1 .LBB208_34
; %bb.33:                               ;   in Loop: Header=BB208_14 Depth=1
	s_mov_b32 s15, s16
	s_branch .LBB208_14
.LBB208_34:
	s_cmp_ge_i32 s16, s25
	s_cbranch_scc1 .LBB208_43
; %bb.35:
	v_mov_b32_e32 v1, 0x400
	s_lshl_b32 s14, s16, 4
	v_lshl_or_b32 v13, v0, 4, v1
	s_branch .LBB208_37
.LBB208_36:                             ;   in Loop: Header=BB208_37 Depth=1
	s_add_i32 s16, s16, 1
	s_add_i32 s14, s14, 16
	s_cmp_ge_i32 s16, s25
	ds_write_b128 v14, v[9:12]
	s_cbranch_scc1 .LBB208_43
.LBB208_37:                             ; =>This Loop Header: Depth=1
                                        ;     Child Loop BB208_38 Depth 2
	s_lshl_b32 s10, s16, 7
	v_add_u32_e32 v14, s10, v25
	ds_read_b128 v[1:4], v14
	s_cmp_eq_u32 s16, 0
	v_mov_b32_e32 v5, v13
	s_mov_b32 s11, s14
	s_mov_b32 s15, s16
	s_cbranch_scc1 .LBB208_39
.LBB208_38:                             ;   Parent Loop BB208_37 Depth=1
                                        ; =>  This Inner Loop Header: Depth=2
	v_mov_b32_e32 v10, s11
	ds_read_b128 v[6:9], v5
	ds_read_b128 v[15:18], v10
	s_add_i32 s15, s15, -1
	s_addk_i32 s11, 0x80
	s_cmp_eq_u32 s15, 0
	v_add_u32_e32 v5, 0x80, v5
	s_waitcnt lgkmcnt(0)
	v_mul_f64 v[10:11], v[17:18], v[8:9]
	v_mul_f64 v[8:9], v[15:16], v[8:9]
	v_fma_f64 v[10:11], v[15:16], v[6:7], -v[10:11]
	v_fma_f64 v[6:7], v[17:18], v[6:7], v[8:9]
	v_add_f64 v[1:2], v[1:2], -v[10:11]
	v_add_f64 v[3:4], v[3:4], -v[6:7]
	s_cbranch_scc0 .LBB208_38
.LBB208_39:                             ;   in Loop: Header=BB208_37 Depth=1
	s_lshl_b32 s11, s16, 4
	s_add_i32 s10, s11, s10
	v_mov_b32_e32 v5, s10
	ds_read_b128 v[5:8], v5
	s_mov_b64 s[10:11], -1
                                        ; implicit-def: $vgpr9_vgpr10
	s_waitcnt lgkmcnt(0)
	v_cmp_ngt_f64_e64 s[18:19], |v[5:6]|, |v[7:8]|
	s_and_b64 vcc, exec, s[18:19]
	s_cbranch_vccz .LBB208_41
; %bb.40:                               ;   in Loop: Header=BB208_37 Depth=1
	v_div_scale_f64 v[9:10], s[10:11], v[7:8], v[7:8], v[5:6]
	v_rcp_f64_e32 v[11:12], v[9:10]
	v_fma_f64 v[15:16], -v[9:10], v[11:12], 1.0
	v_fma_f64 v[11:12], v[11:12], v[15:16], v[11:12]
	v_div_scale_f64 v[15:16], vcc, v[5:6], v[7:8], v[5:6]
	v_fma_f64 v[17:18], -v[9:10], v[11:12], 1.0
	v_fma_f64 v[11:12], v[11:12], v[17:18], v[11:12]
	v_mul_f64 v[17:18], v[15:16], v[11:12]
	v_fma_f64 v[9:10], -v[9:10], v[17:18], v[15:16]
	v_div_fmas_f64 v[9:10], v[9:10], v[11:12], v[17:18]
	v_div_fixup_f64 v[9:10], v[9:10], v[7:8], v[5:6]
	v_fma_f64 v[11:12], v[5:6], v[9:10], v[7:8]
	v_div_scale_f64 v[15:16], s[10:11], v[11:12], v[11:12], 1.0
	s_mov_b64 s[10:11], 0
	v_rcp_f64_e32 v[17:18], v[15:16]
	v_fma_f64 v[19:20], -v[15:16], v[17:18], 1.0
	v_fma_f64 v[17:18], v[17:18], v[19:20], v[17:18]
	v_div_scale_f64 v[19:20], vcc, 1.0, v[11:12], 1.0
	v_fma_f64 v[21:22], -v[15:16], v[17:18], 1.0
	v_fma_f64 v[17:18], v[17:18], v[21:22], v[17:18]
	v_mul_f64 v[21:22], v[19:20], v[17:18]
	v_fma_f64 v[15:16], -v[15:16], v[21:22], v[19:20]
	v_div_fmas_f64 v[15:16], v[15:16], v[17:18], v[21:22]
	v_fma_f64 v[17:18], v[1:2], v[9:10], v[3:4]
	v_div_fixup_f64 v[11:12], v[15:16], v[11:12], 1.0
	v_fma_f64 v[15:16], v[3:4], v[9:10], -v[1:2]
	v_mul_f64 v[9:10], v[17:18], v[11:12]
	v_mul_f64 v[11:12], v[15:16], v[11:12]
.LBB208_41:                             ;   in Loop: Header=BB208_37 Depth=1
	s_andn2_b64 vcc, exec, s[10:11]
	s_cbranch_vccnz .LBB208_36
; %bb.42:                               ;   in Loop: Header=BB208_37 Depth=1
	v_div_scale_f64 v[9:10], s[10:11], v[5:6], v[5:6], v[7:8]
	v_rcp_f64_e32 v[11:12], v[9:10]
	v_fma_f64 v[15:16], -v[9:10], v[11:12], 1.0
	v_fma_f64 v[11:12], v[11:12], v[15:16], v[11:12]
	v_div_scale_f64 v[15:16], vcc, v[7:8], v[5:6], v[7:8]
	v_fma_f64 v[17:18], -v[9:10], v[11:12], 1.0
	v_fma_f64 v[11:12], v[11:12], v[17:18], v[11:12]
	v_mul_f64 v[17:18], v[15:16], v[11:12]
	v_fma_f64 v[9:10], -v[9:10], v[17:18], v[15:16]
	v_div_fmas_f64 v[9:10], v[9:10], v[11:12], v[17:18]
	v_div_fixup_f64 v[9:10], v[9:10], v[5:6], v[7:8]
	v_fma_f64 v[5:6], v[7:8], v[9:10], v[5:6]
	v_div_scale_f64 v[7:8], s[10:11], v[5:6], v[5:6], 1.0
	v_rcp_f64_e32 v[11:12], v[7:8]
	v_fma_f64 v[15:16], -v[7:8], v[11:12], 1.0
	v_fma_f64 v[11:12], v[11:12], v[15:16], v[11:12]
	v_div_scale_f64 v[15:16], vcc, 1.0, v[5:6], 1.0
	v_fma_f64 v[17:18], -v[7:8], v[11:12], 1.0
	v_fma_f64 v[11:12], v[11:12], v[17:18], v[11:12]
	v_mul_f64 v[17:18], v[15:16], v[11:12]
	v_fma_f64 v[7:8], -v[7:8], v[17:18], v[15:16]
	v_div_fmas_f64 v[7:8], v[7:8], v[11:12], v[17:18]
	v_fma_f64 v[11:12], v[3:4], v[9:10], v[1:2]
	v_fma_f64 v[1:2], -v[1:2], v[9:10], v[3:4]
	v_div_fixup_f64 v[5:6], v[7:8], v[5:6], 1.0
	v_mul_f64 v[9:10], v[11:12], v[5:6]
	v_mul_f64 v[11:12], v[1:2], v[5:6]
	s_branch .LBB208_36
.LBB208_43:
	s_mov_b64 s[10:11], 0
.LBB208_44:
	s_and_b64 vcc, exec, s[10:11]
	s_cbranch_vccz .LBB208_76
; %bb.45:
	s_andn2_b64 vcc, exec, s[8:9]
	s_mov_b32 s16, s13
	s_cbranch_vccnz .LBB208_67
; %bb.46:
	v_lshlrev_b32_e32 v1, 4, v0
	s_mul_i32 s10, s25, 0x90
	v_lshl_or_b32 v1, s25, 7, v1
	s_add_i32 s14, s10, 0xffffff40
	v_add_u32_e32 v26, 0x380, v1
	s_mov_b32 s15, s13
.LBB208_47:                             ; =>This Loop Header: Depth=1
                                        ;     Child Loop BB208_48 Depth 2
	s_add_i32 s18, s15, -2
	s_add_i32 s16, s15, -3
	v_lshl_add_u32 v30, s15, 7, v25
	s_add_i32 s17, s15, -1
	v_lshl_add_u32 v28, s18, 7, v25
	s_lshl_b32 s10, s16, 7
	v_lshl_add_u32 v29, s17, 7, v25
	ds_read_b128 v[17:20], v30
	ds_read_b128 v[13:16], v29
	v_add_u32_e32 v27, s10, v25
	ds_read_b128 v[5:8], v28
	ds_read_b128 v[1:4], v27
	s_cmp_le_i32 s13, s15
	v_mov_b32_e32 v9, v26
	s_mov_b32 s10, s14
	s_mov_b32 s11, s13
	s_cbranch_scc1 .LBB208_49
.LBB208_48:                             ;   Parent Loop BB208_47 Depth=1
                                        ; =>  This Inner Loop Header: Depth=2
	v_mov_b32_e32 v10, s10
	ds_read_b128 v[21:24], v9
	ds_read_b128 v[31:34], v10
	ds_read_b128 v[35:38], v10 offset:16
	ds_read_b128 v[39:42], v10 offset:32
	;; [unrolled: 1-line block ×3, first 2 shown]
	s_add_i32 s11, s11, -1
	s_addk_i32 s10, 0xff80
	v_add_u32_e32 v9, 0xffffff80, v9
	s_cmp_le_i32 s11, s15
	s_waitcnt lgkmcnt(0)
	v_mul_f64 v[10:11], v[23:24], v[45:46]
	v_mul_f64 v[45:46], v[21:22], v[45:46]
	v_fma_f64 v[10:11], v[21:22], v[43:44], -v[10:11]
	v_fma_f64 v[43:44], v[23:24], v[43:44], v[45:46]
	v_add_f64 v[17:18], v[17:18], -v[10:11]
	v_mul_f64 v[10:11], v[23:24], v[41:42]
	v_mul_f64 v[41:42], v[21:22], v[41:42]
	v_add_f64 v[19:20], v[19:20], -v[43:44]
	v_fma_f64 v[10:11], v[21:22], v[39:40], -v[10:11]
	v_fma_f64 v[39:40], v[23:24], v[39:40], v[41:42]
	v_add_f64 v[13:14], v[13:14], -v[10:11]
	v_mul_f64 v[10:11], v[23:24], v[37:38]
	v_mul_f64 v[37:38], v[21:22], v[37:38]
	v_add_f64 v[15:16], v[15:16], -v[39:40]
	v_fma_f64 v[10:11], v[21:22], v[35:36], -v[10:11]
	v_fma_f64 v[35:36], v[23:24], v[35:36], v[37:38]
	v_add_f64 v[5:6], v[5:6], -v[10:11]
	v_mul_f64 v[10:11], v[23:24], v[33:34]
	v_add_f64 v[7:8], v[7:8], -v[35:36]
	v_fma_f64 v[10:11], v[21:22], v[31:32], -v[10:11]
	v_mul_f64 v[21:22], v[21:22], v[33:34]
	v_add_f64 v[1:2], v[1:2], -v[10:11]
	v_fma_f64 v[21:22], v[23:24], v[31:32], v[21:22]
	v_add_f64 v[3:4], v[3:4], -v[21:22]
	s_cbranch_scc0 .LBB208_48
.LBB208_49:                             ;   in Loop: Header=BB208_47 Depth=1
	s_lshl_b32 s22, s15, 4
	s_lshl_b32 s10, s15, 7
	s_add_i32 s19, s22, s10
	v_mov_b32_e32 v9, s19
	ds_read_b128 v[21:24], v9
	s_mov_b64 s[10:11], -1
                                        ; implicit-def: $vgpr11_vgpr12
	s_waitcnt lgkmcnt(0)
	v_cmp_ngt_f64_e64 s[26:27], |v[21:22]|, |v[23:24]|
	s_and_b64 vcc, exec, s[26:27]
	s_cbranch_vccz .LBB208_51
; %bb.50:                               ;   in Loop: Header=BB208_47 Depth=1
	v_div_scale_f64 v[9:10], s[10:11], v[23:24], v[23:24], v[21:22]
	v_rcp_f64_e32 v[11:12], v[9:10]
	v_fma_f64 v[31:32], -v[9:10], v[11:12], 1.0
	v_fma_f64 v[11:12], v[11:12], v[31:32], v[11:12]
	v_div_scale_f64 v[31:32], vcc, v[21:22], v[23:24], v[21:22]
	v_fma_f64 v[33:34], -v[9:10], v[11:12], 1.0
	v_fma_f64 v[11:12], v[11:12], v[33:34], v[11:12]
	v_mul_f64 v[33:34], v[31:32], v[11:12]
	v_fma_f64 v[9:10], -v[9:10], v[33:34], v[31:32]
	v_div_fmas_f64 v[9:10], v[9:10], v[11:12], v[33:34]
	v_div_fixup_f64 v[9:10], v[9:10], v[23:24], v[21:22]
	v_fma_f64 v[11:12], v[21:22], v[9:10], v[23:24]
	v_div_scale_f64 v[31:32], s[10:11], v[11:12], v[11:12], 1.0
	s_mov_b64 s[10:11], 0
	v_rcp_f64_e32 v[33:34], v[31:32]
	v_fma_f64 v[35:36], -v[31:32], v[33:34], 1.0
	v_fma_f64 v[33:34], v[33:34], v[35:36], v[33:34]
	v_div_scale_f64 v[35:36], vcc, 1.0, v[11:12], 1.0
	v_fma_f64 v[37:38], -v[31:32], v[33:34], 1.0
	v_fma_f64 v[33:34], v[33:34], v[37:38], v[33:34]
	v_mul_f64 v[37:38], v[35:36], v[33:34]
	v_fma_f64 v[31:32], -v[31:32], v[37:38], v[35:36]
	v_div_fmas_f64 v[31:32], v[31:32], v[33:34], v[37:38]
	v_fma_f64 v[33:34], v[17:18], v[9:10], v[19:20]
	v_div_fixup_f64 v[11:12], v[31:32], v[11:12], 1.0
	v_fma_f64 v[31:32], v[19:20], v[9:10], -v[17:18]
	v_mul_f64 v[9:10], v[33:34], v[11:12]
	v_mul_f64 v[11:12], v[31:32], v[11:12]
.LBB208_51:                             ;   in Loop: Header=BB208_47 Depth=1
	s_andn2_b64 vcc, exec, s[10:11]
	s_cbranch_vccnz .LBB208_53
; %bb.52:                               ;   in Loop: Header=BB208_47 Depth=1
	v_div_scale_f64 v[9:10], s[10:11], v[21:22], v[21:22], v[23:24]
	v_rcp_f64_e32 v[11:12], v[9:10]
	v_fma_f64 v[31:32], -v[9:10], v[11:12], 1.0
	v_fma_f64 v[11:12], v[11:12], v[31:32], v[11:12]
	v_div_scale_f64 v[31:32], vcc, v[23:24], v[21:22], v[23:24]
	v_fma_f64 v[33:34], -v[9:10], v[11:12], 1.0
	v_fma_f64 v[11:12], v[11:12], v[33:34], v[11:12]
	v_mul_f64 v[33:34], v[31:32], v[11:12]
	v_fma_f64 v[9:10], -v[9:10], v[33:34], v[31:32]
	v_div_fmas_f64 v[9:10], v[9:10], v[11:12], v[33:34]
	v_div_fixup_f64 v[9:10], v[9:10], v[21:22], v[23:24]
	v_fma_f64 v[11:12], v[23:24], v[9:10], v[21:22]
	v_div_scale_f64 v[21:22], s[10:11], v[11:12], v[11:12], 1.0
	v_rcp_f64_e32 v[23:24], v[21:22]
	v_fma_f64 v[31:32], -v[21:22], v[23:24], 1.0
	v_fma_f64 v[23:24], v[23:24], v[31:32], v[23:24]
	v_div_scale_f64 v[31:32], vcc, 1.0, v[11:12], 1.0
	v_fma_f64 v[33:34], -v[21:22], v[23:24], 1.0
	v_fma_f64 v[23:24], v[23:24], v[33:34], v[23:24]
	v_mul_f64 v[33:34], v[31:32], v[23:24]
	v_fma_f64 v[21:22], -v[21:22], v[33:34], v[31:32]
	v_div_fmas_f64 v[21:22], v[21:22], v[23:24], v[33:34]
	v_fma_f64 v[23:24], v[19:20], v[9:10], v[17:18]
	v_fma_f64 v[17:18], -v[17:18], v[9:10], v[19:20]
	v_div_fixup_f64 v[11:12], v[21:22], v[11:12], 1.0
	v_mul_f64 v[9:10], v[23:24], v[11:12]
	v_mul_f64 v[11:12], v[17:18], v[11:12]
.LBB208_53:                             ;   in Loop: Header=BB208_47 Depth=1
	s_add_i32 s11, s19, -16
	v_mov_b32_e32 v17, s11
	ds_read_b128 v[21:24], v17
	s_lshl_b32 s10, s17, 7
	s_add_i32 s23, s22, s10
	s_add_i32 s23, s23, -16
	v_mov_b32_e32 v17, s23
	s_waitcnt lgkmcnt(0)
	v_mul_f64 v[31:32], v[11:12], v[23:24]
	v_mul_f64 v[23:24], v[9:10], v[23:24]
	ds_read_b128 v[17:20], v17
	s_mov_b64 s[10:11], -1
	ds_write_b128 v30, v[9:12]
	s_waitcnt lgkmcnt(1)
	v_cmp_ngt_f64_e64 s[26:27], |v[17:18]|, |v[19:20]|
	v_fma_f64 v[31:32], v[9:10], v[21:22], -v[31:32]
	v_fma_f64 v[23:24], v[11:12], v[21:22], v[23:24]
	s_and_b64 vcc, exec, s[26:27]
	v_add_f64 v[21:22], v[13:14], -v[31:32]
	v_add_f64 v[23:24], v[15:16], -v[23:24]
                                        ; implicit-def: $vgpr15_vgpr16
	s_cbranch_vccz .LBB208_55
; %bb.54:                               ;   in Loop: Header=BB208_47 Depth=1
	v_div_scale_f64 v[13:14], s[10:11], v[19:20], v[19:20], v[17:18]
	v_rcp_f64_e32 v[15:16], v[13:14]
	v_fma_f64 v[30:31], -v[13:14], v[15:16], 1.0
	v_fma_f64 v[15:16], v[15:16], v[30:31], v[15:16]
	v_div_scale_f64 v[30:31], vcc, v[17:18], v[19:20], v[17:18]
	v_fma_f64 v[32:33], -v[13:14], v[15:16], 1.0
	v_fma_f64 v[15:16], v[15:16], v[32:33], v[15:16]
	v_mul_f64 v[32:33], v[30:31], v[15:16]
	v_fma_f64 v[13:14], -v[13:14], v[32:33], v[30:31]
	v_div_fmas_f64 v[13:14], v[13:14], v[15:16], v[32:33]
	v_div_fixup_f64 v[13:14], v[13:14], v[19:20], v[17:18]
	v_fma_f64 v[15:16], v[17:18], v[13:14], v[19:20]
	v_div_scale_f64 v[30:31], s[10:11], v[15:16], v[15:16], 1.0
	s_mov_b64 s[10:11], 0
	v_rcp_f64_e32 v[32:33], v[30:31]
	v_fma_f64 v[34:35], -v[30:31], v[32:33], 1.0
	v_fma_f64 v[32:33], v[32:33], v[34:35], v[32:33]
	v_div_scale_f64 v[34:35], vcc, 1.0, v[15:16], 1.0
	v_fma_f64 v[36:37], -v[30:31], v[32:33], 1.0
	v_fma_f64 v[32:33], v[32:33], v[36:37], v[32:33]
	v_mul_f64 v[36:37], v[34:35], v[32:33]
	v_fma_f64 v[30:31], -v[30:31], v[36:37], v[34:35]
	v_div_fmas_f64 v[30:31], v[30:31], v[32:33], v[36:37]
	v_fma_f64 v[32:33], v[13:14], v[21:22], v[23:24]
	v_div_fixup_f64 v[15:16], v[30:31], v[15:16], 1.0
	v_fma_f64 v[30:31], v[13:14], v[23:24], -v[21:22]
	v_mul_f64 v[13:14], v[32:33], v[15:16]
	v_mul_f64 v[15:16], v[30:31], v[15:16]
.LBB208_55:                             ;   in Loop: Header=BB208_47 Depth=1
	s_andn2_b64 vcc, exec, s[10:11]
	s_cbranch_vccnz .LBB208_57
; %bb.56:                               ;   in Loop: Header=BB208_47 Depth=1
	v_div_scale_f64 v[13:14], s[10:11], v[17:18], v[17:18], v[19:20]
	v_rcp_f64_e32 v[15:16], v[13:14]
	v_fma_f64 v[30:31], -v[13:14], v[15:16], 1.0
	v_fma_f64 v[15:16], v[15:16], v[30:31], v[15:16]
	v_div_scale_f64 v[30:31], vcc, v[19:20], v[17:18], v[19:20]
	v_fma_f64 v[32:33], -v[13:14], v[15:16], 1.0
	v_fma_f64 v[15:16], v[15:16], v[32:33], v[15:16]
	v_mul_f64 v[32:33], v[30:31], v[15:16]
	v_fma_f64 v[13:14], -v[13:14], v[32:33], v[30:31]
	v_div_fmas_f64 v[13:14], v[13:14], v[15:16], v[32:33]
	v_div_fixup_f64 v[13:14], v[13:14], v[17:18], v[19:20]
	v_fma_f64 v[15:16], v[19:20], v[13:14], v[17:18]
	v_div_scale_f64 v[17:18], s[10:11], v[15:16], v[15:16], 1.0
	v_rcp_f64_e32 v[19:20], v[17:18]
	v_fma_f64 v[30:31], -v[17:18], v[19:20], 1.0
	v_fma_f64 v[19:20], v[19:20], v[30:31], v[19:20]
	v_div_scale_f64 v[30:31], vcc, 1.0, v[15:16], 1.0
	v_fma_f64 v[32:33], -v[17:18], v[19:20], 1.0
	v_fma_f64 v[19:20], v[19:20], v[32:33], v[19:20]
	v_mul_f64 v[32:33], v[30:31], v[19:20]
	v_fma_f64 v[17:18], -v[17:18], v[32:33], v[30:31]
	v_div_fmas_f64 v[17:18], v[17:18], v[19:20], v[32:33]
	v_fma_f64 v[19:20], v[13:14], v[23:24], v[21:22]
	v_div_fixup_f64 v[15:16], v[17:18], v[15:16], 1.0
	v_fma_f64 v[17:18], -v[13:14], v[21:22], v[23:24]
	v_mul_f64 v[13:14], v[19:20], v[15:16]
	v_mul_f64 v[15:16], v[17:18], v[15:16]
.LBB208_57:                             ;   in Loop: Header=BB208_47 Depth=1
	s_sub_i32 s10, s19, 32
	v_mov_b32_e32 v17, s10
	ds_read_b128 v[17:20], v17
	s_lshl_b32 s10, s17, 4
	s_sub_i32 s23, s23, s10
	s_lshl_b32 s17, s18, 4
	s_add_i32 s10, s23, s17
	v_mov_b32_e32 v21, s10
	ds_read_b128 v[21:24], v21
	s_waitcnt lgkmcnt(1)
	v_mul_f64 v[30:31], v[11:12], v[19:20]
	v_mul_f64 v[19:20], v[9:10], v[19:20]
	s_lshl_b32 s10, s18, 7
	s_add_i32 s22, s22, s10
	s_waitcnt lgkmcnt(0)
	v_mul_f64 v[32:33], v[15:16], v[23:24]
	v_mul_f64 v[23:24], v[13:14], v[23:24]
	s_sub_i32 s18, s22, 32
	s_mov_b64 s[10:11], -1
	v_fma_f64 v[30:31], v[9:10], v[17:18], -v[30:31]
	v_fma_f64 v[34:35], v[11:12], v[17:18], v[19:20]
	v_mov_b32_e32 v17, s18
	ds_read_b128 v[17:20], v17
	v_fma_f64 v[32:33], v[13:14], v[21:22], -v[32:33]
	v_fma_f64 v[23:24], v[15:16], v[21:22], v[23:24]
	ds_write_b128 v29, v[13:16]
	v_add_f64 v[5:6], v[5:6], -v[30:31]
	v_add_f64 v[7:8], v[7:8], -v[34:35]
	s_waitcnt lgkmcnt(1)
	v_cmp_ngt_f64_e64 s[26:27], |v[17:18]|, |v[19:20]|
	v_add_f64 v[21:22], v[5:6], -v[32:33]
	v_add_f64 v[23:24], v[7:8], -v[23:24]
	s_and_b64 vcc, exec, s[26:27]
                                        ; implicit-def: $vgpr7_vgpr8
	s_cbranch_vccz .LBB208_59
; %bb.58:                               ;   in Loop: Header=BB208_47 Depth=1
	v_div_scale_f64 v[5:6], s[10:11], v[19:20], v[19:20], v[17:18]
	v_rcp_f64_e32 v[7:8], v[5:6]
	v_fma_f64 v[29:30], -v[5:6], v[7:8], 1.0
	v_fma_f64 v[7:8], v[7:8], v[29:30], v[7:8]
	v_div_scale_f64 v[29:30], vcc, v[17:18], v[19:20], v[17:18]
	v_fma_f64 v[31:32], -v[5:6], v[7:8], 1.0
	v_fma_f64 v[7:8], v[7:8], v[31:32], v[7:8]
	v_mul_f64 v[31:32], v[29:30], v[7:8]
	v_fma_f64 v[5:6], -v[5:6], v[31:32], v[29:30]
	v_div_fmas_f64 v[5:6], v[5:6], v[7:8], v[31:32]
	v_div_fixup_f64 v[5:6], v[5:6], v[19:20], v[17:18]
	v_fma_f64 v[7:8], v[17:18], v[5:6], v[19:20]
	v_div_scale_f64 v[29:30], s[10:11], v[7:8], v[7:8], 1.0
	s_mov_b64 s[10:11], 0
	v_rcp_f64_e32 v[31:32], v[29:30]
	v_fma_f64 v[33:34], -v[29:30], v[31:32], 1.0
	v_fma_f64 v[31:32], v[31:32], v[33:34], v[31:32]
	v_div_scale_f64 v[33:34], vcc, 1.0, v[7:8], 1.0
	v_fma_f64 v[35:36], -v[29:30], v[31:32], 1.0
	v_fma_f64 v[31:32], v[31:32], v[35:36], v[31:32]
	v_mul_f64 v[35:36], v[33:34], v[31:32]
	v_fma_f64 v[29:30], -v[29:30], v[35:36], v[33:34]
	v_div_fmas_f64 v[29:30], v[29:30], v[31:32], v[35:36]
	v_fma_f64 v[31:32], v[5:6], v[21:22], v[23:24]
	v_div_fixup_f64 v[7:8], v[29:30], v[7:8], 1.0
	v_fma_f64 v[29:30], v[5:6], v[23:24], -v[21:22]
	v_mul_f64 v[5:6], v[31:32], v[7:8]
	v_mul_f64 v[7:8], v[29:30], v[7:8]
.LBB208_59:                             ;   in Loop: Header=BB208_47 Depth=1
	s_andn2_b64 vcc, exec, s[10:11]
	s_cbranch_vccnz .LBB208_61
; %bb.60:                               ;   in Loop: Header=BB208_47 Depth=1
	v_div_scale_f64 v[5:6], s[10:11], v[17:18], v[17:18], v[19:20]
	v_rcp_f64_e32 v[7:8], v[5:6]
	v_fma_f64 v[29:30], -v[5:6], v[7:8], 1.0
	v_fma_f64 v[7:8], v[7:8], v[29:30], v[7:8]
	v_div_scale_f64 v[29:30], vcc, v[19:20], v[17:18], v[19:20]
	v_fma_f64 v[31:32], -v[5:6], v[7:8], 1.0
	v_fma_f64 v[7:8], v[7:8], v[31:32], v[7:8]
	v_mul_f64 v[31:32], v[29:30], v[7:8]
	v_fma_f64 v[5:6], -v[5:6], v[31:32], v[29:30]
	v_div_fmas_f64 v[5:6], v[5:6], v[7:8], v[31:32]
	v_div_fixup_f64 v[5:6], v[5:6], v[17:18], v[19:20]
	v_fma_f64 v[7:8], v[19:20], v[5:6], v[17:18]
	v_div_scale_f64 v[17:18], s[10:11], v[7:8], v[7:8], 1.0
	v_rcp_f64_e32 v[19:20], v[17:18]
	v_fma_f64 v[29:30], -v[17:18], v[19:20], 1.0
	v_fma_f64 v[19:20], v[19:20], v[29:30], v[19:20]
	v_div_scale_f64 v[29:30], vcc, 1.0, v[7:8], 1.0
	v_fma_f64 v[31:32], -v[17:18], v[19:20], 1.0
	v_fma_f64 v[19:20], v[19:20], v[31:32], v[19:20]
	v_mul_f64 v[31:32], v[29:30], v[19:20]
	v_fma_f64 v[17:18], -v[17:18], v[31:32], v[29:30]
	v_div_fmas_f64 v[17:18], v[17:18], v[19:20], v[31:32]
	v_fma_f64 v[19:20], v[5:6], v[23:24], v[21:22]
	v_div_fixup_f64 v[7:8], v[17:18], v[7:8], 1.0
	v_fma_f64 v[17:18], -v[5:6], v[21:22], v[23:24]
	v_mul_f64 v[5:6], v[19:20], v[7:8]
	v_mul_f64 v[7:8], v[17:18], v[7:8]
.LBB208_61:                             ;   in Loop: Header=BB208_47 Depth=1
	s_sub_i32 s10, s19, 48
	v_mov_b32_e32 v17, s10
	ds_read_b128 v[17:20], v17
	s_lshl_b32 s10, s16, 4
	s_add_i32 s11, s23, s10
	v_mov_b32_e32 v21, s11
	s_sub_i32 s11, s18, s17
	s_add_i32 s10, s11, s10
	v_mov_b32_e32 v29, s10
	ds_read_b128 v[29:32], v29
	s_waitcnt lgkmcnt(1)
	v_mul_f64 v[33:34], v[11:12], v[19:20]
	v_mul_f64 v[19:20], v[9:10], v[19:20]
	ds_read_b128 v[21:24], v21
	s_add_i32 s16, s18, 0xffffff70
	s_mov_b64 s[10:11], -1
	ds_write_b128 v28, v[5:8]
	v_fma_f64 v[33:34], v[9:10], v[17:18], -v[33:34]
	v_mov_b32_e32 v9, s16
	v_fma_f64 v[17:18], v[11:12], v[17:18], v[19:20]
	ds_read_b128 v[9:12], v9
	s_waitcnt lgkmcnt(2)
	v_mul_f64 v[35:36], v[15:16], v[23:24]
	v_mul_f64 v[23:24], v[13:14], v[23:24]
	;; [unrolled: 1-line block ×4, first 2 shown]
	v_add_f64 v[1:2], v[1:2], -v[33:34]
	s_waitcnt lgkmcnt(0)
	v_cmp_ngt_f64_e64 s[16:17], |v[9:10]|, |v[11:12]|
	v_add_f64 v[3:4], v[3:4], -v[17:18]
	v_fma_f64 v[13:14], v[13:14], v[21:22], -v[35:36]
	v_fma_f64 v[15:16], v[15:16], v[21:22], v[23:24]
	v_fma_f64 v[17:18], v[5:6], v[29:30], -v[19:20]
	v_fma_f64 v[19:20], v[7:8], v[29:30], v[31:32]
	s_and_b64 vcc, exec, s[16:17]
	v_add_f64 v[1:2], v[1:2], -v[13:14]
	v_add_f64 v[3:4], v[3:4], -v[15:16]
	;; [unrolled: 1-line block ×4, first 2 shown]
                                        ; implicit-def: $vgpr3_vgpr4
	s_cbranch_vccz .LBB208_63
; %bb.62:                               ;   in Loop: Header=BB208_47 Depth=1
	v_div_scale_f64 v[1:2], s[10:11], v[11:12], v[11:12], v[9:10]
	v_rcp_f64_e32 v[3:4], v[1:2]
	v_fma_f64 v[5:6], -v[1:2], v[3:4], 1.0
	v_fma_f64 v[3:4], v[3:4], v[5:6], v[3:4]
	v_div_scale_f64 v[5:6], vcc, v[9:10], v[11:12], v[9:10]
	v_fma_f64 v[7:8], -v[1:2], v[3:4], 1.0
	v_fma_f64 v[3:4], v[3:4], v[7:8], v[3:4]
	v_mul_f64 v[7:8], v[5:6], v[3:4]
	v_fma_f64 v[1:2], -v[1:2], v[7:8], v[5:6]
	v_div_fmas_f64 v[1:2], v[1:2], v[3:4], v[7:8]
	v_div_fixup_f64 v[1:2], v[1:2], v[11:12], v[9:10]
	v_fma_f64 v[3:4], v[9:10], v[1:2], v[11:12]
	v_div_scale_f64 v[5:6], s[10:11], v[3:4], v[3:4], 1.0
	s_mov_b64 s[10:11], 0
	v_rcp_f64_e32 v[7:8], v[5:6]
	v_fma_f64 v[17:18], -v[5:6], v[7:8], 1.0
	v_fma_f64 v[7:8], v[7:8], v[17:18], v[7:8]
	v_div_scale_f64 v[17:18], vcc, 1.0, v[3:4], 1.0
	v_fma_f64 v[19:20], -v[5:6], v[7:8], 1.0
	v_fma_f64 v[7:8], v[7:8], v[19:20], v[7:8]
	v_mul_f64 v[19:20], v[17:18], v[7:8]
	v_fma_f64 v[5:6], -v[5:6], v[19:20], v[17:18]
	v_div_fmas_f64 v[5:6], v[5:6], v[7:8], v[19:20]
	v_fma_f64 v[7:8], v[1:2], v[13:14], v[15:16]
	v_div_fixup_f64 v[3:4], v[5:6], v[3:4], 1.0
	v_fma_f64 v[5:6], v[1:2], v[15:16], -v[13:14]
	v_mul_f64 v[1:2], v[7:8], v[3:4]
	v_mul_f64 v[3:4], v[5:6], v[3:4]
.LBB208_63:                             ;   in Loop: Header=BB208_47 Depth=1
	s_andn2_b64 vcc, exec, s[10:11]
	s_cbranch_vccnz .LBB208_65
; %bb.64:                               ;   in Loop: Header=BB208_47 Depth=1
	v_div_scale_f64 v[1:2], s[10:11], v[9:10], v[9:10], v[11:12]
	v_rcp_f64_e32 v[3:4], v[1:2]
	v_fma_f64 v[5:6], -v[1:2], v[3:4], 1.0
	v_fma_f64 v[3:4], v[3:4], v[5:6], v[3:4]
	v_div_scale_f64 v[5:6], vcc, v[11:12], v[9:10], v[11:12]
	v_fma_f64 v[7:8], -v[1:2], v[3:4], 1.0
	v_fma_f64 v[3:4], v[3:4], v[7:8], v[3:4]
	v_mul_f64 v[7:8], v[5:6], v[3:4]
	v_fma_f64 v[1:2], -v[1:2], v[7:8], v[5:6]
	v_div_fmas_f64 v[1:2], v[1:2], v[3:4], v[7:8]
	v_div_fixup_f64 v[1:2], v[1:2], v[9:10], v[11:12]
	v_fma_f64 v[3:4], v[11:12], v[1:2], v[9:10]
	v_div_scale_f64 v[5:6], s[10:11], v[3:4], v[3:4], 1.0
	v_rcp_f64_e32 v[7:8], v[5:6]
	v_fma_f64 v[9:10], -v[5:6], v[7:8], 1.0
	v_fma_f64 v[7:8], v[7:8], v[9:10], v[7:8]
	v_div_scale_f64 v[9:10], vcc, 1.0, v[3:4], 1.0
	v_fma_f64 v[11:12], -v[5:6], v[7:8], 1.0
	v_fma_f64 v[7:8], v[7:8], v[11:12], v[7:8]
	v_mul_f64 v[11:12], v[9:10], v[7:8]
	v_fma_f64 v[5:6], -v[5:6], v[11:12], v[9:10]
	v_div_fmas_f64 v[5:6], v[5:6], v[7:8], v[11:12]
	v_fma_f64 v[7:8], v[1:2], v[15:16], v[13:14]
	v_div_fixup_f64 v[3:4], v[5:6], v[3:4], 1.0
	v_fma_f64 v[5:6], -v[1:2], v[13:14], v[15:16]
	v_mul_f64 v[1:2], v[7:8], v[3:4]
	v_mul_f64 v[3:4], v[5:6], v[3:4]
.LBB208_65:                             ;   in Loop: Header=BB208_47 Depth=1
	s_add_i32 s16, s15, -4
	s_sub_i32 s14, s14, 64
	s_cmp_lt_i32 s15, 7
	ds_write_b128 v27, v[1:4]
	s_cbranch_scc1 .LBB208_67
; %bb.66:                               ;   in Loop: Header=BB208_47 Depth=1
	s_mov_b32 s15, s16
	s_branch .LBB208_47
.LBB208_67:
	s_cmp_lt_i32 s16, 0
	s_cbranch_scc1 .LBB208_76
; %bb.68:
	s_lshl_b32 s10, s25, 7
	s_lshl_b32 s11, s16, 4
	s_add_i32 s11, s10, s11
	v_lshl_or_b32 v1, v0, 4, s10
	s_add_i32 s14, s11, 0xffffff80
	v_add_u32_e32 v13, 0x380, v1
	s_branch .LBB208_70
.LBB208_69:                             ;   in Loop: Header=BB208_70 Depth=1
	v_sub_co_u32_e64 v1, s[10:11], s16, 1
	v_readfirstlane_b32 s16, v1
	s_add_i32 s14, s14, -16
	s_and_b64 vcc, exec, s[10:11]
	ds_write_b128 v14, v[9:12]
	s_cbranch_vccnz .LBB208_76
.LBB208_70:                             ; =>This Loop Header: Depth=1
                                        ;     Child Loop BB208_71 Depth 2
	s_lshl_b32 s10, s16, 7
	v_add_u32_e32 v14, s10, v25
	ds_read_b128 v[1:4], v14
	s_cmp_le_i32 s13, s16
	v_mov_b32_e32 v5, v13
	s_mov_b32 s11, s14
	s_mov_b32 s15, s13
	s_cbranch_scc1 .LBB208_72
.LBB208_71:                             ;   Parent Loop BB208_70 Depth=1
                                        ; =>  This Inner Loop Header: Depth=2
	v_mov_b32_e32 v10, s11
	ds_read_b128 v[6:9], v5
	ds_read_b128 v[15:18], v10
	s_add_i32 s15, s15, -1
	s_addk_i32 s11, 0xff80
	s_cmp_le_u32 s15, s16
	v_add_u32_e32 v5, 0xffffff80, v5
	s_waitcnt lgkmcnt(0)
	v_mul_f64 v[10:11], v[17:18], v[8:9]
	v_mul_f64 v[8:9], v[15:16], v[8:9]
	v_fma_f64 v[10:11], v[15:16], v[6:7], -v[10:11]
	v_fma_f64 v[6:7], v[17:18], v[6:7], v[8:9]
	v_add_f64 v[1:2], v[1:2], -v[10:11]
	v_add_f64 v[3:4], v[3:4], -v[6:7]
	s_cbranch_scc0 .LBB208_71
.LBB208_72:                             ;   in Loop: Header=BB208_70 Depth=1
	s_lshl_b32 s11, s16, 4
	s_add_i32 s10, s11, s10
	v_mov_b32_e32 v5, s10
	ds_read_b128 v[5:8], v5
	s_mov_b64 s[10:11], -1
                                        ; implicit-def: $vgpr9_vgpr10
	s_waitcnt lgkmcnt(0)
	v_cmp_ngt_f64_e64 s[18:19], |v[5:6]|, |v[7:8]|
	s_and_b64 vcc, exec, s[18:19]
	s_cbranch_vccz .LBB208_74
; %bb.73:                               ;   in Loop: Header=BB208_70 Depth=1
	v_div_scale_f64 v[9:10], s[10:11], v[7:8], v[7:8], v[5:6]
	v_rcp_f64_e32 v[11:12], v[9:10]
	v_fma_f64 v[15:16], -v[9:10], v[11:12], 1.0
	v_fma_f64 v[11:12], v[11:12], v[15:16], v[11:12]
	v_div_scale_f64 v[15:16], vcc, v[5:6], v[7:8], v[5:6]
	v_fma_f64 v[17:18], -v[9:10], v[11:12], 1.0
	v_fma_f64 v[11:12], v[11:12], v[17:18], v[11:12]
	v_mul_f64 v[17:18], v[15:16], v[11:12]
	v_fma_f64 v[9:10], -v[9:10], v[17:18], v[15:16]
	v_div_fmas_f64 v[9:10], v[9:10], v[11:12], v[17:18]
	v_div_fixup_f64 v[9:10], v[9:10], v[7:8], v[5:6]
	v_fma_f64 v[11:12], v[5:6], v[9:10], v[7:8]
	v_div_scale_f64 v[15:16], s[10:11], v[11:12], v[11:12], 1.0
	s_mov_b64 s[10:11], 0
	v_rcp_f64_e32 v[17:18], v[15:16]
	v_fma_f64 v[19:20], -v[15:16], v[17:18], 1.0
	v_fma_f64 v[17:18], v[17:18], v[19:20], v[17:18]
	v_div_scale_f64 v[19:20], vcc, 1.0, v[11:12], 1.0
	v_fma_f64 v[21:22], -v[15:16], v[17:18], 1.0
	v_fma_f64 v[17:18], v[17:18], v[21:22], v[17:18]
	v_mul_f64 v[21:22], v[19:20], v[17:18]
	v_fma_f64 v[15:16], -v[15:16], v[21:22], v[19:20]
	v_div_fmas_f64 v[15:16], v[15:16], v[17:18], v[21:22]
	v_fma_f64 v[17:18], v[1:2], v[9:10], v[3:4]
	v_div_fixup_f64 v[11:12], v[15:16], v[11:12], 1.0
	v_fma_f64 v[15:16], v[3:4], v[9:10], -v[1:2]
	v_mul_f64 v[9:10], v[17:18], v[11:12]
	v_mul_f64 v[11:12], v[15:16], v[11:12]
.LBB208_74:                             ;   in Loop: Header=BB208_70 Depth=1
	s_andn2_b64 vcc, exec, s[10:11]
	s_cbranch_vccnz .LBB208_69
; %bb.75:                               ;   in Loop: Header=BB208_70 Depth=1
	v_div_scale_f64 v[9:10], s[10:11], v[5:6], v[5:6], v[7:8]
	v_rcp_f64_e32 v[11:12], v[9:10]
	v_fma_f64 v[15:16], -v[9:10], v[11:12], 1.0
	v_fma_f64 v[11:12], v[11:12], v[15:16], v[11:12]
	v_div_scale_f64 v[15:16], vcc, v[7:8], v[5:6], v[7:8]
	v_fma_f64 v[17:18], -v[9:10], v[11:12], 1.0
	v_fma_f64 v[11:12], v[11:12], v[17:18], v[11:12]
	v_mul_f64 v[17:18], v[15:16], v[11:12]
	v_fma_f64 v[9:10], -v[9:10], v[17:18], v[15:16]
	v_div_fmas_f64 v[9:10], v[9:10], v[11:12], v[17:18]
	v_div_fixup_f64 v[9:10], v[9:10], v[5:6], v[7:8]
	v_fma_f64 v[5:6], v[7:8], v[9:10], v[5:6]
	v_div_scale_f64 v[7:8], s[10:11], v[5:6], v[5:6], 1.0
	v_rcp_f64_e32 v[11:12], v[7:8]
	v_fma_f64 v[15:16], -v[7:8], v[11:12], 1.0
	v_fma_f64 v[11:12], v[11:12], v[15:16], v[11:12]
	v_div_scale_f64 v[15:16], vcc, 1.0, v[5:6], 1.0
	v_fma_f64 v[17:18], -v[7:8], v[11:12], 1.0
	v_fma_f64 v[11:12], v[11:12], v[17:18], v[11:12]
	v_mul_f64 v[17:18], v[15:16], v[11:12]
	v_fma_f64 v[7:8], -v[7:8], v[17:18], v[15:16]
	v_div_fmas_f64 v[7:8], v[7:8], v[11:12], v[17:18]
	v_fma_f64 v[11:12], v[3:4], v[9:10], v[1:2]
	v_fma_f64 v[1:2], -v[1:2], v[9:10], v[3:4]
	v_div_fixup_f64 v[5:6], v[7:8], v[5:6], 1.0
	v_mul_f64 v[9:10], v[11:12], v[5:6]
	v_mul_f64 v[11:12], v[1:2], v[5:6]
	s_branch .LBB208_69
.LBB208_76:
	s_mov_b64 s[14:15], 0
.LBB208_77:
	s_andn2_b64 vcc, exec, s[14:15]
	s_cbranch_vccnz .LBB208_109
; %bb.78:
	s_andn2_b64 vcc, exec, s[8:9]
	s_mov_b32 s14, s13
	s_cbranch_vccnz .LBB208_100
; %bb.79:
	v_lshlrev_b32_e32 v1, 4, v0
	v_lshl_or_b32 v1, s25, 7, v1
	s_mul_i32 s8, s25, 0x90
	v_add_u32_e32 v26, 0x380, v1
	s_add_i32 s10, s8, 0xfffffdf0
	s_mov_b32 s11, s13
.LBB208_80:                             ; =>This Loop Header: Depth=1
                                        ;     Child Loop BB208_81 Depth 2
	s_add_i32 s15, s11, -2
	v_lshl_add_u32 v30, s11, 7, v25
	s_add_i32 s17, s11, -1
	v_lshl_add_u32 v28, s15, 7, v25
	;; [unrolled: 2-line block ×3, first 2 shown]
	ds_read_b128 v[17:20], v30
	ds_read_b128 v[13:16], v29
	v_lshl_add_u32 v27, s14, 7, v25
	ds_read_b128 v[5:8], v28
	ds_read_b128 v[1:4], v27
	s_cmp_le_i32 s13, s11
	s_mov_b32 s8, s10
	v_mov_b32_e32 v9, v26
	s_mov_b32 s9, s13
	s_cbranch_scc1 .LBB208_82
.LBB208_81:                             ;   Parent Loop BB208_80 Depth=1
                                        ; =>  This Inner Loop Header: Depth=2
	v_mov_b32_e32 v12, s8
	ds_read_b128 v[21:24], v9
	ds_read_b128 v[31:34], v12 offset:384
	s_add_i32 s9, s9, -1
	s_add_i32 s8, s8, -16
	v_add_u32_e32 v9, 0xffffff80, v9
	s_cmp_le_i32 s9, s11
	s_waitcnt lgkmcnt(0)
	v_mul_f64 v[10:11], v[23:24], v[33:34]
	v_mul_f64 v[33:34], v[21:22], v[33:34]
	v_fma_f64 v[10:11], v[21:22], v[31:32], -v[10:11]
	v_fma_f64 v[31:32], v[23:24], v[31:32], v[33:34]
	v_add_f64 v[17:18], v[17:18], -v[10:11]
	v_add_f64 v[19:20], v[19:20], -v[31:32]
	ds_read_b128 v[31:34], v12 offset:256
	s_waitcnt lgkmcnt(0)
	v_mul_f64 v[10:11], v[23:24], v[33:34]
	v_mul_f64 v[33:34], v[21:22], v[33:34]
	v_fma_f64 v[10:11], v[21:22], v[31:32], -v[10:11]
	v_fma_f64 v[31:32], v[23:24], v[31:32], v[33:34]
	v_add_f64 v[13:14], v[13:14], -v[10:11]
	v_add_f64 v[15:16], v[15:16], -v[31:32]
	ds_read_b128 v[31:34], v12 offset:128
	s_waitcnt lgkmcnt(0)
	v_mul_f64 v[10:11], v[23:24], v[33:34]
	v_mul_f64 v[33:34], v[21:22], v[33:34]
	v_fma_f64 v[10:11], v[21:22], v[31:32], -v[10:11]
	v_fma_f64 v[31:32], v[23:24], v[31:32], v[33:34]
	v_add_f64 v[5:6], v[5:6], -v[10:11]
	v_add_f64 v[7:8], v[7:8], -v[31:32]
	ds_read_b128 v[31:34], v12
	s_waitcnt lgkmcnt(0)
	v_mul_f64 v[10:11], v[23:24], v[33:34]
	v_fma_f64 v[10:11], v[21:22], v[31:32], -v[10:11]
	v_mul_f64 v[21:22], v[21:22], v[33:34]
	v_add_f64 v[1:2], v[1:2], -v[10:11]
	v_fma_f64 v[21:22], v[23:24], v[31:32], v[21:22]
	v_add_f64 v[3:4], v[3:4], -v[21:22]
	s_cbranch_scc0 .LBB208_81
.LBB208_82:                             ;   in Loop: Header=BB208_80 Depth=1
	s_mul_i32 s8, s11, 0x90
	v_mov_b32_e32 v9, s8
	ds_read_b128 v[21:24], v9
	s_lshl_b32 s18, s17, 3
	s_lshl_b32 s19, s15, 3
	;; [unrolled: 1-line block ×3, first 2 shown]
	s_mov_b64 s[8:9], -1
	s_waitcnt lgkmcnt(0)
	v_cmp_ngt_f64_e64 s[22:23], |v[21:22]|, |v[23:24]|
                                        ; implicit-def: $vgpr11_vgpr12
	s_and_b64 vcc, exec, s[22:23]
	s_cbranch_vccz .LBB208_84
; %bb.83:                               ;   in Loop: Header=BB208_80 Depth=1
	v_div_scale_f64 v[9:10], s[8:9], v[23:24], v[23:24], v[21:22]
	v_rcp_f64_e32 v[11:12], v[9:10]
	v_fma_f64 v[31:32], -v[9:10], v[11:12], 1.0
	v_fma_f64 v[11:12], v[11:12], v[31:32], v[11:12]
	v_div_scale_f64 v[31:32], vcc, v[21:22], v[23:24], v[21:22]
	v_fma_f64 v[33:34], -v[9:10], v[11:12], 1.0
	v_fma_f64 v[11:12], v[11:12], v[33:34], v[11:12]
	v_mul_f64 v[33:34], v[31:32], v[11:12]
	v_fma_f64 v[9:10], -v[9:10], v[33:34], v[31:32]
	v_div_fmas_f64 v[9:10], v[9:10], v[11:12], v[33:34]
	v_div_fixup_f64 v[9:10], v[9:10], v[23:24], v[21:22]
	v_fma_f64 v[11:12], v[21:22], v[9:10], v[23:24]
	v_div_scale_f64 v[31:32], s[8:9], v[11:12], v[11:12], 1.0
	s_mov_b64 s[8:9], 0
	v_rcp_f64_e32 v[33:34], v[31:32]
	v_fma_f64 v[35:36], -v[31:32], v[33:34], 1.0
	v_fma_f64 v[33:34], v[33:34], v[35:36], v[33:34]
	v_div_scale_f64 v[35:36], vcc, 1.0, v[11:12], 1.0
	v_fma_f64 v[37:38], -v[31:32], v[33:34], 1.0
	v_fma_f64 v[33:34], v[33:34], v[37:38], v[33:34]
	v_mul_f64 v[37:38], v[35:36], v[33:34]
	v_fma_f64 v[31:32], -v[31:32], v[37:38], v[35:36]
	v_div_fmas_f64 v[31:32], v[31:32], v[33:34], v[37:38]
	v_fma_f64 v[33:34], v[17:18], v[9:10], v[19:20]
	v_div_fixup_f64 v[11:12], v[31:32], v[11:12], 1.0
	v_fma_f64 v[31:32], v[19:20], v[9:10], -v[17:18]
	v_mul_f64 v[9:10], v[33:34], v[11:12]
	v_mul_f64 v[11:12], v[31:32], v[11:12]
.LBB208_84:                             ;   in Loop: Header=BB208_80 Depth=1
	s_andn2_b64 vcc, exec, s[8:9]
	s_cbranch_vccnz .LBB208_86
; %bb.85:                               ;   in Loop: Header=BB208_80 Depth=1
	v_div_scale_f64 v[9:10], s[8:9], v[21:22], v[21:22], v[23:24]
	v_rcp_f64_e32 v[11:12], v[9:10]
	v_fma_f64 v[31:32], -v[9:10], v[11:12], 1.0
	v_fma_f64 v[11:12], v[11:12], v[31:32], v[11:12]
	v_div_scale_f64 v[31:32], vcc, v[23:24], v[21:22], v[23:24]
	v_fma_f64 v[33:34], -v[9:10], v[11:12], 1.0
	v_fma_f64 v[11:12], v[11:12], v[33:34], v[11:12]
	v_mul_f64 v[33:34], v[31:32], v[11:12]
	v_fma_f64 v[9:10], -v[9:10], v[33:34], v[31:32]
	v_div_fmas_f64 v[9:10], v[9:10], v[11:12], v[33:34]
	v_div_fixup_f64 v[9:10], v[9:10], v[21:22], v[23:24]
	v_fma_f64 v[11:12], v[23:24], v[9:10], v[21:22]
	v_div_scale_f64 v[21:22], s[8:9], v[11:12], v[11:12], 1.0
	v_rcp_f64_e32 v[23:24], v[21:22]
	v_fma_f64 v[31:32], -v[21:22], v[23:24], 1.0
	v_fma_f64 v[23:24], v[23:24], v[31:32], v[23:24]
	v_div_scale_f64 v[31:32], vcc, 1.0, v[11:12], 1.0
	v_fma_f64 v[33:34], -v[21:22], v[23:24], 1.0
	v_fma_f64 v[23:24], v[23:24], v[33:34], v[23:24]
	v_mul_f64 v[33:34], v[31:32], v[23:24]
	v_fma_f64 v[21:22], -v[21:22], v[33:34], v[31:32]
	v_div_fmas_f64 v[21:22], v[21:22], v[23:24], v[33:34]
	v_fma_f64 v[23:24], v[19:20], v[9:10], v[17:18]
	v_fma_f64 v[17:18], -v[17:18], v[9:10], v[19:20]
	v_div_fixup_f64 v[11:12], v[21:22], v[11:12], 1.0
	v_mul_f64 v[9:10], v[23:24], v[11:12]
	v_mul_f64 v[11:12], v[17:18], v[11:12]
.LBB208_86:                             ;   in Loop: Header=BB208_80 Depth=1
	s_lshl_b32 s8, s18, 4
	s_lshl_b32 s18, s11, 4
	s_add_i32 s9, s8, s18
	v_mov_b32_e32 v17, s9
	ds_read_b128 v[21:24], v17
	s_lshl_b32 s9, s17, 4
	s_add_i32 s8, s8, s9
	v_mov_b32_e32 v17, s8
	ds_read_b128 v[17:20], v17
	s_waitcnt lgkmcnt(1)
	v_mul_f64 v[31:32], v[11:12], v[23:24]
	v_mul_f64 v[23:24], v[9:10], v[23:24]
	s_mov_b64 s[8:9], -1
	ds_write_b128 v30, v[9:12]
	s_waitcnt lgkmcnt(1)
	v_cmp_ngt_f64_e64 s[22:23], |v[17:18]|, |v[19:20]|
	v_fma_f64 v[31:32], v[9:10], v[21:22], -v[31:32]
	v_fma_f64 v[23:24], v[11:12], v[21:22], v[23:24]
	s_and_b64 vcc, exec, s[22:23]
	v_add_f64 v[21:22], v[13:14], -v[31:32]
	v_add_f64 v[23:24], v[15:16], -v[23:24]
                                        ; implicit-def: $vgpr15_vgpr16
	s_cbranch_vccz .LBB208_88
; %bb.87:                               ;   in Loop: Header=BB208_80 Depth=1
	v_div_scale_f64 v[13:14], s[8:9], v[19:20], v[19:20], v[17:18]
	v_rcp_f64_e32 v[15:16], v[13:14]
	v_fma_f64 v[30:31], -v[13:14], v[15:16], 1.0
	v_fma_f64 v[15:16], v[15:16], v[30:31], v[15:16]
	v_div_scale_f64 v[30:31], vcc, v[17:18], v[19:20], v[17:18]
	v_fma_f64 v[32:33], -v[13:14], v[15:16], 1.0
	v_fma_f64 v[15:16], v[15:16], v[32:33], v[15:16]
	v_mul_f64 v[32:33], v[30:31], v[15:16]
	v_fma_f64 v[13:14], -v[13:14], v[32:33], v[30:31]
	v_div_fmas_f64 v[13:14], v[13:14], v[15:16], v[32:33]
	v_div_fixup_f64 v[13:14], v[13:14], v[19:20], v[17:18]
	v_fma_f64 v[15:16], v[17:18], v[13:14], v[19:20]
	v_div_scale_f64 v[30:31], s[8:9], v[15:16], v[15:16], 1.0
	s_mov_b64 s[8:9], 0
	v_rcp_f64_e32 v[32:33], v[30:31]
	v_fma_f64 v[34:35], -v[30:31], v[32:33], 1.0
	v_fma_f64 v[32:33], v[32:33], v[34:35], v[32:33]
	v_div_scale_f64 v[34:35], vcc, 1.0, v[15:16], 1.0
	v_fma_f64 v[36:37], -v[30:31], v[32:33], 1.0
	v_fma_f64 v[32:33], v[32:33], v[36:37], v[32:33]
	v_mul_f64 v[36:37], v[34:35], v[32:33]
	v_fma_f64 v[30:31], -v[30:31], v[36:37], v[34:35]
	v_div_fmas_f64 v[30:31], v[30:31], v[32:33], v[36:37]
	v_fma_f64 v[32:33], v[13:14], v[21:22], v[23:24]
	v_div_fixup_f64 v[15:16], v[30:31], v[15:16], 1.0
	v_fma_f64 v[30:31], v[13:14], v[23:24], -v[21:22]
	v_mul_f64 v[13:14], v[32:33], v[15:16]
	v_mul_f64 v[15:16], v[30:31], v[15:16]
.LBB208_88:                             ;   in Loop: Header=BB208_80 Depth=1
	s_andn2_b64 vcc, exec, s[8:9]
	s_cbranch_vccnz .LBB208_90
; %bb.89:                               ;   in Loop: Header=BB208_80 Depth=1
	v_div_scale_f64 v[13:14], s[8:9], v[17:18], v[17:18], v[19:20]
	v_rcp_f64_e32 v[15:16], v[13:14]
	v_fma_f64 v[30:31], -v[13:14], v[15:16], 1.0
	v_fma_f64 v[15:16], v[15:16], v[30:31], v[15:16]
	v_div_scale_f64 v[30:31], vcc, v[19:20], v[17:18], v[19:20]
	v_fma_f64 v[32:33], -v[13:14], v[15:16], 1.0
	v_fma_f64 v[15:16], v[15:16], v[32:33], v[15:16]
	v_mul_f64 v[32:33], v[30:31], v[15:16]
	v_fma_f64 v[13:14], -v[13:14], v[32:33], v[30:31]
	v_div_fmas_f64 v[13:14], v[13:14], v[15:16], v[32:33]
	v_div_fixup_f64 v[13:14], v[13:14], v[17:18], v[19:20]
	v_fma_f64 v[15:16], v[19:20], v[13:14], v[17:18]
	v_div_scale_f64 v[17:18], s[8:9], v[15:16], v[15:16], 1.0
	v_rcp_f64_e32 v[19:20], v[17:18]
	v_fma_f64 v[30:31], -v[17:18], v[19:20], 1.0
	v_fma_f64 v[19:20], v[19:20], v[30:31], v[19:20]
	v_div_scale_f64 v[30:31], vcc, 1.0, v[15:16], 1.0
	v_fma_f64 v[32:33], -v[17:18], v[19:20], 1.0
	v_fma_f64 v[19:20], v[19:20], v[32:33], v[19:20]
	v_mul_f64 v[32:33], v[30:31], v[19:20]
	v_fma_f64 v[17:18], -v[17:18], v[32:33], v[30:31]
	v_div_fmas_f64 v[17:18], v[17:18], v[19:20], v[32:33]
	v_fma_f64 v[19:20], v[13:14], v[23:24], v[21:22]
	v_div_fixup_f64 v[15:16], v[17:18], v[15:16], 1.0
	v_fma_f64 v[17:18], -v[13:14], v[21:22], v[23:24]
	v_mul_f64 v[13:14], v[19:20], v[15:16]
	v_mul_f64 v[15:16], v[17:18], v[15:16]
.LBB208_90:                             ;   in Loop: Header=BB208_80 Depth=1
	s_lshl_b32 s8, s19, 4
	s_add_i32 s9, s8, s18
	v_mov_b32_e32 v17, s9
	ds_read_b128 v[17:20], v17
	s_add_i32 s9, s9, -16
	v_mov_b32_e32 v21, s9
	ds_read_b128 v[21:24], v21
	s_lshl_b32 s9, s15, 4
	s_waitcnt lgkmcnt(1)
	v_mul_f64 v[30:31], v[11:12], v[19:20]
	v_mul_f64 v[19:20], v[9:10], v[19:20]
	s_add_i32 s8, s8, s9
	s_waitcnt lgkmcnt(0)
	v_mul_f64 v[32:33], v[15:16], v[23:24]
	v_mul_f64 v[23:24], v[13:14], v[23:24]
	ds_write_b128 v29, v[13:16]
	v_fma_f64 v[30:31], v[9:10], v[17:18], -v[30:31]
	v_fma_f64 v[34:35], v[11:12], v[17:18], v[19:20]
	v_mov_b32_e32 v17, s8
	v_fma_f64 v[32:33], v[13:14], v[21:22], -v[32:33]
	v_fma_f64 v[23:24], v[15:16], v[21:22], v[23:24]
	ds_read_b128 v[17:20], v17
	s_mov_b64 s[8:9], -1
	v_add_f64 v[5:6], v[5:6], -v[30:31]
	v_add_f64 v[7:8], v[7:8], -v[34:35]
	s_waitcnt lgkmcnt(0)
	v_cmp_ngt_f64_e64 s[22:23], |v[17:18]|, |v[19:20]|
	v_add_f64 v[21:22], v[5:6], -v[32:33]
	v_add_f64 v[23:24], v[7:8], -v[23:24]
	s_and_b64 vcc, exec, s[22:23]
                                        ; implicit-def: $vgpr7_vgpr8
	s_cbranch_vccz .LBB208_92
; %bb.91:                               ;   in Loop: Header=BB208_80 Depth=1
	v_div_scale_f64 v[5:6], s[8:9], v[19:20], v[19:20], v[17:18]
	v_rcp_f64_e32 v[7:8], v[5:6]
	v_fma_f64 v[29:30], -v[5:6], v[7:8], 1.0
	v_fma_f64 v[7:8], v[7:8], v[29:30], v[7:8]
	v_div_scale_f64 v[29:30], vcc, v[17:18], v[19:20], v[17:18]
	v_fma_f64 v[31:32], -v[5:6], v[7:8], 1.0
	v_fma_f64 v[7:8], v[7:8], v[31:32], v[7:8]
	v_mul_f64 v[31:32], v[29:30], v[7:8]
	v_fma_f64 v[5:6], -v[5:6], v[31:32], v[29:30]
	v_div_fmas_f64 v[5:6], v[5:6], v[7:8], v[31:32]
	v_div_fixup_f64 v[5:6], v[5:6], v[19:20], v[17:18]
	v_fma_f64 v[7:8], v[17:18], v[5:6], v[19:20]
	v_div_scale_f64 v[29:30], s[8:9], v[7:8], v[7:8], 1.0
	s_mov_b64 s[8:9], 0
	v_rcp_f64_e32 v[31:32], v[29:30]
	v_fma_f64 v[33:34], -v[29:30], v[31:32], 1.0
	v_fma_f64 v[31:32], v[31:32], v[33:34], v[31:32]
	v_div_scale_f64 v[33:34], vcc, 1.0, v[7:8], 1.0
	v_fma_f64 v[35:36], -v[29:30], v[31:32], 1.0
	v_fma_f64 v[31:32], v[31:32], v[35:36], v[31:32]
	v_mul_f64 v[35:36], v[33:34], v[31:32]
	v_fma_f64 v[29:30], -v[29:30], v[35:36], v[33:34]
	v_div_fmas_f64 v[29:30], v[29:30], v[31:32], v[35:36]
	v_fma_f64 v[31:32], v[5:6], v[21:22], v[23:24]
	v_div_fixup_f64 v[7:8], v[29:30], v[7:8], 1.0
	v_fma_f64 v[29:30], v[5:6], v[23:24], -v[21:22]
	v_mul_f64 v[5:6], v[31:32], v[7:8]
	v_mul_f64 v[7:8], v[29:30], v[7:8]
.LBB208_92:                             ;   in Loop: Header=BB208_80 Depth=1
	s_andn2_b64 vcc, exec, s[8:9]
	s_cbranch_vccnz .LBB208_94
; %bb.93:                               ;   in Loop: Header=BB208_80 Depth=1
	v_div_scale_f64 v[5:6], s[8:9], v[17:18], v[17:18], v[19:20]
	v_rcp_f64_e32 v[7:8], v[5:6]
	v_fma_f64 v[29:30], -v[5:6], v[7:8], 1.0
	v_fma_f64 v[7:8], v[7:8], v[29:30], v[7:8]
	v_div_scale_f64 v[29:30], vcc, v[19:20], v[17:18], v[19:20]
	v_fma_f64 v[31:32], -v[5:6], v[7:8], 1.0
	v_fma_f64 v[7:8], v[7:8], v[31:32], v[7:8]
	v_mul_f64 v[31:32], v[29:30], v[7:8]
	v_fma_f64 v[5:6], -v[5:6], v[31:32], v[29:30]
	v_div_fmas_f64 v[5:6], v[5:6], v[7:8], v[31:32]
	v_div_fixup_f64 v[5:6], v[5:6], v[17:18], v[19:20]
	v_fma_f64 v[7:8], v[19:20], v[5:6], v[17:18]
	v_div_scale_f64 v[17:18], s[8:9], v[7:8], v[7:8], 1.0
	v_rcp_f64_e32 v[19:20], v[17:18]
	v_fma_f64 v[29:30], -v[17:18], v[19:20], 1.0
	v_fma_f64 v[19:20], v[19:20], v[29:30], v[19:20]
	v_div_scale_f64 v[29:30], vcc, 1.0, v[7:8], 1.0
	v_fma_f64 v[31:32], -v[17:18], v[19:20], 1.0
	v_fma_f64 v[19:20], v[19:20], v[31:32], v[19:20]
	v_mul_f64 v[31:32], v[29:30], v[19:20]
	v_fma_f64 v[17:18], -v[17:18], v[31:32], v[29:30]
	v_div_fmas_f64 v[17:18], v[17:18], v[19:20], v[31:32]
	v_fma_f64 v[19:20], v[5:6], v[23:24], v[21:22]
	v_div_fixup_f64 v[7:8], v[17:18], v[7:8], 1.0
	v_fma_f64 v[17:18], -v[5:6], v[21:22], v[23:24]
	v_mul_f64 v[5:6], v[19:20], v[7:8]
	v_mul_f64 v[7:8], v[17:18], v[7:8]
.LBB208_94:                             ;   in Loop: Header=BB208_80 Depth=1
	s_lshl_b32 s8, s16, 4
	s_add_i32 s9, s8, s18
	v_mov_b32_e32 v17, s9
	ds_read_b128 v[17:20], v17
	s_add_i32 s15, s9, -16
	s_sub_i32 s9, s9, 32
	v_mov_b32_e32 v29, s9
	ds_read_b128 v[29:32], v29
	s_waitcnt lgkmcnt(1)
	v_mul_f64 v[33:34], v[11:12], v[19:20]
	v_mul_f64 v[19:20], v[9:10], v[19:20]
	v_mov_b32_e32 v21, s15
	ds_read_b128 v[21:24], v21
	s_lshl_b32 s14, s14, 4
	s_add_i32 s8, s8, s14
	ds_write_b128 v28, v[5:8]
	v_fma_f64 v[33:34], v[9:10], v[17:18], -v[33:34]
	v_mov_b32_e32 v9, s8
	v_fma_f64 v[17:18], v[11:12], v[17:18], v[19:20]
	ds_read_b128 v[9:12], v9
	s_waitcnt lgkmcnt(2)
	v_mul_f64 v[35:36], v[15:16], v[23:24]
	v_mul_f64 v[23:24], v[13:14], v[23:24]
	;; [unrolled: 1-line block ×4, first 2 shown]
	v_add_f64 v[1:2], v[1:2], -v[33:34]
	s_waitcnt lgkmcnt(0)
	v_cmp_ngt_f64_e64 s[14:15], |v[9:10]|, |v[11:12]|
	v_add_f64 v[3:4], v[3:4], -v[17:18]
	s_mov_b64 s[8:9], -1
	v_fma_f64 v[13:14], v[13:14], v[21:22], -v[35:36]
	v_fma_f64 v[15:16], v[15:16], v[21:22], v[23:24]
	v_fma_f64 v[17:18], v[5:6], v[29:30], -v[19:20]
	v_fma_f64 v[19:20], v[7:8], v[29:30], v[31:32]
	s_and_b64 vcc, exec, s[14:15]
	v_add_f64 v[1:2], v[1:2], -v[13:14]
	v_add_f64 v[3:4], v[3:4], -v[15:16]
	;; [unrolled: 1-line block ×4, first 2 shown]
                                        ; implicit-def: $vgpr3_vgpr4
	s_cbranch_vccz .LBB208_96
; %bb.95:                               ;   in Loop: Header=BB208_80 Depth=1
	v_div_scale_f64 v[1:2], s[8:9], v[11:12], v[11:12], v[9:10]
	v_rcp_f64_e32 v[3:4], v[1:2]
	v_fma_f64 v[5:6], -v[1:2], v[3:4], 1.0
	v_fma_f64 v[3:4], v[3:4], v[5:6], v[3:4]
	v_div_scale_f64 v[5:6], vcc, v[9:10], v[11:12], v[9:10]
	v_fma_f64 v[7:8], -v[1:2], v[3:4], 1.0
	v_fma_f64 v[3:4], v[3:4], v[7:8], v[3:4]
	v_mul_f64 v[7:8], v[5:6], v[3:4]
	v_fma_f64 v[1:2], -v[1:2], v[7:8], v[5:6]
	v_div_fmas_f64 v[1:2], v[1:2], v[3:4], v[7:8]
	v_div_fixup_f64 v[1:2], v[1:2], v[11:12], v[9:10]
	v_fma_f64 v[3:4], v[9:10], v[1:2], v[11:12]
	v_div_scale_f64 v[5:6], s[8:9], v[3:4], v[3:4], 1.0
	s_mov_b64 s[8:9], 0
	v_rcp_f64_e32 v[7:8], v[5:6]
	v_fma_f64 v[17:18], -v[5:6], v[7:8], 1.0
	v_fma_f64 v[7:8], v[7:8], v[17:18], v[7:8]
	v_div_scale_f64 v[17:18], vcc, 1.0, v[3:4], 1.0
	v_fma_f64 v[19:20], -v[5:6], v[7:8], 1.0
	v_fma_f64 v[7:8], v[7:8], v[19:20], v[7:8]
	v_mul_f64 v[19:20], v[17:18], v[7:8]
	v_fma_f64 v[5:6], -v[5:6], v[19:20], v[17:18]
	v_div_fmas_f64 v[5:6], v[5:6], v[7:8], v[19:20]
	v_fma_f64 v[7:8], v[1:2], v[13:14], v[15:16]
	v_div_fixup_f64 v[3:4], v[5:6], v[3:4], 1.0
	v_fma_f64 v[5:6], v[1:2], v[15:16], -v[13:14]
	v_mul_f64 v[1:2], v[7:8], v[3:4]
	v_mul_f64 v[3:4], v[5:6], v[3:4]
.LBB208_96:                             ;   in Loop: Header=BB208_80 Depth=1
	s_andn2_b64 vcc, exec, s[8:9]
	s_cbranch_vccnz .LBB208_98
; %bb.97:                               ;   in Loop: Header=BB208_80 Depth=1
	v_div_scale_f64 v[1:2], s[8:9], v[9:10], v[9:10], v[11:12]
	v_rcp_f64_e32 v[3:4], v[1:2]
	v_fma_f64 v[5:6], -v[1:2], v[3:4], 1.0
	v_fma_f64 v[3:4], v[3:4], v[5:6], v[3:4]
	v_div_scale_f64 v[5:6], vcc, v[11:12], v[9:10], v[11:12]
	v_fma_f64 v[7:8], -v[1:2], v[3:4], 1.0
	v_fma_f64 v[3:4], v[3:4], v[7:8], v[3:4]
	v_mul_f64 v[7:8], v[5:6], v[3:4]
	v_fma_f64 v[1:2], -v[1:2], v[7:8], v[5:6]
	v_div_fmas_f64 v[1:2], v[1:2], v[3:4], v[7:8]
	v_div_fixup_f64 v[1:2], v[1:2], v[9:10], v[11:12]
	v_fma_f64 v[3:4], v[11:12], v[1:2], v[9:10]
	v_div_scale_f64 v[5:6], s[8:9], v[3:4], v[3:4], 1.0
	v_rcp_f64_e32 v[7:8], v[5:6]
	v_fma_f64 v[9:10], -v[5:6], v[7:8], 1.0
	v_fma_f64 v[7:8], v[7:8], v[9:10], v[7:8]
	v_div_scale_f64 v[9:10], vcc, 1.0, v[3:4], 1.0
	v_fma_f64 v[11:12], -v[5:6], v[7:8], 1.0
	v_fma_f64 v[7:8], v[7:8], v[11:12], v[7:8]
	v_mul_f64 v[11:12], v[9:10], v[7:8]
	v_fma_f64 v[5:6], -v[5:6], v[11:12], v[9:10]
	v_div_fmas_f64 v[5:6], v[5:6], v[7:8], v[11:12]
	v_fma_f64 v[7:8], v[1:2], v[15:16], v[13:14]
	v_div_fixup_f64 v[3:4], v[5:6], v[3:4], 1.0
	v_fma_f64 v[5:6], -v[1:2], v[13:14], v[15:16]
	v_mul_f64 v[1:2], v[7:8], v[3:4]
	v_mul_f64 v[3:4], v[5:6], v[3:4]
.LBB208_98:                             ;   in Loop: Header=BB208_80 Depth=1
	s_add_i32 s14, s11, -4
	s_addk_i32 s10, 0xfe00
	s_cmp_lt_i32 s11, 7
	ds_write_b128 v27, v[1:4]
	s_cbranch_scc1 .LBB208_100
; %bb.99:                               ;   in Loop: Header=BB208_80 Depth=1
	s_mov_b32 s11, s14
	s_branch .LBB208_80
.LBB208_100:
	s_cmp_lt_i32 s14, 0
	s_cbranch_scc1 .LBB208_109
; %bb.101:
	v_lshlrev_b32_e32 v1, 4, v0
	s_lshl_b32 s8, s14, 7
	s_lshl_b32 s9, s25, 4
	v_lshl_or_b32 v1, s25, 7, v1
	s_add_i32 s8, s8, s9
	v_add_u32_e32 v13, 0x380, v1
	s_add_i32 s10, s8, -16
	s_branch .LBB208_103
.LBB208_102:                            ;   in Loop: Header=BB208_103 Depth=1
	v_sub_co_u32_e64 v1, s[8:9], s14, 1
	v_readfirstlane_b32 s14, v1
	s_addk_i32 s10, 0xff80
	s_and_b64 vcc, exec, s[8:9]
	ds_write_b128 v14, v[9:12]
	s_cbranch_vccnz .LBB208_109
.LBB208_103:                            ; =>This Loop Header: Depth=1
                                        ;     Child Loop BB208_104 Depth 2
	v_lshl_add_u32 v14, s14, 7, v25
	ds_read_b128 v[1:4], v14
	s_cmp_le_i32 s13, s14
	s_mov_b32 s8, s10
	v_mov_b32_e32 v5, v13
	s_mov_b32 s9, s13
	s_cbranch_scc1 .LBB208_105
.LBB208_104:                            ;   Parent Loop BB208_103 Depth=1
                                        ; =>  This Inner Loop Header: Depth=2
	v_mov_b32_e32 v10, s8
	ds_read_b128 v[6:9], v5
	ds_read_b128 v[15:18], v10
	s_add_i32 s9, s9, -1
	s_add_i32 s8, s8, -16
	s_cmp_le_u32 s9, s14
	v_add_u32_e32 v5, 0xffffff80, v5
	s_waitcnt lgkmcnt(0)
	v_mul_f64 v[10:11], v[17:18], v[8:9]
	v_mul_f64 v[8:9], v[15:16], v[8:9]
	v_fma_f64 v[10:11], v[15:16], v[6:7], -v[10:11]
	v_fma_f64 v[6:7], v[17:18], v[6:7], v[8:9]
	v_add_f64 v[1:2], v[1:2], -v[10:11]
	v_add_f64 v[3:4], v[3:4], -v[6:7]
	s_cbranch_scc0 .LBB208_104
.LBB208_105:                            ;   in Loop: Header=BB208_103 Depth=1
	s_mul_i32 s8, s14, 0x90
	v_mov_b32_e32 v5, s8
	ds_read_b128 v[5:8], v5
	s_mov_b64 s[8:9], -1
                                        ; implicit-def: $vgpr9_vgpr10
	s_waitcnt lgkmcnt(0)
	v_cmp_ngt_f64_e64 s[16:17], |v[5:6]|, |v[7:8]|
	s_and_b64 vcc, exec, s[16:17]
	s_cbranch_vccz .LBB208_107
; %bb.106:                              ;   in Loop: Header=BB208_103 Depth=1
	v_div_scale_f64 v[9:10], s[8:9], v[7:8], v[7:8], v[5:6]
	v_rcp_f64_e32 v[11:12], v[9:10]
	v_fma_f64 v[15:16], -v[9:10], v[11:12], 1.0
	v_fma_f64 v[11:12], v[11:12], v[15:16], v[11:12]
	v_div_scale_f64 v[15:16], vcc, v[5:6], v[7:8], v[5:6]
	v_fma_f64 v[17:18], -v[9:10], v[11:12], 1.0
	v_fma_f64 v[11:12], v[11:12], v[17:18], v[11:12]
	v_mul_f64 v[17:18], v[15:16], v[11:12]
	v_fma_f64 v[9:10], -v[9:10], v[17:18], v[15:16]
	v_div_fmas_f64 v[9:10], v[9:10], v[11:12], v[17:18]
	v_div_fixup_f64 v[9:10], v[9:10], v[7:8], v[5:6]
	v_fma_f64 v[11:12], v[5:6], v[9:10], v[7:8]
	v_div_scale_f64 v[15:16], s[8:9], v[11:12], v[11:12], 1.0
	s_mov_b64 s[8:9], 0
	v_rcp_f64_e32 v[17:18], v[15:16]
	v_fma_f64 v[19:20], -v[15:16], v[17:18], 1.0
	v_fma_f64 v[17:18], v[17:18], v[19:20], v[17:18]
	v_div_scale_f64 v[19:20], vcc, 1.0, v[11:12], 1.0
	v_fma_f64 v[21:22], -v[15:16], v[17:18], 1.0
	v_fma_f64 v[17:18], v[17:18], v[21:22], v[17:18]
	v_mul_f64 v[21:22], v[19:20], v[17:18]
	v_fma_f64 v[15:16], -v[15:16], v[21:22], v[19:20]
	v_div_fmas_f64 v[15:16], v[15:16], v[17:18], v[21:22]
	v_fma_f64 v[17:18], v[1:2], v[9:10], v[3:4]
	v_div_fixup_f64 v[11:12], v[15:16], v[11:12], 1.0
	v_fma_f64 v[15:16], v[3:4], v[9:10], -v[1:2]
	v_mul_f64 v[9:10], v[17:18], v[11:12]
	v_mul_f64 v[11:12], v[15:16], v[11:12]
.LBB208_107:                            ;   in Loop: Header=BB208_103 Depth=1
	s_andn2_b64 vcc, exec, s[8:9]
	s_cbranch_vccnz .LBB208_102
; %bb.108:                              ;   in Loop: Header=BB208_103 Depth=1
	v_div_scale_f64 v[9:10], s[8:9], v[5:6], v[5:6], v[7:8]
	v_rcp_f64_e32 v[11:12], v[9:10]
	v_fma_f64 v[15:16], -v[9:10], v[11:12], 1.0
	v_fma_f64 v[11:12], v[11:12], v[15:16], v[11:12]
	v_div_scale_f64 v[15:16], vcc, v[7:8], v[5:6], v[7:8]
	v_fma_f64 v[17:18], -v[9:10], v[11:12], 1.0
	v_fma_f64 v[11:12], v[11:12], v[17:18], v[11:12]
	v_mul_f64 v[17:18], v[15:16], v[11:12]
	v_fma_f64 v[9:10], -v[9:10], v[17:18], v[15:16]
	v_div_fmas_f64 v[9:10], v[9:10], v[11:12], v[17:18]
	v_div_fixup_f64 v[9:10], v[9:10], v[5:6], v[7:8]
	v_fma_f64 v[5:6], v[7:8], v[9:10], v[5:6]
	v_div_scale_f64 v[7:8], s[8:9], v[5:6], v[5:6], 1.0
	v_rcp_f64_e32 v[11:12], v[7:8]
	v_fma_f64 v[15:16], -v[7:8], v[11:12], 1.0
	v_fma_f64 v[11:12], v[11:12], v[15:16], v[11:12]
	v_div_scale_f64 v[15:16], vcc, 1.0, v[5:6], 1.0
	v_fma_f64 v[17:18], -v[7:8], v[11:12], 1.0
	v_fma_f64 v[11:12], v[11:12], v[17:18], v[11:12]
	v_mul_f64 v[17:18], v[15:16], v[11:12]
	v_fma_f64 v[7:8], -v[7:8], v[17:18], v[15:16]
	v_div_fmas_f64 v[7:8], v[7:8], v[11:12], v[17:18]
	v_fma_f64 v[11:12], v[3:4], v[9:10], v[1:2]
	v_fma_f64 v[1:2], -v[1:2], v[9:10], v[3:4]
	v_div_fixup_f64 v[5:6], v[7:8], v[5:6], 1.0
	v_mul_f64 v[9:10], v[11:12], v[5:6]
	v_mul_f64 v[11:12], v[1:2], v[5:6]
	s_branch .LBB208_102
.LBB208_109:
	s_mov_b64 s[14:15], 0
.LBB208_110:
	s_andn2_b64 vcc, exec, s[14:15]
	s_cbranch_vccnz .LBB208_142
; %bb.111:
	v_mov_b32_e32 v1, 0x400
	v_lshl_or_b32 v25, v0, 4, v1
	s_cmp_lt_i32 s24, 4
	s_mov_b32 s13, 0
	s_cbranch_scc1 .LBB208_133
; %bb.112:
	s_mov_b32 s10, 0
	s_mov_b32 s11, 0
.LBB208_113:                            ; =>This Loop Header: Depth=1
                                        ;     Child Loop BB208_114 Depth 2
	s_or_b32 s14, s11, 2
	s_or_b32 s13, s11, 3
	v_lshl_add_u32 v29, s11, 7, v25
	s_or_b32 s16, s11, 1
	v_lshl_add_u32 v27, s14, 7, v25
	v_lshl_add_u32 v28, s16, 7, v25
	ds_read_b128 v[17:20], v29
	ds_read_b128 v[13:16], v28
	v_lshl_add_u32 v26, s13, 7, v25
	ds_read_b128 v[5:8], v27
	ds_read_b128 v[1:4], v26
	s_cmp_eq_u32 s11, 0
	s_mov_b32 s8, s10
	v_mov_b32_e32 v9, v25
	s_mov_b32 s9, s11
	s_cbranch_scc1 .LBB208_115
.LBB208_114:                            ;   Parent Loop BB208_113 Depth=1
                                        ; =>  This Inner Loop Header: Depth=2
	v_mov_b32_e32 v12, s8
	ds_read_b128 v[21:24], v9
	ds_read_b128 v[30:33], v12
	s_add_i32 s9, s9, -1
	s_add_i32 s8, s8, 16
	v_add_u32_e32 v9, 0x80, v9
	s_cmp_eq_u32 s9, 0
	s_waitcnt lgkmcnt(0)
	v_mul_f64 v[10:11], v[23:24], v[32:33]
	v_mul_f64 v[32:33], v[21:22], v[32:33]
	v_fma_f64 v[10:11], v[21:22], v[30:31], -v[10:11]
	v_fma_f64 v[30:31], v[23:24], v[30:31], v[32:33]
	v_add_f64 v[17:18], v[17:18], -v[10:11]
	v_add_f64 v[19:20], v[19:20], -v[30:31]
	ds_read_b128 v[30:33], v12 offset:128
	s_waitcnt lgkmcnt(0)
	v_mul_f64 v[10:11], v[23:24], v[32:33]
	v_mul_f64 v[32:33], v[21:22], v[32:33]
	v_fma_f64 v[10:11], v[21:22], v[30:31], -v[10:11]
	v_fma_f64 v[30:31], v[23:24], v[30:31], v[32:33]
	v_add_f64 v[13:14], v[13:14], -v[10:11]
	v_add_f64 v[15:16], v[15:16], -v[30:31]
	ds_read_b128 v[30:33], v12 offset:256
	;; [unrolled: 8-line block ×3, first 2 shown]
	s_waitcnt lgkmcnt(0)
	v_mul_f64 v[10:11], v[23:24], v[32:33]
	v_fma_f64 v[10:11], v[21:22], v[30:31], -v[10:11]
	v_mul_f64 v[21:22], v[21:22], v[32:33]
	v_add_f64 v[1:2], v[1:2], -v[10:11]
	v_fma_f64 v[21:22], v[23:24], v[30:31], v[21:22]
	v_add_f64 v[3:4], v[3:4], -v[21:22]
	s_cbranch_scc0 .LBB208_114
.LBB208_115:                            ;   in Loop: Header=BB208_113 Depth=1
	s_mul_i32 s8, s11, 0x90
	v_mov_b32_e32 v9, s8
	ds_read_b128 v[21:24], v9
	s_lshl_b32 s17, s16, 3
	s_lshl_b32 s18, s14, 3
	;; [unrolled: 1-line block ×3, first 2 shown]
	s_mov_b64 s[8:9], -1
	s_waitcnt lgkmcnt(0)
	v_cmp_ngt_f64_e64 s[22:23], |v[21:22]|, |v[23:24]|
                                        ; implicit-def: $vgpr11_vgpr12
	s_and_b64 vcc, exec, s[22:23]
	s_cbranch_vccz .LBB208_117
; %bb.116:                              ;   in Loop: Header=BB208_113 Depth=1
	v_div_scale_f64 v[9:10], s[8:9], v[23:24], v[23:24], v[21:22]
	v_rcp_f64_e32 v[11:12], v[9:10]
	v_fma_f64 v[30:31], -v[9:10], v[11:12], 1.0
	v_fma_f64 v[11:12], v[11:12], v[30:31], v[11:12]
	v_div_scale_f64 v[30:31], vcc, v[21:22], v[23:24], v[21:22]
	v_fma_f64 v[32:33], -v[9:10], v[11:12], 1.0
	v_fma_f64 v[11:12], v[11:12], v[32:33], v[11:12]
	v_mul_f64 v[32:33], v[30:31], v[11:12]
	v_fma_f64 v[9:10], -v[9:10], v[32:33], v[30:31]
	v_div_fmas_f64 v[9:10], v[9:10], v[11:12], v[32:33]
	v_div_fixup_f64 v[9:10], v[9:10], v[23:24], v[21:22]
	v_fma_f64 v[11:12], v[21:22], v[9:10], v[23:24]
	v_div_scale_f64 v[30:31], s[8:9], v[11:12], v[11:12], 1.0
	s_mov_b64 s[8:9], 0
	v_rcp_f64_e32 v[32:33], v[30:31]
	v_fma_f64 v[34:35], -v[30:31], v[32:33], 1.0
	v_fma_f64 v[32:33], v[32:33], v[34:35], v[32:33]
	v_div_scale_f64 v[34:35], vcc, 1.0, v[11:12], 1.0
	v_fma_f64 v[36:37], -v[30:31], v[32:33], 1.0
	v_fma_f64 v[32:33], v[32:33], v[36:37], v[32:33]
	v_mul_f64 v[36:37], v[34:35], v[32:33]
	v_fma_f64 v[30:31], -v[30:31], v[36:37], v[34:35]
	v_div_fmas_f64 v[30:31], v[30:31], v[32:33], v[36:37]
	v_fma_f64 v[32:33], v[17:18], v[9:10], v[19:20]
	v_div_fixup_f64 v[11:12], v[30:31], v[11:12], 1.0
	v_fma_f64 v[30:31], v[19:20], v[9:10], -v[17:18]
	v_mul_f64 v[9:10], v[32:33], v[11:12]
	v_mul_f64 v[11:12], v[30:31], v[11:12]
.LBB208_117:                            ;   in Loop: Header=BB208_113 Depth=1
	s_andn2_b64 vcc, exec, s[8:9]
	s_cbranch_vccnz .LBB208_119
; %bb.118:                              ;   in Loop: Header=BB208_113 Depth=1
	v_div_scale_f64 v[9:10], s[8:9], v[21:22], v[21:22], v[23:24]
	v_rcp_f64_e32 v[11:12], v[9:10]
	v_fma_f64 v[30:31], -v[9:10], v[11:12], 1.0
	v_fma_f64 v[11:12], v[11:12], v[30:31], v[11:12]
	v_div_scale_f64 v[30:31], vcc, v[23:24], v[21:22], v[23:24]
	v_fma_f64 v[32:33], -v[9:10], v[11:12], 1.0
	v_fma_f64 v[11:12], v[11:12], v[32:33], v[11:12]
	v_mul_f64 v[32:33], v[30:31], v[11:12]
	v_fma_f64 v[9:10], -v[9:10], v[32:33], v[30:31]
	v_div_fmas_f64 v[9:10], v[9:10], v[11:12], v[32:33]
	v_div_fixup_f64 v[9:10], v[9:10], v[21:22], v[23:24]
	v_fma_f64 v[11:12], v[23:24], v[9:10], v[21:22]
	v_div_scale_f64 v[21:22], s[8:9], v[11:12], v[11:12], 1.0
	v_rcp_f64_e32 v[23:24], v[21:22]
	v_fma_f64 v[30:31], -v[21:22], v[23:24], 1.0
	v_fma_f64 v[23:24], v[23:24], v[30:31], v[23:24]
	v_div_scale_f64 v[30:31], vcc, 1.0, v[11:12], 1.0
	v_fma_f64 v[32:33], -v[21:22], v[23:24], 1.0
	v_fma_f64 v[23:24], v[23:24], v[32:33], v[23:24]
	v_mul_f64 v[32:33], v[30:31], v[23:24]
	v_fma_f64 v[21:22], -v[21:22], v[32:33], v[30:31]
	v_div_fmas_f64 v[21:22], v[21:22], v[23:24], v[32:33]
	v_fma_f64 v[23:24], v[19:20], v[9:10], v[17:18]
	v_fma_f64 v[17:18], -v[17:18], v[9:10], v[19:20]
	v_div_fixup_f64 v[11:12], v[21:22], v[11:12], 1.0
	v_mul_f64 v[9:10], v[23:24], v[11:12]
	v_mul_f64 v[11:12], v[17:18], v[11:12]
.LBB208_119:                            ;   in Loop: Header=BB208_113 Depth=1
	s_lshl_b32 s8, s17, 4
	s_lshl_b32 s17, s11, 4
	s_add_i32 s9, s8, s17
	v_mov_b32_e32 v17, s9
	ds_read_b128 v[21:24], v17
	s_lshl_b32 s9, s16, 4
	s_add_i32 s8, s8, s9
	v_mov_b32_e32 v17, s8
	ds_read_b128 v[17:20], v17
	s_waitcnt lgkmcnt(1)
	v_mul_f64 v[30:31], v[11:12], v[23:24]
	v_mul_f64 v[23:24], v[9:10], v[23:24]
	s_mov_b64 s[8:9], -1
	ds_write_b128 v29, v[9:12]
	s_waitcnt lgkmcnt(1)
	v_cmp_ngt_f64_e64 s[22:23], |v[17:18]|, |v[19:20]|
	v_fma_f64 v[30:31], v[9:10], v[21:22], -v[30:31]
	v_fma_f64 v[23:24], v[11:12], v[21:22], v[23:24]
	s_and_b64 vcc, exec, s[22:23]
	v_add_f64 v[21:22], v[13:14], -v[30:31]
	v_add_f64 v[23:24], v[15:16], -v[23:24]
                                        ; implicit-def: $vgpr15_vgpr16
	s_cbranch_vccz .LBB208_121
; %bb.120:                              ;   in Loop: Header=BB208_113 Depth=1
	v_div_scale_f64 v[13:14], s[8:9], v[19:20], v[19:20], v[17:18]
	v_rcp_f64_e32 v[15:16], v[13:14]
	v_fma_f64 v[29:30], -v[13:14], v[15:16], 1.0
	v_fma_f64 v[15:16], v[15:16], v[29:30], v[15:16]
	v_div_scale_f64 v[29:30], vcc, v[17:18], v[19:20], v[17:18]
	v_fma_f64 v[31:32], -v[13:14], v[15:16], 1.0
	v_fma_f64 v[15:16], v[15:16], v[31:32], v[15:16]
	v_mul_f64 v[31:32], v[29:30], v[15:16]
	v_fma_f64 v[13:14], -v[13:14], v[31:32], v[29:30]
	v_div_fmas_f64 v[13:14], v[13:14], v[15:16], v[31:32]
	v_div_fixup_f64 v[13:14], v[13:14], v[19:20], v[17:18]
	v_fma_f64 v[15:16], v[17:18], v[13:14], v[19:20]
	v_div_scale_f64 v[29:30], s[8:9], v[15:16], v[15:16], 1.0
	s_mov_b64 s[8:9], 0
	v_rcp_f64_e32 v[31:32], v[29:30]
	v_fma_f64 v[33:34], -v[29:30], v[31:32], 1.0
	v_fma_f64 v[31:32], v[31:32], v[33:34], v[31:32]
	v_div_scale_f64 v[33:34], vcc, 1.0, v[15:16], 1.0
	v_fma_f64 v[35:36], -v[29:30], v[31:32], 1.0
	v_fma_f64 v[31:32], v[31:32], v[35:36], v[31:32]
	v_mul_f64 v[35:36], v[33:34], v[31:32]
	v_fma_f64 v[29:30], -v[29:30], v[35:36], v[33:34]
	v_div_fmas_f64 v[29:30], v[29:30], v[31:32], v[35:36]
	v_fma_f64 v[31:32], v[13:14], v[21:22], v[23:24]
	v_div_fixup_f64 v[15:16], v[29:30], v[15:16], 1.0
	v_fma_f64 v[29:30], v[13:14], v[23:24], -v[21:22]
	v_mul_f64 v[13:14], v[31:32], v[15:16]
	v_mul_f64 v[15:16], v[29:30], v[15:16]
.LBB208_121:                            ;   in Loop: Header=BB208_113 Depth=1
	s_andn2_b64 vcc, exec, s[8:9]
	s_cbranch_vccnz .LBB208_123
; %bb.122:                              ;   in Loop: Header=BB208_113 Depth=1
	v_div_scale_f64 v[13:14], s[8:9], v[17:18], v[17:18], v[19:20]
	v_rcp_f64_e32 v[15:16], v[13:14]
	v_fma_f64 v[29:30], -v[13:14], v[15:16], 1.0
	v_fma_f64 v[15:16], v[15:16], v[29:30], v[15:16]
	v_div_scale_f64 v[29:30], vcc, v[19:20], v[17:18], v[19:20]
	v_fma_f64 v[31:32], -v[13:14], v[15:16], 1.0
	v_fma_f64 v[15:16], v[15:16], v[31:32], v[15:16]
	v_mul_f64 v[31:32], v[29:30], v[15:16]
	v_fma_f64 v[13:14], -v[13:14], v[31:32], v[29:30]
	v_div_fmas_f64 v[13:14], v[13:14], v[15:16], v[31:32]
	v_div_fixup_f64 v[13:14], v[13:14], v[17:18], v[19:20]
	v_fma_f64 v[15:16], v[19:20], v[13:14], v[17:18]
	v_div_scale_f64 v[17:18], s[8:9], v[15:16], v[15:16], 1.0
	v_rcp_f64_e32 v[19:20], v[17:18]
	v_fma_f64 v[29:30], -v[17:18], v[19:20], 1.0
	v_fma_f64 v[19:20], v[19:20], v[29:30], v[19:20]
	v_div_scale_f64 v[29:30], vcc, 1.0, v[15:16], 1.0
	v_fma_f64 v[31:32], -v[17:18], v[19:20], 1.0
	v_fma_f64 v[19:20], v[19:20], v[31:32], v[19:20]
	v_mul_f64 v[31:32], v[29:30], v[19:20]
	v_fma_f64 v[17:18], -v[17:18], v[31:32], v[29:30]
	v_div_fmas_f64 v[17:18], v[17:18], v[19:20], v[31:32]
	v_fma_f64 v[19:20], v[13:14], v[23:24], v[21:22]
	v_div_fixup_f64 v[15:16], v[17:18], v[15:16], 1.0
	v_fma_f64 v[17:18], -v[13:14], v[21:22], v[23:24]
	v_mul_f64 v[13:14], v[19:20], v[15:16]
	v_mul_f64 v[15:16], v[17:18], v[15:16]
.LBB208_123:                            ;   in Loop: Header=BB208_113 Depth=1
	s_lshl_b32 s8, s18, 4
	s_add_i32 s9, s8, s17
	v_mov_b32_e32 v21, s9
	ds_read_b128 v[17:20], v21
	ds_read_b128 v[21:24], v21 offset:16
	s_lshl_b32 s9, s14, 4
	s_add_i32 s8, s8, s9
	ds_write_b128 v28, v[13:16]
	s_waitcnt lgkmcnt(2)
	v_mul_f64 v[29:30], v[11:12], v[19:20]
	v_mul_f64 v[19:20], v[9:10], v[19:20]
	s_waitcnt lgkmcnt(1)
	v_mul_f64 v[31:32], v[15:16], v[23:24]
	v_mul_f64 v[23:24], v[13:14], v[23:24]
	v_fma_f64 v[29:30], v[9:10], v[17:18], -v[29:30]
	v_fma_f64 v[33:34], v[11:12], v[17:18], v[19:20]
	v_fma_f64 v[31:32], v[13:14], v[21:22], -v[31:32]
	v_fma_f64 v[23:24], v[15:16], v[21:22], v[23:24]
	v_mov_b32_e32 v17, s8
	ds_read_b128 v[17:20], v17
	s_mov_b64 s[8:9], -1
	v_add_f64 v[5:6], v[5:6], -v[29:30]
	v_add_f64 v[7:8], v[7:8], -v[33:34]
	s_waitcnt lgkmcnt(0)
	v_cmp_ngt_f64_e64 s[18:19], |v[17:18]|, |v[19:20]|
	v_add_f64 v[21:22], v[5:6], -v[31:32]
	v_add_f64 v[23:24], v[7:8], -v[23:24]
	s_and_b64 vcc, exec, s[18:19]
                                        ; implicit-def: $vgpr7_vgpr8
	s_cbranch_vccz .LBB208_125
; %bb.124:                              ;   in Loop: Header=BB208_113 Depth=1
	v_div_scale_f64 v[5:6], s[8:9], v[19:20], v[19:20], v[17:18]
	v_rcp_f64_e32 v[7:8], v[5:6]
	v_fma_f64 v[28:29], -v[5:6], v[7:8], 1.0
	v_fma_f64 v[7:8], v[7:8], v[28:29], v[7:8]
	v_div_scale_f64 v[28:29], vcc, v[17:18], v[19:20], v[17:18]
	v_fma_f64 v[30:31], -v[5:6], v[7:8], 1.0
	v_fma_f64 v[7:8], v[7:8], v[30:31], v[7:8]
	v_mul_f64 v[30:31], v[28:29], v[7:8]
	v_fma_f64 v[5:6], -v[5:6], v[30:31], v[28:29]
	v_div_fmas_f64 v[5:6], v[5:6], v[7:8], v[30:31]
	v_div_fixup_f64 v[5:6], v[5:6], v[19:20], v[17:18]
	v_fma_f64 v[7:8], v[17:18], v[5:6], v[19:20]
	v_div_scale_f64 v[28:29], s[8:9], v[7:8], v[7:8], 1.0
	s_mov_b64 s[8:9], 0
	v_rcp_f64_e32 v[30:31], v[28:29]
	v_fma_f64 v[32:33], -v[28:29], v[30:31], 1.0
	v_fma_f64 v[30:31], v[30:31], v[32:33], v[30:31]
	v_div_scale_f64 v[32:33], vcc, 1.0, v[7:8], 1.0
	v_fma_f64 v[34:35], -v[28:29], v[30:31], 1.0
	v_fma_f64 v[30:31], v[30:31], v[34:35], v[30:31]
	v_mul_f64 v[34:35], v[32:33], v[30:31]
	v_fma_f64 v[28:29], -v[28:29], v[34:35], v[32:33]
	v_div_fmas_f64 v[28:29], v[28:29], v[30:31], v[34:35]
	v_fma_f64 v[30:31], v[5:6], v[21:22], v[23:24]
	v_div_fixup_f64 v[7:8], v[28:29], v[7:8], 1.0
	v_fma_f64 v[28:29], v[5:6], v[23:24], -v[21:22]
	v_mul_f64 v[5:6], v[30:31], v[7:8]
	v_mul_f64 v[7:8], v[28:29], v[7:8]
.LBB208_125:                            ;   in Loop: Header=BB208_113 Depth=1
	s_andn2_b64 vcc, exec, s[8:9]
	s_cbranch_vccnz .LBB208_127
; %bb.126:                              ;   in Loop: Header=BB208_113 Depth=1
	v_div_scale_f64 v[5:6], s[8:9], v[17:18], v[17:18], v[19:20]
	v_rcp_f64_e32 v[7:8], v[5:6]
	v_fma_f64 v[28:29], -v[5:6], v[7:8], 1.0
	v_fma_f64 v[7:8], v[7:8], v[28:29], v[7:8]
	v_div_scale_f64 v[28:29], vcc, v[19:20], v[17:18], v[19:20]
	v_fma_f64 v[30:31], -v[5:6], v[7:8], 1.0
	v_fma_f64 v[7:8], v[7:8], v[30:31], v[7:8]
	v_mul_f64 v[30:31], v[28:29], v[7:8]
	v_fma_f64 v[5:6], -v[5:6], v[30:31], v[28:29]
	v_div_fmas_f64 v[5:6], v[5:6], v[7:8], v[30:31]
	v_div_fixup_f64 v[5:6], v[5:6], v[17:18], v[19:20]
	v_fma_f64 v[7:8], v[19:20], v[5:6], v[17:18]
	v_div_scale_f64 v[17:18], s[8:9], v[7:8], v[7:8], 1.0
	v_rcp_f64_e32 v[19:20], v[17:18]
	v_fma_f64 v[28:29], -v[17:18], v[19:20], 1.0
	v_fma_f64 v[19:20], v[19:20], v[28:29], v[19:20]
	v_div_scale_f64 v[28:29], vcc, 1.0, v[7:8], 1.0
	v_fma_f64 v[30:31], -v[17:18], v[19:20], 1.0
	v_fma_f64 v[19:20], v[19:20], v[30:31], v[19:20]
	v_mul_f64 v[30:31], v[28:29], v[19:20]
	v_fma_f64 v[17:18], -v[17:18], v[30:31], v[28:29]
	v_div_fmas_f64 v[17:18], v[17:18], v[19:20], v[30:31]
	v_fma_f64 v[19:20], v[5:6], v[23:24], v[21:22]
	v_div_fixup_f64 v[7:8], v[17:18], v[7:8], 1.0
	v_fma_f64 v[17:18], -v[5:6], v[21:22], v[23:24]
	v_mul_f64 v[5:6], v[19:20], v[7:8]
	v_mul_f64 v[7:8], v[17:18], v[7:8]
.LBB208_127:                            ;   in Loop: Header=BB208_113 Depth=1
	s_lshl_b32 s8, s15, 4
	s_add_i32 s9, s8, s17
	v_mov_b32_e32 v28, s9
	ds_read_b128 v[17:20], v28
	ds_read_b128 v[21:24], v28 offset:16
	ds_read_b128 v[28:31], v28 offset:32
	s_lshl_b32 s9, s13, 4
	s_add_i32 s8, s8, s9
	s_waitcnt lgkmcnt(2)
	v_mul_f64 v[32:33], v[11:12], v[19:20]
	v_mul_f64 v[19:20], v[9:10], v[19:20]
	s_waitcnt lgkmcnt(1)
	v_mul_f64 v[34:35], v[15:16], v[23:24]
	v_mul_f64 v[23:24], v[13:14], v[23:24]
	ds_write_b128 v27, v[5:8]
	v_fma_f64 v[32:33], v[9:10], v[17:18], -v[32:33]
	v_fma_f64 v[17:18], v[11:12], v[17:18], v[19:20]
	v_mov_b32_e32 v9, s8
	ds_read_b128 v[9:12], v9
	s_waitcnt lgkmcnt(2)
	v_mul_f64 v[19:20], v[7:8], v[30:31]
	v_mul_f64 v[30:31], v[5:6], v[30:31]
	v_fma_f64 v[13:14], v[13:14], v[21:22], -v[34:35]
	v_fma_f64 v[15:16], v[15:16], v[21:22], v[23:24]
	v_add_f64 v[1:2], v[1:2], -v[32:33]
	v_add_f64 v[3:4], v[3:4], -v[17:18]
	s_waitcnt lgkmcnt(0)
	v_cmp_ngt_f64_e64 s[14:15], |v[9:10]|, |v[11:12]|
	s_mov_b64 s[8:9], -1
	v_fma_f64 v[17:18], v[5:6], v[28:29], -v[19:20]
	v_fma_f64 v[19:20], v[7:8], v[28:29], v[30:31]
	v_add_f64 v[1:2], v[1:2], -v[13:14]
	v_add_f64 v[3:4], v[3:4], -v[15:16]
	s_and_b64 vcc, exec, s[14:15]
	v_add_f64 v[13:14], v[1:2], -v[17:18]
	v_add_f64 v[15:16], v[3:4], -v[19:20]
                                        ; implicit-def: $vgpr3_vgpr4
	s_cbranch_vccz .LBB208_129
; %bb.128:                              ;   in Loop: Header=BB208_113 Depth=1
	v_div_scale_f64 v[1:2], s[8:9], v[11:12], v[11:12], v[9:10]
	v_rcp_f64_e32 v[3:4], v[1:2]
	v_fma_f64 v[5:6], -v[1:2], v[3:4], 1.0
	v_fma_f64 v[3:4], v[3:4], v[5:6], v[3:4]
	v_div_scale_f64 v[5:6], vcc, v[9:10], v[11:12], v[9:10]
	v_fma_f64 v[7:8], -v[1:2], v[3:4], 1.0
	v_fma_f64 v[3:4], v[3:4], v[7:8], v[3:4]
	v_mul_f64 v[7:8], v[5:6], v[3:4]
	v_fma_f64 v[1:2], -v[1:2], v[7:8], v[5:6]
	v_div_fmas_f64 v[1:2], v[1:2], v[3:4], v[7:8]
	v_div_fixup_f64 v[1:2], v[1:2], v[11:12], v[9:10]
	v_fma_f64 v[3:4], v[9:10], v[1:2], v[11:12]
	v_div_scale_f64 v[5:6], s[8:9], v[3:4], v[3:4], 1.0
	s_mov_b64 s[8:9], 0
	v_rcp_f64_e32 v[7:8], v[5:6]
	v_fma_f64 v[17:18], -v[5:6], v[7:8], 1.0
	v_fma_f64 v[7:8], v[7:8], v[17:18], v[7:8]
	v_div_scale_f64 v[17:18], vcc, 1.0, v[3:4], 1.0
	v_fma_f64 v[19:20], -v[5:6], v[7:8], 1.0
	v_fma_f64 v[7:8], v[7:8], v[19:20], v[7:8]
	v_mul_f64 v[19:20], v[17:18], v[7:8]
	v_fma_f64 v[5:6], -v[5:6], v[19:20], v[17:18]
	v_div_fmas_f64 v[5:6], v[5:6], v[7:8], v[19:20]
	v_fma_f64 v[7:8], v[1:2], v[13:14], v[15:16]
	v_div_fixup_f64 v[3:4], v[5:6], v[3:4], 1.0
	v_fma_f64 v[5:6], v[1:2], v[15:16], -v[13:14]
	v_mul_f64 v[1:2], v[7:8], v[3:4]
	v_mul_f64 v[3:4], v[5:6], v[3:4]
.LBB208_129:                            ;   in Loop: Header=BB208_113 Depth=1
	s_andn2_b64 vcc, exec, s[8:9]
	s_cbranch_vccnz .LBB208_131
; %bb.130:                              ;   in Loop: Header=BB208_113 Depth=1
	v_div_scale_f64 v[1:2], s[8:9], v[9:10], v[9:10], v[11:12]
	v_rcp_f64_e32 v[3:4], v[1:2]
	v_fma_f64 v[5:6], -v[1:2], v[3:4], 1.0
	v_fma_f64 v[3:4], v[3:4], v[5:6], v[3:4]
	v_div_scale_f64 v[5:6], vcc, v[11:12], v[9:10], v[11:12]
	v_fma_f64 v[7:8], -v[1:2], v[3:4], 1.0
	v_fma_f64 v[3:4], v[3:4], v[7:8], v[3:4]
	v_mul_f64 v[7:8], v[5:6], v[3:4]
	v_fma_f64 v[1:2], -v[1:2], v[7:8], v[5:6]
	v_div_fmas_f64 v[1:2], v[1:2], v[3:4], v[7:8]
	v_div_fixup_f64 v[1:2], v[1:2], v[9:10], v[11:12]
	v_fma_f64 v[3:4], v[11:12], v[1:2], v[9:10]
	v_div_scale_f64 v[5:6], s[8:9], v[3:4], v[3:4], 1.0
	v_rcp_f64_e32 v[7:8], v[5:6]
	v_fma_f64 v[9:10], -v[5:6], v[7:8], 1.0
	v_fma_f64 v[7:8], v[7:8], v[9:10], v[7:8]
	v_div_scale_f64 v[9:10], vcc, 1.0, v[3:4], 1.0
	v_fma_f64 v[11:12], -v[5:6], v[7:8], 1.0
	v_fma_f64 v[7:8], v[7:8], v[11:12], v[7:8]
	v_mul_f64 v[11:12], v[9:10], v[7:8]
	v_fma_f64 v[5:6], -v[5:6], v[11:12], v[9:10]
	v_div_fmas_f64 v[5:6], v[5:6], v[7:8], v[11:12]
	v_fma_f64 v[7:8], v[1:2], v[15:16], v[13:14]
	v_div_fixup_f64 v[3:4], v[5:6], v[3:4], 1.0
	v_fma_f64 v[5:6], -v[1:2], v[13:14], v[15:16]
	v_mul_f64 v[1:2], v[7:8], v[3:4]
	v_mul_f64 v[3:4], v[5:6], v[3:4]
.LBB208_131:                            ;   in Loop: Header=BB208_113 Depth=1
	s_add_i32 s13, s11, 4
	s_add_i32 s8, s11, 7
	s_addk_i32 s10, 0x200
	s_cmp_ge_i32 s8, s25
	ds_write_b128 v26, v[1:4]
	s_cbranch_scc1 .LBB208_133
; %bb.132:                              ;   in Loop: Header=BB208_113 Depth=1
	s_mov_b32 s11, s13
	s_branch .LBB208_113
.LBB208_133:
	s_cmp_ge_i32 s13, s25
	s_cbranch_scc1 .LBB208_142
; %bb.134:
	v_mov_b32_e32 v1, 0x400
	v_lshl_or_b32 v13, v0, 4, v1
	s_lshl_b32 s10, s13, 7
	s_branch .LBB208_136
.LBB208_135:                            ;   in Loop: Header=BB208_136 Depth=1
	s_add_i32 s13, s13, 1
	s_addk_i32 s10, 0x80
	s_cmp_ge_i32 s13, s25
	ds_write_b128 v14, v[9:12]
	s_cbranch_scc1 .LBB208_142
.LBB208_136:                            ; =>This Loop Header: Depth=1
                                        ;     Child Loop BB208_137 Depth 2
	v_lshl_add_u32 v14, s13, 7, v25
	ds_read_b128 v[1:4], v14
	s_cmp_eq_u32 s13, 0
	s_mov_b32 s8, s10
	v_mov_b32_e32 v5, v13
	s_mov_b32 s9, s13
	s_cbranch_scc1 .LBB208_138
.LBB208_137:                            ;   Parent Loop BB208_136 Depth=1
                                        ; =>  This Inner Loop Header: Depth=2
	v_mov_b32_e32 v10, s8
	ds_read_b128 v[6:9], v5
	ds_read_b128 v[15:18], v10
	s_add_i32 s9, s9, -1
	s_add_i32 s8, s8, 16
	s_cmp_eq_u32 s9, 0
	v_add_u32_e32 v5, 0x80, v5
	s_waitcnt lgkmcnt(0)
	v_mul_f64 v[10:11], v[17:18], v[8:9]
	v_mul_f64 v[8:9], v[15:16], v[8:9]
	v_fma_f64 v[10:11], v[15:16], v[6:7], -v[10:11]
	v_fma_f64 v[6:7], v[17:18], v[6:7], v[8:9]
	v_add_f64 v[1:2], v[1:2], -v[10:11]
	v_add_f64 v[3:4], v[3:4], -v[6:7]
	s_cbranch_scc0 .LBB208_137
.LBB208_138:                            ;   in Loop: Header=BB208_136 Depth=1
	s_mul_i32 s8, s13, 0x90
	v_mov_b32_e32 v5, s8
	ds_read_b128 v[5:8], v5
	s_mov_b64 s[8:9], -1
                                        ; implicit-def: $vgpr9_vgpr10
	s_waitcnt lgkmcnt(0)
	v_cmp_ngt_f64_e64 s[14:15], |v[5:6]|, |v[7:8]|
	s_and_b64 vcc, exec, s[14:15]
	s_cbranch_vccz .LBB208_140
; %bb.139:                              ;   in Loop: Header=BB208_136 Depth=1
	v_div_scale_f64 v[9:10], s[8:9], v[7:8], v[7:8], v[5:6]
	v_rcp_f64_e32 v[11:12], v[9:10]
	v_fma_f64 v[15:16], -v[9:10], v[11:12], 1.0
	v_fma_f64 v[11:12], v[11:12], v[15:16], v[11:12]
	v_div_scale_f64 v[15:16], vcc, v[5:6], v[7:8], v[5:6]
	v_fma_f64 v[17:18], -v[9:10], v[11:12], 1.0
	v_fma_f64 v[11:12], v[11:12], v[17:18], v[11:12]
	v_mul_f64 v[17:18], v[15:16], v[11:12]
	v_fma_f64 v[9:10], -v[9:10], v[17:18], v[15:16]
	v_div_fmas_f64 v[9:10], v[9:10], v[11:12], v[17:18]
	v_div_fixup_f64 v[9:10], v[9:10], v[7:8], v[5:6]
	v_fma_f64 v[11:12], v[5:6], v[9:10], v[7:8]
	v_div_scale_f64 v[15:16], s[8:9], v[11:12], v[11:12], 1.0
	s_mov_b64 s[8:9], 0
	v_rcp_f64_e32 v[17:18], v[15:16]
	v_fma_f64 v[19:20], -v[15:16], v[17:18], 1.0
	v_fma_f64 v[17:18], v[17:18], v[19:20], v[17:18]
	v_div_scale_f64 v[19:20], vcc, 1.0, v[11:12], 1.0
	v_fma_f64 v[21:22], -v[15:16], v[17:18], 1.0
	v_fma_f64 v[17:18], v[17:18], v[21:22], v[17:18]
	v_mul_f64 v[21:22], v[19:20], v[17:18]
	v_fma_f64 v[15:16], -v[15:16], v[21:22], v[19:20]
	v_div_fmas_f64 v[15:16], v[15:16], v[17:18], v[21:22]
	v_fma_f64 v[17:18], v[1:2], v[9:10], v[3:4]
	v_div_fixup_f64 v[11:12], v[15:16], v[11:12], 1.0
	v_fma_f64 v[15:16], v[3:4], v[9:10], -v[1:2]
	v_mul_f64 v[9:10], v[17:18], v[11:12]
	v_mul_f64 v[11:12], v[15:16], v[11:12]
.LBB208_140:                            ;   in Loop: Header=BB208_136 Depth=1
	s_andn2_b64 vcc, exec, s[8:9]
	s_cbranch_vccnz .LBB208_135
; %bb.141:                              ;   in Loop: Header=BB208_136 Depth=1
	v_div_scale_f64 v[9:10], s[8:9], v[5:6], v[5:6], v[7:8]
	v_rcp_f64_e32 v[11:12], v[9:10]
	v_fma_f64 v[15:16], -v[9:10], v[11:12], 1.0
	v_fma_f64 v[11:12], v[11:12], v[15:16], v[11:12]
	v_div_scale_f64 v[15:16], vcc, v[7:8], v[5:6], v[7:8]
	v_fma_f64 v[17:18], -v[9:10], v[11:12], 1.0
	v_fma_f64 v[11:12], v[11:12], v[17:18], v[11:12]
	v_mul_f64 v[17:18], v[15:16], v[11:12]
	v_fma_f64 v[9:10], -v[9:10], v[17:18], v[15:16]
	v_div_fmas_f64 v[9:10], v[9:10], v[11:12], v[17:18]
	v_div_fixup_f64 v[9:10], v[9:10], v[5:6], v[7:8]
	v_fma_f64 v[5:6], v[7:8], v[9:10], v[5:6]
	v_div_scale_f64 v[7:8], s[8:9], v[5:6], v[5:6], 1.0
	v_rcp_f64_e32 v[11:12], v[7:8]
	v_fma_f64 v[15:16], -v[7:8], v[11:12], 1.0
	v_fma_f64 v[11:12], v[11:12], v[15:16], v[11:12]
	v_div_scale_f64 v[15:16], vcc, 1.0, v[5:6], 1.0
	v_fma_f64 v[17:18], -v[7:8], v[11:12], 1.0
	v_fma_f64 v[11:12], v[11:12], v[17:18], v[11:12]
	v_mul_f64 v[17:18], v[15:16], v[11:12]
	v_fma_f64 v[7:8], -v[7:8], v[17:18], v[15:16]
	v_div_fmas_f64 v[7:8], v[7:8], v[11:12], v[17:18]
	v_fma_f64 v[11:12], v[3:4], v[9:10], v[1:2]
	v_fma_f64 v[1:2], -v[1:2], v[9:10], v[3:4]
	v_div_fixup_f64 v[5:6], v[7:8], v[5:6], 1.0
	v_mul_f64 v[9:10], v[11:12], v[5:6]
	v_mul_f64 v[11:12], v[1:2], v[5:6]
	s_branch .LBB208_135
.LBB208_142:
	s_and_saveexec_b64 s[8:9], s[0:1]
	s_cbranch_execz .LBB208_146
; %bb.143:
	s_cmp_lt_i32 s24, 1
	s_cbranch_scc1 .LBB208_146
; %bb.144:
	s_lshl_b64 s[0:1], s[4:5], 4
	s_add_u32 s2, s2, s0
	s_addc_u32 s3, s3, s1
	s_lshl_b64 s[0:1], s[20:21], 4
	s_add_u32 s0, s2, s0
	s_addc_u32 s1, s3, s1
	s_add_u32 s0, s0, s6
	s_addc_u32 s1, s1, s7
	s_ashr_i32 s13, s12, 31
	v_lshlrev_b32_e32 v2, 4, v0
	v_mov_b32_e32 v1, s1
	v_add_co_u32_e32 v0, vcc, s0, v2
	s_lshl_b64 s[0:1], s[12:13], 4
	v_addc_co_u32_e32 v1, vcc, 0, v1, vcc
	v_or_b32_e32 v2, 0x400, v2
	v_mov_b32_e32 v3, s1
.LBB208_145:                            ; =>This Inner Loop Header: Depth=1
	ds_read2_b64 v[4:7], v2 offset1:1
	s_add_i32 s24, s24, -1
	v_add_u32_e32 v2, 0x80, v2
	s_cmp_lg_u32 s24, 0
	s_waitcnt lgkmcnt(0)
	global_store_dwordx4 v[0:1], v[4:7], off
	v_add_co_u32_e32 v0, vcc, s0, v0
	v_addc_co_u32_e32 v1, vcc, v1, v3, vcc
	s_cbranch_scc1 .LBB208_145
.LBB208_146:
	s_endpgm
	.section	.rodata,"a",@progbits
	.p2align	6, 0x0
	.amdhsa_kernel _ZL31rocblas_trsm_small_right_deviceI19rocblas_complex_numIdES1_PKS1_PS1_Li8EEv13rocblas_fill_18rocblas_operation_17rocblas_diagonal_iiT0_T1_lilT2_lili
		.amdhsa_group_segment_fixed_size 2048
		.amdhsa_private_segment_fixed_size 0
		.amdhsa_kernarg_size 368
		.amdhsa_user_sgpr_count 6
		.amdhsa_user_sgpr_private_segment_buffer 1
		.amdhsa_user_sgpr_dispatch_ptr 0
		.amdhsa_user_sgpr_queue_ptr 0
		.amdhsa_user_sgpr_kernarg_segment_ptr 1
		.amdhsa_user_sgpr_dispatch_id 0
		.amdhsa_user_sgpr_flat_scratch_init 0
		.amdhsa_user_sgpr_private_segment_size 0
		.amdhsa_uses_dynamic_stack 0
		.amdhsa_system_sgpr_private_segment_wavefront_offset 0
		.amdhsa_system_sgpr_workgroup_id_x 1
		.amdhsa_system_sgpr_workgroup_id_y 0
		.amdhsa_system_sgpr_workgroup_id_z 1
		.amdhsa_system_sgpr_workgroup_info 0
		.amdhsa_system_vgpr_workitem_id 0
		.amdhsa_next_free_vgpr 47
		.amdhsa_next_free_sgpr 61
		.amdhsa_reserve_vcc 1
		.amdhsa_reserve_flat_scratch 0
		.amdhsa_float_round_mode_32 0
		.amdhsa_float_round_mode_16_64 0
		.amdhsa_float_denorm_mode_32 3
		.amdhsa_float_denorm_mode_16_64 3
		.amdhsa_dx10_clamp 1
		.amdhsa_ieee_mode 1
		.amdhsa_fp16_overflow 0
		.amdhsa_exception_fp_ieee_invalid_op 0
		.amdhsa_exception_fp_denorm_src 0
		.amdhsa_exception_fp_ieee_div_zero 0
		.amdhsa_exception_fp_ieee_overflow 0
		.amdhsa_exception_fp_ieee_underflow 0
		.amdhsa_exception_fp_ieee_inexact 0
		.amdhsa_exception_int_div_zero 0
	.end_amdhsa_kernel
	.section	.text._ZL31rocblas_trsm_small_right_deviceI19rocblas_complex_numIdES1_PKS1_PS1_Li8EEv13rocblas_fill_18rocblas_operation_17rocblas_diagonal_iiT0_T1_lilT2_lili,"axG",@progbits,_ZL31rocblas_trsm_small_right_deviceI19rocblas_complex_numIdES1_PKS1_PS1_Li8EEv13rocblas_fill_18rocblas_operation_17rocblas_diagonal_iiT0_T1_lilT2_lili,comdat
.Lfunc_end208:
	.size	_ZL31rocblas_trsm_small_right_deviceI19rocblas_complex_numIdES1_PKS1_PS1_Li8EEv13rocblas_fill_18rocblas_operation_17rocblas_diagonal_iiT0_T1_lilT2_lili, .Lfunc_end208-_ZL31rocblas_trsm_small_right_deviceI19rocblas_complex_numIdES1_PKS1_PS1_Li8EEv13rocblas_fill_18rocblas_operation_17rocblas_diagonal_iiT0_T1_lilT2_lili
                                        ; -- End function
	.set _ZL31rocblas_trsm_small_right_deviceI19rocblas_complex_numIdES1_PKS1_PS1_Li8EEv13rocblas_fill_18rocblas_operation_17rocblas_diagonal_iiT0_T1_lilT2_lili.num_vgpr, 47
	.set _ZL31rocblas_trsm_small_right_deviceI19rocblas_complex_numIdES1_PKS1_PS1_Li8EEv13rocblas_fill_18rocblas_operation_17rocblas_diagonal_iiT0_T1_lilT2_lili.num_agpr, 0
	.set _ZL31rocblas_trsm_small_right_deviceI19rocblas_complex_numIdES1_PKS1_PS1_Li8EEv13rocblas_fill_18rocblas_operation_17rocblas_diagonal_iiT0_T1_lilT2_lili.numbered_sgpr, 29
	.set _ZL31rocblas_trsm_small_right_deviceI19rocblas_complex_numIdES1_PKS1_PS1_Li8EEv13rocblas_fill_18rocblas_operation_17rocblas_diagonal_iiT0_T1_lilT2_lili.num_named_barrier, 0
	.set _ZL31rocblas_trsm_small_right_deviceI19rocblas_complex_numIdES1_PKS1_PS1_Li8EEv13rocblas_fill_18rocblas_operation_17rocblas_diagonal_iiT0_T1_lilT2_lili.private_seg_size, 0
	.set _ZL31rocblas_trsm_small_right_deviceI19rocblas_complex_numIdES1_PKS1_PS1_Li8EEv13rocblas_fill_18rocblas_operation_17rocblas_diagonal_iiT0_T1_lilT2_lili.uses_vcc, 1
	.set _ZL31rocblas_trsm_small_right_deviceI19rocblas_complex_numIdES1_PKS1_PS1_Li8EEv13rocblas_fill_18rocblas_operation_17rocblas_diagonal_iiT0_T1_lilT2_lili.uses_flat_scratch, 0
	.set _ZL31rocblas_trsm_small_right_deviceI19rocblas_complex_numIdES1_PKS1_PS1_Li8EEv13rocblas_fill_18rocblas_operation_17rocblas_diagonal_iiT0_T1_lilT2_lili.has_dyn_sized_stack, 0
	.set _ZL31rocblas_trsm_small_right_deviceI19rocblas_complex_numIdES1_PKS1_PS1_Li8EEv13rocblas_fill_18rocblas_operation_17rocblas_diagonal_iiT0_T1_lilT2_lili.has_recursion, 0
	.set _ZL31rocblas_trsm_small_right_deviceI19rocblas_complex_numIdES1_PKS1_PS1_Li8EEv13rocblas_fill_18rocblas_operation_17rocblas_diagonal_iiT0_T1_lilT2_lili.has_indirect_call, 0
	.section	.AMDGPU.csdata,"",@progbits
; Kernel info:
; codeLenInByte = 14636
; TotalNumSgprs: 33
; NumVgprs: 47
; ScratchSize: 0
; MemoryBound: 0
; FloatMode: 240
; IeeeMode: 1
; LDSByteSize: 2048 bytes/workgroup (compile time only)
; SGPRBlocks: 8
; VGPRBlocks: 11
; NumSGPRsForWavesPerEU: 65
; NumVGPRsForWavesPerEU: 47
; Occupancy: 5
; WaveLimiterHint : 0
; COMPUTE_PGM_RSRC2:SCRATCH_EN: 0
; COMPUTE_PGM_RSRC2:USER_SGPR: 6
; COMPUTE_PGM_RSRC2:TRAP_HANDLER: 0
; COMPUTE_PGM_RSRC2:TGID_X_EN: 1
; COMPUTE_PGM_RSRC2:TGID_Y_EN: 0
; COMPUTE_PGM_RSRC2:TGID_Z_EN: 1
; COMPUTE_PGM_RSRC2:TIDIG_COMP_CNT: 0
	.section	.text._ZL38rocblas_trsm_small_left_device_sharedBILi12ELi12ELb0E19rocblas_complex_numIdES1_PKS1_PS1_Ev13rocblas_fill_18rocblas_operation_17rocblas_diagonal_iiT3_T4_lilT5_lili,"axG",@progbits,_ZL38rocblas_trsm_small_left_device_sharedBILi12ELi12ELb0E19rocblas_complex_numIdES1_PKS1_PS1_Ev13rocblas_fill_18rocblas_operation_17rocblas_diagonal_iiT3_T4_lilT5_lili,comdat
	.globl	_ZL38rocblas_trsm_small_left_device_sharedBILi12ELi12ELb0E19rocblas_complex_numIdES1_PKS1_PS1_Ev13rocblas_fill_18rocblas_operation_17rocblas_diagonal_iiT3_T4_lilT5_lili ; -- Begin function _ZL38rocblas_trsm_small_left_device_sharedBILi12ELi12ELb0E19rocblas_complex_numIdES1_PKS1_PS1_Ev13rocblas_fill_18rocblas_operation_17rocblas_diagonal_iiT3_T4_lilT5_lili
	.p2align	8
	.type	_ZL38rocblas_trsm_small_left_device_sharedBILi12ELi12ELb0E19rocblas_complex_numIdES1_PKS1_PS1_Ev13rocblas_fill_18rocblas_operation_17rocblas_diagonal_iiT3_T4_lilT5_lili,@function
_ZL38rocblas_trsm_small_left_device_sharedBILi12ELi12ELb0E19rocblas_complex_numIdES1_PKS1_PS1_Ev13rocblas_fill_18rocblas_operation_17rocblas_diagonal_iiT3_T4_lilT5_lili: ; @_ZL38rocblas_trsm_small_left_device_sharedBILi12ELi12ELb0E19rocblas_complex_numIdES1_PKS1_PS1_Ev13rocblas_fill_18rocblas_operation_17rocblas_diagonal_iiT3_T4_lilT5_lili
; %bb.0:
	s_add_u32 s0, s0, s8
	s_load_dwordx4 s[20:23], s[4:5], 0x4
	s_load_dwordx8 s[12:19], s[4:5], 0x18
	s_load_dwordx4 s[8:11], s[4:5], 0x40
	s_load_dwordx2 s[24:25], s[4:5], 0x50
	s_load_dword s29, s[4:5], 0x70
	s_addc_u32 s1, s1, 0
	s_waitcnt lgkmcnt(0)
	s_min_i32 s28, s22, 12
	v_cmp_gt_i32_e32 vcc, s28, v0
	s_and_saveexec_b64 s[26:27], vcc
	s_cbranch_execz .LBB209_11
; %bb.1:
	s_load_dword s30, s[4:5], 0x38
	s_mul_i32 s9, s9, s7
	s_mul_hi_u32 s33, s8, s7
	s_mul_i32 s8, s8, s7
	v_lshlrev_b32_e32 v3, 4, v0
	s_waitcnt lgkmcnt(0)
	s_ashr_i32 s31, s30, 31
	s_cmpk_eq_i32 s20, 0x71
	s_cselect_b64 vcc, -1, 0
	s_add_i32 s9, s33, s9
	s_lshl_b64 s[8:9], s[8:9], 4
	s_lshl_b64 s[18:19], s[18:19], 4
	s_add_u32 s8, s8, s18
	s_addc_u32 s9, s9, s19
	s_add_u32 s8, s16, s8
	s_addc_u32 s9, s17, s9
	v_mov_b32_e32 v1, s9
	v_add_co_u32_e64 v2, s[8:9], s8, v3
	v_addc_co_u32_e64 v4, s[8:9], 0, v1, s[8:9]
	v_add_co_u32_e64 v1, s[8:9], 8, v2
	s_lshl_b64 s[16:17], s[30:31], 4
	v_addc_co_u32_e64 v2, s[8:9], 0, v4, s[8:9]
	v_mov_b32_e32 v4, s17
	v_mov_b32_e32 v5, v3
	s_mov_b32 s17, s28
.LBB209_2:                              ; =>This Inner Loop Header: Depth=1
	global_load_dwordx4 v[6:9], v[1:2], off offset:-8
	s_add_i32 s17, s17, -1
	v_add_co_u32_e64 v1, s[8:9], s16, v1
	v_addc_co_u32_e64 v2, s[8:9], v2, v4, s[8:9]
	s_cmp_eq_u32 s17, 0
	s_waitcnt vmcnt(0)
	v_xor_b32_e32 v10, 0x80000000, v9
	v_cndmask_b32_e32 v9, v9, v10, vcc
	ds_write_b128 v5, v[6:9]
	v_add_u32_e32 v5, 0xc0, v5
	s_cbranch_scc0 .LBB209_2
; %bb.3:
	v_mul_u32_u24_e32 v1, 0xc0, v0
	s_cmpk_lg_i32 s21, 0x84
	v_add_u32_e32 v9, v3, v1
	s_cbranch_scc0 .LBB209_9
; %bb.4:
	ds_read_b128 v[1:4], v9
                                        ; implicit-def: $vgpr7_vgpr8
	s_waitcnt lgkmcnt(0)
	v_cmp_ngt_f64_e64 s[8:9], |v[1:2]|, |v[3:4]|
	s_and_saveexec_b64 s[16:17], s[8:9]
	s_xor_b64 s[8:9], exec, s[16:17]
	s_cbranch_execz .LBB209_6
; %bb.5:
	v_div_scale_f64 v[5:6], s[16:17], v[3:4], v[3:4], v[1:2]
	v_rcp_f64_e32 v[7:8], v[5:6]
	v_fma_f64 v[10:11], -v[5:6], v[7:8], 1.0
	v_fma_f64 v[7:8], v[7:8], v[10:11], v[7:8]
	v_div_scale_f64 v[10:11], vcc, v[1:2], v[3:4], v[1:2]
	v_fma_f64 v[12:13], -v[5:6], v[7:8], 1.0
	v_fma_f64 v[7:8], v[7:8], v[12:13], v[7:8]
	v_mul_f64 v[12:13], v[10:11], v[7:8]
	v_fma_f64 v[5:6], -v[5:6], v[12:13], v[10:11]
	v_div_fmas_f64 v[5:6], v[5:6], v[7:8], v[12:13]
	v_div_fixup_f64 v[5:6], v[5:6], v[3:4], v[1:2]
	v_fma_f64 v[1:2], v[1:2], v[5:6], v[3:4]
	v_div_scale_f64 v[3:4], s[16:17], v[1:2], v[1:2], 1.0
	v_rcp_f64_e32 v[7:8], v[3:4]
	v_fma_f64 v[10:11], -v[3:4], v[7:8], 1.0
	v_fma_f64 v[7:8], v[7:8], v[10:11], v[7:8]
	v_div_scale_f64 v[10:11], vcc, 1.0, v[1:2], 1.0
	v_fma_f64 v[12:13], -v[3:4], v[7:8], 1.0
	v_fma_f64 v[7:8], v[7:8], v[12:13], v[7:8]
	v_mul_f64 v[12:13], v[10:11], v[7:8]
	v_fma_f64 v[3:4], -v[3:4], v[12:13], v[10:11]
	v_div_fmas_f64 v[3:4], v[3:4], v[7:8], v[12:13]
	v_add_f64 v[7:8], v[5:6], 0
	v_div_fixup_f64 v[1:2], v[3:4], v[1:2], 1.0
	v_fma_f64 v[3:4], v[5:6], 0, -1.0
	v_mul_f64 v[5:6], v[7:8], v[1:2]
	v_mul_f64 v[7:8], v[3:4], v[1:2]
                                        ; implicit-def: $vgpr1_vgpr2
.LBB209_6:
	s_andn2_saveexec_b64 s[8:9], s[8:9]
	s_cbranch_execz .LBB209_8
; %bb.7:
	v_div_scale_f64 v[5:6], s[16:17], v[1:2], v[1:2], v[3:4]
	v_rcp_f64_e32 v[7:8], v[5:6]
	v_fma_f64 v[10:11], -v[5:6], v[7:8], 1.0
	v_fma_f64 v[7:8], v[7:8], v[10:11], v[7:8]
	v_div_scale_f64 v[10:11], vcc, v[3:4], v[1:2], v[3:4]
	v_fma_f64 v[12:13], -v[5:6], v[7:8], 1.0
	v_fma_f64 v[7:8], v[7:8], v[12:13], v[7:8]
	v_mul_f64 v[12:13], v[10:11], v[7:8]
	v_fma_f64 v[5:6], -v[5:6], v[12:13], v[10:11]
	v_div_fmas_f64 v[5:6], v[5:6], v[7:8], v[12:13]
	v_div_fixup_f64 v[5:6], v[5:6], v[1:2], v[3:4]
	v_fma_f64 v[1:2], v[3:4], v[5:6], v[1:2]
	v_div_scale_f64 v[3:4], s[16:17], v[1:2], v[1:2], 1.0
	v_rcp_f64_e32 v[7:8], v[3:4]
	v_fma_f64 v[10:11], -v[3:4], v[7:8], 1.0
	v_fma_f64 v[7:8], v[7:8], v[10:11], v[7:8]
	v_div_scale_f64 v[10:11], vcc, 1.0, v[1:2], 1.0
	v_fma_f64 v[12:13], -v[3:4], v[7:8], 1.0
	v_fma_f64 v[7:8], v[7:8], v[12:13], v[7:8]
	v_mul_f64 v[12:13], v[10:11], v[7:8]
	v_fma_f64 v[3:4], -v[3:4], v[12:13], v[10:11]
	v_div_fmas_f64 v[3:4], v[3:4], v[7:8], v[12:13]
	v_fma_f64 v[7:8], v[5:6], 0, 1.0
	v_div_fixup_f64 v[1:2], v[3:4], v[1:2], 1.0
	v_add_f64 v[3:4], -v[5:6], 0
	v_mul_f64 v[5:6], v[7:8], v[1:2]
	v_mul_f64 v[7:8], v[3:4], v[1:2]
.LBB209_8:
	s_or_b64 exec, exec, s[8:9]
	s_branch .LBB209_10
.LBB209_9:
	v_mov_b32_e32 v7, 0
	v_mov_b32_e32 v5, 0
	;; [unrolled: 1-line block ×4, first 2 shown]
.LBB209_10:
	ds_write_b128 v9, v[5:8]
.LBB209_11:
	s_or_b64 exec, exec, s[26:27]
	s_load_dword s21, s[4:5], 0x58
	s_load_dwordx2 s[8:9], s[4:5], 0x60
	s_add_i32 s29, s29, -1
	s_waitcnt lgkmcnt(0)
	s_ashr_i32 s26, s21, 31
	s_mul_i32 s4, s9, s7
	s_mul_hi_u32 s5, s8, s7
	s_add_i32 s9, s5, s4
	s_mul_i32 s4, s6, -12
	s_add_i32 s4, s23, s4
	s_cmp_ge_u32 s6, s29
	s_mul_i32 s6, s6, 12
	s_mul_i32 s8, s8, s7
	s_cselect_b32 s4, s4, 12
	s_ashr_i32 s7, s6, 31
	s_cmp_gt_i32 s22, 0
	v_cmp_gt_i32_e64 s[4:5], s4, v0
	s_cselect_b64 s[16:17], -1, 0
	s_and_b64 s[22:23], s[4:5], s[16:17]
	s_and_saveexec_b64 s[18:19], s[22:23]
	s_cbranch_execz .LBB209_14
; %bb.12:
	v_lshlrev_b32_e32 v3, 4, v0
	s_lshl_b64 s[30:31], s[6:7], 4
	s_lshl_b64 s[22:23], s[8:9], 4
	v_mov_b32_e32 v1, s31
	v_add_co_u32_e32 v4, vcc, s30, v3
	s_lshl_b64 s[30:31], s[24:25], 4
	s_add_u32 s7, s10, s30
	s_addc_u32 s27, s11, s31
	s_add_u32 s22, s7, s22
	v_addc_co_u32_e32 v5, vcc, 0, v1, vcc
	s_addc_u32 s23, s27, s23
	v_mov_b32_e32 v1, s22
	v_mov_b32_e32 v2, s23
	v_mad_u64_u32 v[1:2], s[22:23], v4, s21, v[1:2]
	v_mul_lo_u32 v4, v4, s26
	v_mul_lo_u32 v5, v5, s21
	v_add_co_u32_e32 v1, vcc, 8, v1
	v_or_b32_e32 v3, 0x900, v3
	v_add3_u32 v2, v5, v2, v4
	v_addc_co_u32_e32 v2, vcc, 0, v2, vcc
	s_mov_b32 s7, s28
.LBB209_13:                             ; =>This Inner Loop Header: Depth=1
	global_load_dwordx4 v[4:7], v[1:2], off offset:-8
	s_add_i32 s7, s7, -1
	v_add_co_u32_e32 v1, vcc, 16, v1
	v_addc_co_u32_e32 v2, vcc, 0, v2, vcc
	s_cmp_lg_u32 s7, 0
	s_waitcnt vmcnt(0)
	v_mul_f64 v[8:9], s[14:15], v[6:7]
	v_mul_f64 v[10:11], s[12:13], v[6:7]
	v_fma_f64 v[6:7], s[12:13], v[4:5], -v[8:9]
	v_fma_f64 v[8:9], s[14:15], v[4:5], v[10:11]
	ds_write_b128 v3, v[6:9]
	v_add_u32_e32 v3, 0xc0, v3
	s_cbranch_scc1 .LBB209_13
.LBB209_14:
	s_or_b64 exec, exec, s[18:19]
	v_mov_b32_e32 v1, 0x900
	s_cmpk_eq_i32 s20, 0x6f
	v_lshl_or_b32 v5, v0, 4, v1
	s_mov_b64 s[12:13], -1
	s_waitcnt lgkmcnt(0)
	; wave barrier
	s_cbranch_scc1 .LBB209_36
; %bb.15:
	s_mov_b32 s13, 0
	s_mov_b32 s12, s13
	;; [unrolled: 1-line block ×3, first 2 shown]
	s_branch .LBB209_17
.LBB209_16:                             ;   in Loop: Header=BB209_17 Depth=1
	s_cmp_ge_i32 s7, s28
	s_cselect_b64 s[14:15], -1, 0
	s_add_i32 s12, s12, 1
	s_cmp_eq_u32 s12, 3
	s_cselect_b64 s[18:19], -1, 0
	s_or_b64 s[14:15], s[14:15], s[18:19]
	s_andn2_b64 vcc, exec, s[14:15]
	s_cbranch_vccz .LBB209_35
.LBB209_17:                             ; =>This Loop Header: Depth=1
                                        ;     Child Loop BB209_20 Depth 2
                                        ;       Child Loop BB209_21 Depth 3
                                        ;       Child Loop BB209_24 Depth 3
                                        ;         Child Loop BB209_25 Depth 4
                                        ;       Child Loop BB209_29 Depth 3
                                        ;         Child Loop BB209_31 Depth 4
	s_lshl_b64 s[14:15], s[12:13], 2
	s_getpc_b64 s[18:19]
	s_add_u32 s18, s18, __const._ZL38rocblas_trsm_small_left_device_sharedBILi12ELi12ELb0E19rocblas_complex_numIdES1_PKS1_PS1_Ev13rocblas_fill_18rocblas_operation_17rocblas_diagonal_iiT3_T4_lilT5_lili.step_sizes@rel32@lo+4
	s_addc_u32 s19, s19, __const._ZL38rocblas_trsm_small_left_device_sharedBILi12ELi12ELb0E19rocblas_complex_numIdES1_PKS1_PS1_Ev13rocblas_fill_18rocblas_operation_17rocblas_diagonal_iiT3_T4_lilT5_lili.step_sizes@rel32@hi+12
	s_add_u32 s14, s18, s14
	s_addc_u32 s15, s19, s15
	s_load_dword s18, s[14:15], 0x0
	s_waitcnt lgkmcnt(0)
	s_add_i32 s19, s18, -1
	s_add_i32 s14, s19, s7
	s_cmp_ge_i32 s14, s28
	s_cbranch_scc1 .LBB209_16
; %bb.18:                               ;   in Loop: Header=BB209_17 Depth=1
	s_mul_i32 s22, s7, 0xc0
	s_max_i32 s20, s18, 1
	v_add_u32_e32 v6, s22, v5
	s_mul_i32 s23, s18, 0xc0
	s_mul_i32 s26, s7, 0xd0
	;; [unrolled: 1-line block ×3, first 2 shown]
	s_branch .LBB209_20
.LBB209_19:                             ;   in Loop: Header=BB209_20 Depth=2
	s_add_i32 s7, s7, s18
	s_add_i32 s14, s19, s7
	;; [unrolled: 1-line block ×4, first 2 shown]
	s_cmp_ge_i32 s14, s28
	v_add_u32_e32 v6, s23, v6
	s_cbranch_scc1 .LBB209_16
.LBB209_20:                             ;   Parent Loop BB209_17 Depth=1
                                        ; =>  This Loop Header: Depth=2
                                        ;       Child Loop BB209_21 Depth 3
                                        ;       Child Loop BB209_24 Depth 3
                                        ;         Child Loop BB209_25 Depth 4
                                        ;       Child Loop BB209_29 Depth 3
                                        ;         Child Loop BB209_31 Depth 4
	s_mov_b32 s14, 0
	v_mov_b32_e32 v1, v6
	s_mov_b32 s15, s20
.LBB209_21:                             ;   Parent Loop BB209_17 Depth=1
                                        ;     Parent Loop BB209_20 Depth=2
                                        ; =>    This Inner Loop Header: Depth=3
	ds_read_b128 v[7:10], v1
	v_mov_b32_e32 v2, s14
	s_add_i32 s15, s15, -1
	s_add_i32 s14, s14, 16
	v_add_u32_e32 v1, 0xc0, v1
	s_cmp_eq_u32 s15, 0
	s_waitcnt lgkmcnt(0)
	buffer_store_dword v10, v2, s[0:3], 0 offen offset:12
	buffer_store_dword v9, v2, s[0:3], 0 offen offset:8
	;; [unrolled: 1-line block ×3, first 2 shown]
	buffer_store_dword v7, v2, s[0:3], 0 offen
	s_cbranch_scc0 .LBB209_21
; %bb.22:                               ;   in Loop: Header=BB209_20 Depth=2
	s_cmp_lt_i32 s7, 1
	s_cbranch_scc1 .LBB209_27
; %bb.23:                               ;   in Loop: Header=BB209_20 Depth=2
	s_mov_b32 s14, 0
	s_mov_b32 s15, s22
.LBB209_24:                             ;   Parent Loop BB209_17 Depth=1
                                        ;     Parent Loop BB209_20 Depth=2
                                        ; =>    This Loop Header: Depth=3
                                        ;         Child Loop BB209_25 Depth 4
	s_mul_i32 s29, s14, 0xc0
	v_add_u32_e32 v1, s29, v5
	ds_read_b128 v[1:4], v1
	s_mov_b32 s29, 0
	s_mov_b32 s30, s15
	;; [unrolled: 1-line block ×3, first 2 shown]
.LBB209_25:                             ;   Parent Loop BB209_17 Depth=1
                                        ;     Parent Loop BB209_20 Depth=2
                                        ;       Parent Loop BB209_24 Depth=3
                                        ; =>      This Inner Loop Header: Depth=4
	v_mov_b32_e32 v17, s29
	buffer_load_dword v11, v17, s[0:3], 0 offen
	buffer_load_dword v12, v17, s[0:3], 0 offen offset:4
	buffer_load_dword v13, v17, s[0:3], 0 offen offset:8
	;; [unrolled: 1-line block ×3, first 2 shown]
	v_mov_b32_e32 v7, s30
	ds_read_b128 v[7:10], v7
	s_add_i32 s31, s31, -1
	s_addk_i32 s30, 0xc0
	s_add_i32 s29, s29, 16
	s_cmp_eq_u32 s31, 0
	s_waitcnt lgkmcnt(0)
	v_mul_f64 v[15:16], v[3:4], v[9:10]
	v_mul_f64 v[9:10], v[1:2], v[9:10]
	v_fma_f64 v[15:16], v[1:2], v[7:8], -v[15:16]
	v_fma_f64 v[7:8], v[3:4], v[7:8], v[9:10]
	s_waitcnt vmcnt(2)
	v_add_f64 v[9:10], v[11:12], -v[15:16]
	s_waitcnt vmcnt(0)
	v_add_f64 v[7:8], v[13:14], -v[7:8]
	buffer_store_dword v9, v17, s[0:3], 0 offen
	buffer_store_dword v10, v17, s[0:3], 0 offen offset:4
	buffer_store_dword v7, v17, s[0:3], 0 offen offset:8
	;; [unrolled: 1-line block ×3, first 2 shown]
	s_cbranch_scc0 .LBB209_25
; %bb.26:                               ;   in Loop: Header=BB209_24 Depth=3
	s_add_i32 s14, s14, 1
	s_add_i32 s15, s15, 16
	s_cmp_eq_u32 s14, s7
	s_cbranch_scc0 .LBB209_24
.LBB209_27:                             ;   in Loop: Header=BB209_20 Depth=2
	s_mul_i32 s29, s7, 0xc0
	s_mov_b32 s30, 0
	s_mov_b32 s31, s26
	s_branch .LBB209_29
.LBB209_28:                             ;   in Loop: Header=BB209_29 Depth=3
	s_mul_i32 s14, s34, 0xd0
	v_mov_b32_e32 v7, s14
	ds_read_b128 v[7:10], v7
	s_lshl_b32 s14, s30, 4
	s_add_i32 s30, s30, 1
	s_addk_i32 s31, 0xc0
	s_cmp_eq_u32 s30, s20
	s_waitcnt vmcnt(0) lgkmcnt(0)
	v_mul_f64 v[11:12], v[9:10], v[3:4]
	v_mul_f64 v[3:4], v[7:8], v[3:4]
	v_fma_f64 v[7:8], v[7:8], v[1:2], -v[11:12]
	v_fma_f64 v[9:10], v[9:10], v[1:2], v[3:4]
	v_add_u32_e32 v1, s33, v5
	v_mov_b32_e32 v2, s14
	buffer_store_dword v8, v2, s[0:3], 0 offen offset:4
	buffer_store_dword v7, v2, s[0:3], 0 offen
	buffer_store_dword v10, v2, s[0:3], 0 offen offset:12
	buffer_store_dword v9, v2, s[0:3], 0 offen offset:8
	ds_write_b128 v1, v[7:10]
	s_cbranch_scc1 .LBB209_19
.LBB209_29:                             ;   Parent Loop BB209_17 Depth=1
                                        ;     Parent Loop BB209_20 Depth=2
                                        ; =>    This Loop Header: Depth=3
                                        ;         Child Loop BB209_31 Depth 4
	s_cmp_lg_u32 s30, 0
	s_cbranch_scc0 .LBB209_33
; %bb.30:                               ;   in Loop: Header=BB209_29 Depth=3
	s_lshl_b32 s14, s30, 4
	v_mov_b32_e32 v7, s14
	buffer_load_dword v1, v7, s[0:3], 0 offen
	buffer_load_dword v2, v7, s[0:3], 0 offen offset:4
	buffer_load_dword v3, v7, s[0:3], 0 offen offset:8
	;; [unrolled: 1-line block ×3, first 2 shown]
	s_add_i32 s34, s30, s7
	s_mul_i32 s33, s34, 0xc0
	s_mov_b32 s14, 0
	s_mov_b32 s15, s31
	;; [unrolled: 1-line block ×3, first 2 shown]
.LBB209_31:                             ;   Parent Loop BB209_17 Depth=1
                                        ;     Parent Loop BB209_20 Depth=2
                                        ;       Parent Loop BB209_29 Depth=3
                                        ; =>      This Inner Loop Header: Depth=4
	v_mov_b32_e32 v8, s14
	buffer_load_dword v12, v8, s[0:3], 0 offen offset:8
	buffer_load_dword v13, v8, s[0:3], 0 offen offset:12
	buffer_load_dword v14, v8, s[0:3], 0 offen
	buffer_load_dword v15, v8, s[0:3], 0 offen offset:4
	v_mov_b32_e32 v8, s15
	ds_read_b128 v[8:11], v8
	s_add_i32 s35, s35, -1
	s_add_i32 s14, s14, 16
	s_add_i32 s15, s15, 16
	s_cmp_eq_u32 s35, 0
	s_waitcnt vmcnt(2) lgkmcnt(0)
	v_mul_f64 v[16:17], v[10:11], v[12:13]
	v_mul_f64 v[12:13], v[8:9], v[12:13]
	s_waitcnt vmcnt(0)
	v_fma_f64 v[8:9], v[8:9], v[14:15], -v[16:17]
	v_fma_f64 v[10:11], v[10:11], v[14:15], v[12:13]
	v_add_f64 v[1:2], v[1:2], -v[8:9]
	v_add_f64 v[3:4], v[3:4], -v[10:11]
	buffer_store_dword v1, v7, s[0:3], 0 offen
	buffer_store_dword v2, v7, s[0:3], 0 offen offset:4
	buffer_store_dword v3, v7, s[0:3], 0 offen offset:8
	;; [unrolled: 1-line block ×3, first 2 shown]
	s_cbranch_scc0 .LBB209_31
; %bb.32:                               ;   in Loop: Header=BB209_29 Depth=3
	s_branch .LBB209_28
.LBB209_33:                             ;   in Loop: Header=BB209_29 Depth=3
                                        ; implicit-def: $vgpr1_vgpr2
                                        ; implicit-def: $vgpr3_vgpr4
                                        ; implicit-def: $sgpr34
                                        ; implicit-def: $sgpr33
	s_cbranch_execz .LBB209_28
; %bb.34:                               ;   in Loop: Header=BB209_29 Depth=3
	buffer_load_dword v1, off, s[0:3], 0
	buffer_load_dword v2, off, s[0:3], 0 offset:4
	buffer_load_dword v3, off, s[0:3], 0 offset:8
	;; [unrolled: 1-line block ×3, first 2 shown]
	s_mov_b32 s33, s29
	s_mov_b32 s34, s7
	s_branch .LBB209_28
.LBB209_35:
	s_mov_b64 s[12:13], 0
.LBB209_36:
	s_and_b64 vcc, exec, s[12:13]
	s_cbranch_vccz .LBB209_56
; %bb.37:
	s_add_i32 s7, s28, -1
	v_mov_b32_e32 v1, 0x900
	s_mul_i32 s18, s28, 0xc0
	s_mov_b32 s13, 0
	v_lshl_or_b32 v6, v0, 4, v1
	s_addk_i32 s18, 0xff40
	s_mov_b32 s12, s13
	s_mov_b32 s19, s7
	s_branch .LBB209_39
.LBB209_38:                             ;   in Loop: Header=BB209_39 Depth=1
	s_cmp_lt_i32 s19, 0
	s_cselect_b64 s[14:15], -1, 0
	s_add_i32 s12, s12, 1
	s_cmp_eq_u32 s12, 3
	s_cselect_b64 s[22:23], -1, 0
	s_or_b64 s[14:15], s[14:15], s[22:23]
	s_and_b64 vcc, exec, s[14:15]
	s_cbranch_vccnz .LBB209_56
.LBB209_39:                             ; =>This Loop Header: Depth=1
                                        ;     Child Loop BB209_42 Depth 2
                                        ;       Child Loop BB209_43 Depth 3
                                        ;       Child Loop BB209_45 Depth 3
                                        ;         Child Loop BB209_46 Depth 4
                                        ;       Child Loop BB209_50 Depth 3
                                        ;         Child Loop BB209_52 Depth 4
	s_lshl_b64 s[14:15], s[12:13], 2
	s_getpc_b64 s[22:23]
	s_add_u32 s22, s22, __const._ZL38rocblas_trsm_small_left_device_sharedBILi12ELi12ELb0E19rocblas_complex_numIdES1_PKS1_PS1_Ev13rocblas_fill_18rocblas_operation_17rocblas_diagonal_iiT3_T4_lilT5_lili.step_sizes@rel32@lo+4
	s_addc_u32 s23, s23, __const._ZL38rocblas_trsm_small_left_device_sharedBILi12ELi12ELb0E19rocblas_complex_numIdES1_PKS1_PS1_Ev13rocblas_fill_18rocblas_operation_17rocblas_diagonal_iiT3_T4_lilT5_lili.step_sizes@rel32@hi+12
	s_add_u32 s14, s22, s14
	s_addc_u32 s15, s23, s15
	s_load_dword s20, s[14:15], 0x0
	s_waitcnt lgkmcnt(0)
	s_add_i32 s22, s20, -1
	s_cmp_lt_i32 s19, s22
	s_cbranch_scc1 .LBB209_38
; %bb.40:                               ;   in Loop: Header=BB209_39 Depth=1
	s_mul_i32 s14, s19, 0xc0
	v_add_u32_e32 v7, s14, v6
	s_lshl_b32 s14, s19, 4
	s_add_i32 s27, s18, s14
	s_lshl_b32 s14, s20, 4
	s_max_i32 s23, s20, 1
	s_mul_i32 s26, s20, 0xffffff40
	s_sub_i32 s29, 0, s14
	s_mul_i32 s30, s19, 0xd0
	s_mul_i32 s31, s20, 0xffffff30
	s_branch .LBB209_42
.LBB209_41:                             ;   in Loop: Header=BB209_42 Depth=2
	s_sub_i32 s19, s19, s20
	s_add_i32 s27, s27, s29
	s_add_i32 s30, s30, s31
	s_cmp_lt_i32 s19, s22
	v_add_u32_e32 v7, s26, v7
	s_cbranch_scc1 .LBB209_38
.LBB209_42:                             ;   Parent Loop BB209_39 Depth=1
                                        ; =>  This Loop Header: Depth=2
                                        ;       Child Loop BB209_43 Depth 3
                                        ;       Child Loop BB209_45 Depth 3
                                        ;         Child Loop BB209_46 Depth 4
                                        ;       Child Loop BB209_50 Depth 3
                                        ;         Child Loop BB209_52 Depth 4
	s_mov_b32 s14, 0
	v_mov_b32_e32 v1, v7
	s_mov_b32 s15, s23
.LBB209_43:                             ;   Parent Loop BB209_39 Depth=1
                                        ;     Parent Loop BB209_42 Depth=2
                                        ; =>    This Inner Loop Header: Depth=3
	ds_read_b128 v[8:11], v1
	v_mov_b32_e32 v2, s14
	s_add_i32 s15, s15, -1
	s_add_i32 s14, s14, 16
	v_add_u32_e32 v1, 0xffffff40, v1
	s_cmp_eq_u32 s15, 0
	s_waitcnt lgkmcnt(0)
	buffer_store_dword v11, v2, s[0:3], 0 offen offset:12
	buffer_store_dword v10, v2, s[0:3], 0 offen offset:8
	;; [unrolled: 1-line block ×3, first 2 shown]
	buffer_store_dword v8, v2, s[0:3], 0 offen
	s_cbranch_scc0 .LBB209_43
; %bb.44:                               ;   in Loop: Header=BB209_42 Depth=2
	s_cmp_le_i32 s7, s19
	s_mov_b32 s14, s27
	s_mov_b32 s15, s7
	s_cbranch_scc1 .LBB209_48
.LBB209_45:                             ;   Parent Loop BB209_39 Depth=1
                                        ;     Parent Loop BB209_42 Depth=2
                                        ; =>    This Loop Header: Depth=3
                                        ;         Child Loop BB209_46 Depth 4
	s_mul_i32 s33, s15, 0xc0
	v_add_u32_e32 v1, s33, v5
	ds_read_b128 v[1:4], v1
	s_mov_b32 s33, 0
	s_mov_b32 s34, s14
	;; [unrolled: 1-line block ×3, first 2 shown]
.LBB209_46:                             ;   Parent Loop BB209_39 Depth=1
                                        ;     Parent Loop BB209_42 Depth=2
                                        ;       Parent Loop BB209_45 Depth=3
                                        ; =>      This Inner Loop Header: Depth=4
	v_mov_b32_e32 v18, s33
	buffer_load_dword v12, v18, s[0:3], 0 offen
	buffer_load_dword v13, v18, s[0:3], 0 offen offset:4
	buffer_load_dword v14, v18, s[0:3], 0 offen offset:8
	buffer_load_dword v15, v18, s[0:3], 0 offen offset:12
	v_mov_b32_e32 v8, s34
	ds_read_b128 v[8:11], v8
	s_add_i32 s35, s35, -1
	s_add_i32 s34, s34, -16
	s_add_i32 s33, s33, 16
	s_cmp_eq_u32 s35, 0
	s_waitcnt lgkmcnt(0)
	v_mul_f64 v[16:17], v[3:4], v[10:11]
	v_mul_f64 v[10:11], v[1:2], v[10:11]
	v_fma_f64 v[16:17], v[1:2], v[8:9], -v[16:17]
	v_fma_f64 v[8:9], v[3:4], v[8:9], v[10:11]
	s_waitcnt vmcnt(2)
	v_add_f64 v[10:11], v[12:13], -v[16:17]
	s_waitcnt vmcnt(0)
	v_add_f64 v[8:9], v[14:15], -v[8:9]
	buffer_store_dword v10, v18, s[0:3], 0 offen
	buffer_store_dword v11, v18, s[0:3], 0 offen offset:4
	buffer_store_dword v8, v18, s[0:3], 0 offen offset:8
	;; [unrolled: 1-line block ×3, first 2 shown]
	s_cbranch_scc0 .LBB209_46
; %bb.47:                               ;   in Loop: Header=BB209_45 Depth=3
	s_add_i32 s15, s15, -1
	s_addk_i32 s14, 0xff40
	s_cmp_le_i32 s15, s19
	s_cbranch_scc0 .LBB209_45
.LBB209_48:                             ;   in Loop: Header=BB209_42 Depth=2
	s_mov_b32 s33, 0
	s_mov_b32 s34, s30
	s_branch .LBB209_50
.LBB209_49:                             ;   in Loop: Header=BB209_50 Depth=3
	s_mul_i32 s14, s35, 0xd0
	v_mov_b32_e32 v8, s14
	ds_read_b128 v[8:11], v8
	s_lshl_b32 s14, s33, 4
	s_mul_i32 s15, s35, 0xc0
	s_add_i32 s33, s33, 1
	s_add_i32 s34, s34, -16
	s_waitcnt vmcnt(0) lgkmcnt(0)
	v_mul_f64 v[12:13], v[10:11], v[3:4]
	v_mul_f64 v[3:4], v[8:9], v[3:4]
	s_cmp_eq_u32 s33, s23
	v_fma_f64 v[8:9], v[8:9], v[1:2], -v[12:13]
	v_fma_f64 v[10:11], v[10:11], v[1:2], v[3:4]
	v_mov_b32_e32 v1, s14
	v_add_u32_e32 v2, s15, v5
	buffer_store_dword v9, v1, s[0:3], 0 offen offset:4
	buffer_store_dword v8, v1, s[0:3], 0 offen
	buffer_store_dword v11, v1, s[0:3], 0 offen offset:12
	buffer_store_dword v10, v1, s[0:3], 0 offen offset:8
	ds_write_b128 v2, v[8:11]
	s_cbranch_scc1 .LBB209_41
.LBB209_50:                             ;   Parent Loop BB209_39 Depth=1
                                        ;     Parent Loop BB209_42 Depth=2
                                        ; =>    This Loop Header: Depth=3
                                        ;         Child Loop BB209_52 Depth 4
	s_cmp_lg_u32 s33, 0
	s_cbranch_scc0 .LBB209_54
; %bb.51:                               ;   in Loop: Header=BB209_50 Depth=3
	s_lshl_b32 s14, s33, 4
	v_mov_b32_e32 v8, s14
	buffer_load_dword v1, v8, s[0:3], 0 offen
	buffer_load_dword v2, v8, s[0:3], 0 offen offset:4
	buffer_load_dword v3, v8, s[0:3], 0 offen offset:8
	;; [unrolled: 1-line block ×3, first 2 shown]
	s_sub_i32 s35, s19, s33
	s_mov_b32 s14, 0
	s_mov_b32 s15, s34
	;; [unrolled: 1-line block ×3, first 2 shown]
.LBB209_52:                             ;   Parent Loop BB209_39 Depth=1
                                        ;     Parent Loop BB209_42 Depth=2
                                        ;       Parent Loop BB209_50 Depth=3
                                        ; =>      This Inner Loop Header: Depth=4
	v_mov_b32_e32 v9, s14
	buffer_load_dword v13, v9, s[0:3], 0 offen offset:8
	buffer_load_dword v14, v9, s[0:3], 0 offen offset:12
	buffer_load_dword v15, v9, s[0:3], 0 offen
	buffer_load_dword v16, v9, s[0:3], 0 offen offset:4
	v_mov_b32_e32 v9, s15
	ds_read_b128 v[9:12], v9
	s_add_i32 s36, s36, -1
	s_addk_i32 s15, 0xff40
	s_add_i32 s14, s14, 16
	s_cmp_eq_u32 s36, 0
	s_waitcnt vmcnt(2) lgkmcnt(0)
	v_mul_f64 v[17:18], v[11:12], v[13:14]
	v_mul_f64 v[13:14], v[9:10], v[13:14]
	s_waitcnt vmcnt(0)
	v_fma_f64 v[9:10], v[9:10], v[15:16], -v[17:18]
	v_fma_f64 v[11:12], v[11:12], v[15:16], v[13:14]
	v_add_f64 v[1:2], v[1:2], -v[9:10]
	v_add_f64 v[3:4], v[3:4], -v[11:12]
	buffer_store_dword v1, v8, s[0:3], 0 offen
	buffer_store_dword v2, v8, s[0:3], 0 offen offset:4
	buffer_store_dword v3, v8, s[0:3], 0 offen offset:8
	;; [unrolled: 1-line block ×3, first 2 shown]
	s_cbranch_scc0 .LBB209_52
; %bb.53:                               ;   in Loop: Header=BB209_50 Depth=3
	s_branch .LBB209_49
.LBB209_54:                             ;   in Loop: Header=BB209_50 Depth=3
                                        ; implicit-def: $vgpr1_vgpr2
                                        ; implicit-def: $vgpr3_vgpr4
                                        ; implicit-def: $sgpr35
	s_cbranch_execz .LBB209_49
; %bb.55:                               ;   in Loop: Header=BB209_50 Depth=3
	buffer_load_dword v1, off, s[0:3], 0
	buffer_load_dword v2, off, s[0:3], 0 offset:4
	buffer_load_dword v3, off, s[0:3], 0 offset:8
	;; [unrolled: 1-line block ×3, first 2 shown]
	s_mov_b32 s35, s19
	s_branch .LBB209_49
.LBB209_56:
	s_waitcnt lgkmcnt(0)
	; wave barrier
	s_and_saveexec_b64 s[12:13], s[4:5]
	s_cbranch_execz .LBB209_60
; %bb.57:
	s_andn2_b64 vcc, exec, s[16:17]
	s_cbranch_vccnz .LBB209_60
; %bb.58:
	s_lshl_b64 s[4:5], s[8:9], 4
	s_add_u32 s7, s10, s4
	s_addc_u32 s8, s11, s5
	s_lshl_b64 s[4:5], s[24:25], 4
	s_add_u32 s9, s7, s4
	s_addc_u32 s8, s8, s5
	s_mul_hi_i32 s5, s21, s6
	s_mul_i32 s4, s21, s6
	v_mad_i64_i32 v[1:2], s[6:7], s21, v0, 0
	s_lshl_b64 s[4:5], s[4:5], 4
	s_add_u32 s4, s9, s4
	v_lshlrev_b64 v[1:2], 4, v[1:2]
	s_addc_u32 s5, s8, s5
	v_mov_b32_e32 v3, s5
	v_add_co_u32_e32 v1, vcc, s4, v1
	v_addc_co_u32_e32 v2, vcc, v3, v2, vcc
	v_mov_b32_e32 v3, 0x900
	v_lshl_or_b32 v0, v0, 4, v3
.LBB209_59:                             ; =>This Inner Loop Header: Depth=1
	ds_read2_b64 v[3:6], v0 offset1:1
	s_add_i32 s28, s28, -1
	v_add_u32_e32 v0, 0xc0, v0
	s_cmp_lg_u32 s28, 0
	s_waitcnt lgkmcnt(0)
	global_store_dwordx4 v[1:2], v[3:6], off
	v_add_co_u32_e32 v1, vcc, 16, v1
	v_addc_co_u32_e32 v2, vcc, 0, v2, vcc
	s_cbranch_scc1 .LBB209_59
.LBB209_60:
	s_endpgm
	.section	.rodata,"a",@progbits
	.p2align	6, 0x0
	.amdhsa_kernel _ZL38rocblas_trsm_small_left_device_sharedBILi12ELi12ELb0E19rocblas_complex_numIdES1_PKS1_PS1_Ev13rocblas_fill_18rocblas_operation_17rocblas_diagonal_iiT3_T4_lilT5_lili
		.amdhsa_group_segment_fixed_size 4608
		.amdhsa_private_segment_fixed_size 208
		.amdhsa_kernarg_size 368
		.amdhsa_user_sgpr_count 6
		.amdhsa_user_sgpr_private_segment_buffer 1
		.amdhsa_user_sgpr_dispatch_ptr 0
		.amdhsa_user_sgpr_queue_ptr 0
		.amdhsa_user_sgpr_kernarg_segment_ptr 1
		.amdhsa_user_sgpr_dispatch_id 0
		.amdhsa_user_sgpr_flat_scratch_init 0
		.amdhsa_user_sgpr_private_segment_size 0
		.amdhsa_uses_dynamic_stack 0
		.amdhsa_system_sgpr_private_segment_wavefront_offset 1
		.amdhsa_system_sgpr_workgroup_id_x 1
		.amdhsa_system_sgpr_workgroup_id_y 0
		.amdhsa_system_sgpr_workgroup_id_z 1
		.amdhsa_system_sgpr_workgroup_info 0
		.amdhsa_system_vgpr_workitem_id 0
		.amdhsa_next_free_vgpr 49
		.amdhsa_next_free_sgpr 98
		.amdhsa_reserve_vcc 1
		.amdhsa_reserve_flat_scratch 0
		.amdhsa_float_round_mode_32 0
		.amdhsa_float_round_mode_16_64 0
		.amdhsa_float_denorm_mode_32 3
		.amdhsa_float_denorm_mode_16_64 3
		.amdhsa_dx10_clamp 1
		.amdhsa_ieee_mode 1
		.amdhsa_fp16_overflow 0
		.amdhsa_exception_fp_ieee_invalid_op 0
		.amdhsa_exception_fp_denorm_src 0
		.amdhsa_exception_fp_ieee_div_zero 0
		.amdhsa_exception_fp_ieee_overflow 0
		.amdhsa_exception_fp_ieee_underflow 0
		.amdhsa_exception_fp_ieee_inexact 0
		.amdhsa_exception_int_div_zero 0
	.end_amdhsa_kernel
	.section	.text._ZL38rocblas_trsm_small_left_device_sharedBILi12ELi12ELb0E19rocblas_complex_numIdES1_PKS1_PS1_Ev13rocblas_fill_18rocblas_operation_17rocblas_diagonal_iiT3_T4_lilT5_lili,"axG",@progbits,_ZL38rocblas_trsm_small_left_device_sharedBILi12ELi12ELb0E19rocblas_complex_numIdES1_PKS1_PS1_Ev13rocblas_fill_18rocblas_operation_17rocblas_diagonal_iiT3_T4_lilT5_lili,comdat
.Lfunc_end209:
	.size	_ZL38rocblas_trsm_small_left_device_sharedBILi12ELi12ELb0E19rocblas_complex_numIdES1_PKS1_PS1_Ev13rocblas_fill_18rocblas_operation_17rocblas_diagonal_iiT3_T4_lilT5_lili, .Lfunc_end209-_ZL38rocblas_trsm_small_left_device_sharedBILi12ELi12ELb0E19rocblas_complex_numIdES1_PKS1_PS1_Ev13rocblas_fill_18rocblas_operation_17rocblas_diagonal_iiT3_T4_lilT5_lili
                                        ; -- End function
	.set _ZL38rocblas_trsm_small_left_device_sharedBILi12ELi12ELb0E19rocblas_complex_numIdES1_PKS1_PS1_Ev13rocblas_fill_18rocblas_operation_17rocblas_diagonal_iiT3_T4_lilT5_lili.num_vgpr, 19
	.set _ZL38rocblas_trsm_small_left_device_sharedBILi12ELi12ELb0E19rocblas_complex_numIdES1_PKS1_PS1_Ev13rocblas_fill_18rocblas_operation_17rocblas_diagonal_iiT3_T4_lilT5_lili.num_agpr, 0
	.set _ZL38rocblas_trsm_small_left_device_sharedBILi12ELi12ELb0E19rocblas_complex_numIdES1_PKS1_PS1_Ev13rocblas_fill_18rocblas_operation_17rocblas_diagonal_iiT3_T4_lilT5_lili.numbered_sgpr, 37
	.set _ZL38rocblas_trsm_small_left_device_sharedBILi12ELi12ELb0E19rocblas_complex_numIdES1_PKS1_PS1_Ev13rocblas_fill_18rocblas_operation_17rocblas_diagonal_iiT3_T4_lilT5_lili.num_named_barrier, 0
	.set _ZL38rocblas_trsm_small_left_device_sharedBILi12ELi12ELb0E19rocblas_complex_numIdES1_PKS1_PS1_Ev13rocblas_fill_18rocblas_operation_17rocblas_diagonal_iiT3_T4_lilT5_lili.private_seg_size, 208
	.set _ZL38rocblas_trsm_small_left_device_sharedBILi12ELi12ELb0E19rocblas_complex_numIdES1_PKS1_PS1_Ev13rocblas_fill_18rocblas_operation_17rocblas_diagonal_iiT3_T4_lilT5_lili.uses_vcc, 1
	.set _ZL38rocblas_trsm_small_left_device_sharedBILi12ELi12ELb0E19rocblas_complex_numIdES1_PKS1_PS1_Ev13rocblas_fill_18rocblas_operation_17rocblas_diagonal_iiT3_T4_lilT5_lili.uses_flat_scratch, 0
	.set _ZL38rocblas_trsm_small_left_device_sharedBILi12ELi12ELb0E19rocblas_complex_numIdES1_PKS1_PS1_Ev13rocblas_fill_18rocblas_operation_17rocblas_diagonal_iiT3_T4_lilT5_lili.has_dyn_sized_stack, 0
	.set _ZL38rocblas_trsm_small_left_device_sharedBILi12ELi12ELb0E19rocblas_complex_numIdES1_PKS1_PS1_Ev13rocblas_fill_18rocblas_operation_17rocblas_diagonal_iiT3_T4_lilT5_lili.has_recursion, 0
	.set _ZL38rocblas_trsm_small_left_device_sharedBILi12ELi12ELb0E19rocblas_complex_numIdES1_PKS1_PS1_Ev13rocblas_fill_18rocblas_operation_17rocblas_diagonal_iiT3_T4_lilT5_lili.has_indirect_call, 0
	.section	.AMDGPU.csdata,"",@progbits
; Kernel info:
; codeLenInByte = 3112
; TotalNumSgprs: 41
; NumVgprs: 19
; ScratchSize: 208
; MemoryBound: 0
; FloatMode: 240
; IeeeMode: 1
; LDSByteSize: 4608 bytes/workgroup (compile time only)
; SGPRBlocks: 12
; VGPRBlocks: 12
; NumSGPRsForWavesPerEU: 102
; NumVGPRsForWavesPerEU: 49
; Occupancy: 4
; WaveLimiterHint : 0
; COMPUTE_PGM_RSRC2:SCRATCH_EN: 1
; COMPUTE_PGM_RSRC2:USER_SGPR: 6
; COMPUTE_PGM_RSRC2:TRAP_HANDLER: 0
; COMPUTE_PGM_RSRC2:TGID_X_EN: 1
; COMPUTE_PGM_RSRC2:TGID_Y_EN: 0
; COMPUTE_PGM_RSRC2:TGID_Z_EN: 1
; COMPUTE_PGM_RSRC2:TIDIG_COMP_CNT: 0
	.section	.text._ZL30rocblas_trsm_small_left_deviceILi12ELi12ELb0E19rocblas_complex_numIdES1_PKS1_PS1_Ev13rocblas_fill_18rocblas_operation_17rocblas_diagonal_iiT3_T4_lilT5_lili,"axG",@progbits,_ZL30rocblas_trsm_small_left_deviceILi12ELi12ELb0E19rocblas_complex_numIdES1_PKS1_PS1_Ev13rocblas_fill_18rocblas_operation_17rocblas_diagonal_iiT3_T4_lilT5_lili,comdat
	.globl	_ZL30rocblas_trsm_small_left_deviceILi12ELi12ELb0E19rocblas_complex_numIdES1_PKS1_PS1_Ev13rocblas_fill_18rocblas_operation_17rocblas_diagonal_iiT3_T4_lilT5_lili ; -- Begin function _ZL30rocblas_trsm_small_left_deviceILi12ELi12ELb0E19rocblas_complex_numIdES1_PKS1_PS1_Ev13rocblas_fill_18rocblas_operation_17rocblas_diagonal_iiT3_T4_lilT5_lili
	.p2align	8
	.type	_ZL30rocblas_trsm_small_left_deviceILi12ELi12ELb0E19rocblas_complex_numIdES1_PKS1_PS1_Ev13rocblas_fill_18rocblas_operation_17rocblas_diagonal_iiT3_T4_lilT5_lili,@function
_ZL30rocblas_trsm_small_left_deviceILi12ELi12ELb0E19rocblas_complex_numIdES1_PKS1_PS1_Ev13rocblas_fill_18rocblas_operation_17rocblas_diagonal_iiT3_T4_lilT5_lili: ; @_ZL30rocblas_trsm_small_left_deviceILi12ELi12ELb0E19rocblas_complex_numIdES1_PKS1_PS1_Ev13rocblas_fill_18rocblas_operation_17rocblas_diagonal_iiT3_T4_lilT5_lili
; %bb.0:
	s_add_u32 s0, s0, s8
	s_load_dwordx4 s[20:23], s[4:5], 0x4
	s_load_dwordx8 s[12:19], s[4:5], 0x18
	s_load_dwordx4 s[8:11], s[4:5], 0x40
	s_load_dwordx2 s[24:25], s[4:5], 0x50
	s_load_dword s29, s[4:5], 0x70
	s_addc_u32 s1, s1, 0
	s_waitcnt lgkmcnt(0)
	s_min_i32 s28, s22, 12
	v_cmp_gt_i32_e32 vcc, s28, v0
	s_and_saveexec_b64 s[26:27], vcc
	s_cbranch_execz .LBB210_11
; %bb.1:
	s_load_dword s30, s[4:5], 0x38
	s_mul_i32 s9, s9, s7
	s_mul_hi_u32 s22, s8, s7
	s_mul_i32 s8, s8, s7
	v_lshlrev_b32_e32 v3, 4, v0
	s_waitcnt lgkmcnt(0)
	s_ashr_i32 s31, s30, 31
	s_cmpk_eq_i32 s20, 0x71
	s_cselect_b64 vcc, -1, 0
	s_add_i32 s9, s22, s9
	s_lshl_b64 s[8:9], s[8:9], 4
	s_lshl_b64 s[18:19], s[18:19], 4
	s_add_u32 s8, s8, s18
	s_addc_u32 s9, s9, s19
	s_add_u32 s8, s16, s8
	s_addc_u32 s9, s17, s9
	v_mov_b32_e32 v1, s9
	v_add_co_u32_e64 v2, s[8:9], s8, v3
	v_addc_co_u32_e64 v4, s[8:9], 0, v1, s[8:9]
	v_add_co_u32_e64 v1, s[8:9], 8, v2
	s_lshl_b64 s[16:17], s[30:31], 4
	v_addc_co_u32_e64 v2, s[8:9], 0, v4, s[8:9]
	v_mov_b32_e32 v4, s17
	v_mov_b32_e32 v5, v3
	s_mov_b32 s17, s28
.LBB210_2:                              ; =>This Inner Loop Header: Depth=1
	global_load_dwordx4 v[6:9], v[1:2], off offset:-8
	s_add_i32 s17, s17, -1
	v_add_co_u32_e64 v1, s[8:9], s16, v1
	v_addc_co_u32_e64 v2, s[8:9], v2, v4, s[8:9]
	s_cmp_eq_u32 s17, 0
	s_waitcnt vmcnt(0)
	v_xor_b32_e32 v10, 0x80000000, v9
	v_cndmask_b32_e32 v9, v9, v10, vcc
	ds_write_b128 v5, v[6:9]
	v_add_u32_e32 v5, 0xc0, v5
	s_cbranch_scc0 .LBB210_2
; %bb.3:
	v_mul_u32_u24_e32 v1, 0xc0, v0
	s_cmpk_lg_i32 s21, 0x84
	v_add_u32_e32 v9, v3, v1
	s_cbranch_scc0 .LBB210_9
; %bb.4:
	ds_read_b128 v[1:4], v9
                                        ; implicit-def: $vgpr7_vgpr8
	s_waitcnt lgkmcnt(0)
	v_cmp_ngt_f64_e64 s[8:9], |v[1:2]|, |v[3:4]|
	s_and_saveexec_b64 s[16:17], s[8:9]
	s_xor_b64 s[8:9], exec, s[16:17]
	s_cbranch_execz .LBB210_6
; %bb.5:
	v_div_scale_f64 v[5:6], s[16:17], v[3:4], v[3:4], v[1:2]
	v_rcp_f64_e32 v[7:8], v[5:6]
	v_fma_f64 v[10:11], -v[5:6], v[7:8], 1.0
	v_fma_f64 v[7:8], v[7:8], v[10:11], v[7:8]
	v_div_scale_f64 v[10:11], vcc, v[1:2], v[3:4], v[1:2]
	v_fma_f64 v[12:13], -v[5:6], v[7:8], 1.0
	v_fma_f64 v[7:8], v[7:8], v[12:13], v[7:8]
	v_mul_f64 v[12:13], v[10:11], v[7:8]
	v_fma_f64 v[5:6], -v[5:6], v[12:13], v[10:11]
	v_div_fmas_f64 v[5:6], v[5:6], v[7:8], v[12:13]
	v_div_fixup_f64 v[5:6], v[5:6], v[3:4], v[1:2]
	v_fma_f64 v[1:2], v[1:2], v[5:6], v[3:4]
	v_div_scale_f64 v[3:4], s[16:17], v[1:2], v[1:2], 1.0
	v_rcp_f64_e32 v[7:8], v[3:4]
	v_fma_f64 v[10:11], -v[3:4], v[7:8], 1.0
	v_fma_f64 v[7:8], v[7:8], v[10:11], v[7:8]
	v_div_scale_f64 v[10:11], vcc, 1.0, v[1:2], 1.0
	v_fma_f64 v[12:13], -v[3:4], v[7:8], 1.0
	v_fma_f64 v[7:8], v[7:8], v[12:13], v[7:8]
	v_mul_f64 v[12:13], v[10:11], v[7:8]
	v_fma_f64 v[3:4], -v[3:4], v[12:13], v[10:11]
	v_div_fmas_f64 v[3:4], v[3:4], v[7:8], v[12:13]
	v_add_f64 v[7:8], v[5:6], 0
	v_div_fixup_f64 v[1:2], v[3:4], v[1:2], 1.0
	v_fma_f64 v[3:4], v[5:6], 0, -1.0
	v_mul_f64 v[5:6], v[7:8], v[1:2]
	v_mul_f64 v[7:8], v[3:4], v[1:2]
                                        ; implicit-def: $vgpr1_vgpr2
.LBB210_6:
	s_andn2_saveexec_b64 s[8:9], s[8:9]
	s_cbranch_execz .LBB210_8
; %bb.7:
	v_div_scale_f64 v[5:6], s[16:17], v[1:2], v[1:2], v[3:4]
	v_rcp_f64_e32 v[7:8], v[5:6]
	v_fma_f64 v[10:11], -v[5:6], v[7:8], 1.0
	v_fma_f64 v[7:8], v[7:8], v[10:11], v[7:8]
	v_div_scale_f64 v[10:11], vcc, v[3:4], v[1:2], v[3:4]
	v_fma_f64 v[12:13], -v[5:6], v[7:8], 1.0
	v_fma_f64 v[7:8], v[7:8], v[12:13], v[7:8]
	v_mul_f64 v[12:13], v[10:11], v[7:8]
	v_fma_f64 v[5:6], -v[5:6], v[12:13], v[10:11]
	v_div_fmas_f64 v[5:6], v[5:6], v[7:8], v[12:13]
	v_div_fixup_f64 v[5:6], v[5:6], v[1:2], v[3:4]
	v_fma_f64 v[1:2], v[3:4], v[5:6], v[1:2]
	v_div_scale_f64 v[3:4], s[16:17], v[1:2], v[1:2], 1.0
	v_rcp_f64_e32 v[7:8], v[3:4]
	v_fma_f64 v[10:11], -v[3:4], v[7:8], 1.0
	v_fma_f64 v[7:8], v[7:8], v[10:11], v[7:8]
	v_div_scale_f64 v[10:11], vcc, 1.0, v[1:2], 1.0
	v_fma_f64 v[12:13], -v[3:4], v[7:8], 1.0
	v_fma_f64 v[7:8], v[7:8], v[12:13], v[7:8]
	v_mul_f64 v[12:13], v[10:11], v[7:8]
	v_fma_f64 v[3:4], -v[3:4], v[12:13], v[10:11]
	v_div_fmas_f64 v[3:4], v[3:4], v[7:8], v[12:13]
	v_fma_f64 v[7:8], v[5:6], 0, 1.0
	v_div_fixup_f64 v[1:2], v[3:4], v[1:2], 1.0
	v_add_f64 v[3:4], -v[5:6], 0
	v_mul_f64 v[5:6], v[7:8], v[1:2]
	v_mul_f64 v[7:8], v[3:4], v[1:2]
.LBB210_8:
	s_or_b64 exec, exec, s[8:9]
	s_branch .LBB210_10
.LBB210_9:
	v_mov_b32_e32 v7, 0
	v_mov_b32_e32 v5, 0
	;; [unrolled: 1-line block ×4, first 2 shown]
.LBB210_10:
	ds_write_b128 v9, v[5:8]
.LBB210_11:
	s_or_b64 exec, exec, s[26:27]
	s_mul_i32 s8, s6, -12
	s_add_i32 s29, s29, -1
	s_add_i32 s8, s23, s8
	s_cmp_ge_u32 s6, s29
	s_cselect_b32 s8, s8, 12
	v_cmp_gt_i32_e32 vcc, s8, v0
	s_waitcnt lgkmcnt(0)
	; wave barrier
	s_and_saveexec_b64 s[8:9], vcc
	s_cbranch_execz .LBB210_54
; %bb.12:
	s_load_dwordx2 s[8:9], s[4:5], 0x60
	s_load_dword s16, s[4:5], 0x58
	s_waitcnt lgkmcnt(0)
	s_mul_i32 s5, s9, s7
	s_mul_hi_u32 s9, s8, s7
	s_mul_i32 s4, s8, s7
	v_mad_u64_u32 v[0:1], s[6:7], s6, 12, v[0:1]
	s_add_i32 s5, s9, s5
	s_lshl_b64 s[4:5], s[4:5], 4
	v_mad_i64_i32 v[0:1], s[6:7], s16, v0, 0
	s_add_u32 s8, s10, s4
	s_addc_u32 s9, s11, s5
	s_lshl_b64 s[6:7], s[24:25], 4
	s_add_u32 s8, s8, s6
	v_lshlrev_b64 v[4:5], 4, v[0:1]
	s_addc_u32 s9, s9, s7
	v_mov_b32_e32 v0, s9
	v_add_co_u32_e32 v8, vcc, s8, v4
	v_addc_co_u32_e32 v9, vcc, v0, v5, vcc
	s_cmpk_eq_i32 s20, 0x6f
	s_mov_b64 s[8:9], -1
	s_cbranch_scc1 .LBB210_34
; %bb.13:
	s_add_u32 s8, s10, s6
	s_addc_u32 s9, s11, s7
	s_add_u32 s8, s8, s4
	s_addc_u32 s9, s9, s5
	v_mov_b32_e32 v0, s9
	v_add_co_u32_e32 v1, vcc, s8, v4
	v_addc_co_u32_e32 v0, vcc, v0, v5, vcc
	v_add_co_u32_e32 v10, vcc, 8, v1
	s_mov_b32 s9, 0
	v_addc_co_u32_e32 v11, vcc, 0, v0, vcc
	s_mov_b32 s16, s9
	s_mov_b32 s18, s9
	s_branch .LBB210_15
.LBB210_14:                             ;   in Loop: Header=BB210_15 Depth=1
	s_cmp_ge_i32 s18, s28
	s_cselect_b64 s[20:21], -1, 0
	s_add_i32 s16, s16, 1
	s_cmp_eq_u32 s16, 3
	s_cselect_b64 s[22:23], -1, 0
	s_or_b64 s[20:21], s[20:21], s[22:23]
	s_andn2_b64 vcc, exec, s[20:21]
	s_cbranch_vccz .LBB210_33
.LBB210_15:                             ; =>This Loop Header: Depth=1
                                        ;     Child Loop BB210_18 Depth 2
                                        ;       Child Loop BB210_19 Depth 3
                                        ;       Child Loop BB210_22 Depth 3
                                        ;         Child Loop BB210_23 Depth 4
                                        ;       Child Loop BB210_27 Depth 3
                                        ;         Child Loop BB210_29 Depth 4
	s_mov_b32 s17, s9
	s_lshl_b64 s[20:21], s[16:17], 2
	s_getpc_b64 s[22:23]
	s_add_u32 s22, s22, __const._ZL30rocblas_trsm_small_left_deviceILi12ELi12ELb0E19rocblas_complex_numIdES1_PKS1_PS1_Ev13rocblas_fill_18rocblas_operation_17rocblas_diagonal_iiT3_T4_lilT5_lili.step_sizes@rel32@lo+4
	s_addc_u32 s23, s23, __const._ZL30rocblas_trsm_small_left_deviceILi12ELi12ELb0E19rocblas_complex_numIdES1_PKS1_PS1_Ev13rocblas_fill_18rocblas_operation_17rocblas_diagonal_iiT3_T4_lilT5_lili.step_sizes@rel32@hi+12
	s_add_u32 s20, s22, s20
	s_addc_u32 s21, s23, s21
	s_load_dword s20, s[20:21], 0x0
	s_waitcnt lgkmcnt(0)
	s_add_i32 s17, s20, -1
	s_add_i32 s8, s17, s18
	s_cmp_ge_i32 s8, s28
	s_cbranch_scc1 .LBB210_14
; %bb.16:                               ;   in Loop: Header=BB210_15 Depth=1
	s_ashr_i32 s19, s18, 31
	s_lshl_b64 s[22:23], s[18:19], 4
	v_mov_b32_e32 v0, s23
	v_add_co_u32_e32 v6, vcc, s22, v10
	s_ashr_i32 s21, s20, 31
	s_max_i32 s29, s20, 1
	v_addc_co_u32_e32 v7, vcc, v11, v0, vcc
	s_lshl_b64 s[22:23], s[20:21], 4
	s_mul_i32 s19, s18, 0xc0
	s_mul_i32 s21, s20, 0xc0
	;; [unrolled: 1-line block ×4, first 2 shown]
	s_branch .LBB210_18
.LBB210_17:                             ;   in Loop: Header=BB210_18 Depth=2
	s_add_i32 s18, s18, s20
	s_add_i32 s8, s17, s18
	v_mov_b32_e32 v0, s23
	s_add_i32 s19, s19, s21
	s_add_i32 s30, s30, s31
	v_add_co_u32_e32 v6, vcc, s22, v6
	s_cmp_ge_i32 s8, s28
	v_addc_co_u32_e32 v7, vcc, v7, v0, vcc
	s_cbranch_scc1 .LBB210_14
.LBB210_18:                             ;   Parent Loop BB210_15 Depth=1
                                        ; =>  This Loop Header: Depth=2
                                        ;       Child Loop BB210_19 Depth 3
                                        ;       Child Loop BB210_22 Depth 3
                                        ;         Child Loop BB210_23 Depth 4
                                        ;       Child Loop BB210_27 Depth 3
                                        ;         Child Loop BB210_29 Depth 4
	v_mov_b32_e32 v0, v6
	s_mov_b32 s8, 0
	v_mov_b32_e32 v1, v7
	s_mov_b32 s24, s29
.LBB210_19:                             ;   Parent Loop BB210_15 Depth=1
                                        ;     Parent Loop BB210_18 Depth=2
                                        ; =>    This Inner Loop Header: Depth=3
	global_load_dwordx4 v[12:15], v[0:1], off offset:-8
	v_mov_b32_e32 v16, s8
	s_add_i32 s24, s24, -1
	v_add_co_u32_e32 v0, vcc, 16, v0
	s_add_i32 s8, s8, 16
	v_addc_co_u32_e32 v1, vcc, 0, v1, vcc
	s_cmp_eq_u32 s24, 0
	s_waitcnt vmcnt(0)
	v_mul_f64 v[2:3], s[14:15], v[14:15]
	v_mul_f64 v[14:15], s[12:13], v[14:15]
	v_fma_f64 v[2:3], s[12:13], v[12:13], -v[2:3]
	v_fma_f64 v[12:13], s[14:15], v[12:13], v[14:15]
	buffer_store_dword v3, v16, s[0:3], 0 offen offset:4
	buffer_store_dword v2, v16, s[0:3], 0 offen
	buffer_store_dword v13, v16, s[0:3], 0 offen offset:12
	buffer_store_dword v12, v16, s[0:3], 0 offen offset:8
	s_cbranch_scc0 .LBB210_19
; %bb.20:                               ;   in Loop: Header=BB210_18 Depth=2
	s_cmp_lt_i32 s18, 1
	s_cbranch_scc1 .LBB210_25
; %bb.21:                               ;   in Loop: Header=BB210_18 Depth=2
	s_mov_b32 s8, 0
	s_mov_b32 s24, s19
.LBB210_22:                             ;   Parent Loop BB210_15 Depth=1
                                        ;     Parent Loop BB210_18 Depth=2
                                        ; =>    This Loop Header: Depth=3
                                        ;         Child Loop BB210_23 Depth 4
	s_lshl_b64 s[26:27], s[8:9], 4
	v_mov_b32_e32 v1, s27
	v_add_co_u32_e32 v0, vcc, s26, v8
	v_addc_co_u32_e32 v1, vcc, v9, v1, vcc
	global_load_dwordx4 v[0:3], v[0:1], off
	s_mov_b32 s25, 0
	s_mov_b32 s26, s24
	;; [unrolled: 1-line block ×3, first 2 shown]
.LBB210_23:                             ;   Parent Loop BB210_15 Depth=1
                                        ;     Parent Loop BB210_18 Depth=2
                                        ;       Parent Loop BB210_22 Depth=3
                                        ; =>      This Inner Loop Header: Depth=4
	v_mov_b32_e32 v22, s25
	buffer_load_dword v16, v22, s[0:3], 0 offen
	buffer_load_dword v17, v22, s[0:3], 0 offen offset:4
	buffer_load_dword v18, v22, s[0:3], 0 offen offset:8
	;; [unrolled: 1-line block ×3, first 2 shown]
	v_mov_b32_e32 v12, s26
	ds_read_b128 v[12:15], v12
	s_add_i32 s27, s27, -1
	s_addk_i32 s26, 0xc0
	s_add_i32 s25, s25, 16
	s_cmp_eq_u32 s27, 0
	s_waitcnt vmcnt(4) lgkmcnt(0)
	v_mul_f64 v[20:21], v[2:3], v[14:15]
	v_mul_f64 v[14:15], v[0:1], v[14:15]
	v_fma_f64 v[20:21], v[0:1], v[12:13], -v[20:21]
	v_fma_f64 v[12:13], v[2:3], v[12:13], v[14:15]
	s_waitcnt vmcnt(2)
	v_add_f64 v[14:15], v[16:17], -v[20:21]
	s_waitcnt vmcnt(0)
	v_add_f64 v[12:13], v[18:19], -v[12:13]
	buffer_store_dword v14, v22, s[0:3], 0 offen
	buffer_store_dword v15, v22, s[0:3], 0 offen offset:4
	buffer_store_dword v12, v22, s[0:3], 0 offen offset:8
	;; [unrolled: 1-line block ×3, first 2 shown]
	s_cbranch_scc0 .LBB210_23
; %bb.24:                               ;   in Loop: Header=BB210_22 Depth=3
	s_add_i32 s8, s8, 1
	s_add_i32 s24, s24, 16
	s_cmp_eq_u32 s8, s18
	s_cbranch_scc0 .LBB210_22
.LBB210_25:                             ;   in Loop: Header=BB210_18 Depth=2
	s_mov_b32 s8, 0
	s_mov_b32 s33, s30
	s_branch .LBB210_27
.LBB210_26:                             ;   in Loop: Header=BB210_27 Depth=3
	s_mul_i32 s25, s24, 0xd0
	v_mov_b32_e32 v12, s25
	ds_read_b128 v[12:15], v12
	s_ashr_i32 s25, s24, 31
	s_lshl_b64 s[24:25], s[24:25], 4
	s_lshl_b32 s26, s8, 4
	s_add_i32 s8, s8, 1
	s_waitcnt vmcnt(0) lgkmcnt(0)
	v_mul_f64 v[16:17], v[14:15], v[2:3]
	v_mul_f64 v[2:3], v[12:13], v[2:3]
	s_addk_i32 s33, 0xc0
	v_mov_b32_e32 v18, s26
	s_cmp_eq_u32 s8, s29
	v_fma_f64 v[12:13], v[12:13], v[0:1], -v[16:17]
	v_fma_f64 v[14:15], v[14:15], v[0:1], v[2:3]
	v_mov_b32_e32 v16, s25
	v_add_co_u32_e32 v0, vcc, s24, v8
	v_addc_co_u32_e32 v1, vcc, v9, v16, vcc
	buffer_store_dword v13, v18, s[0:3], 0 offen offset:4
	buffer_store_dword v12, v18, s[0:3], 0 offen
	buffer_store_dword v15, v18, s[0:3], 0 offen offset:12
	buffer_store_dword v14, v18, s[0:3], 0 offen offset:8
	global_store_dwordx4 v[0:1], v[12:15], off
	s_cbranch_scc1 .LBB210_17
.LBB210_27:                             ;   Parent Loop BB210_15 Depth=1
                                        ;     Parent Loop BB210_18 Depth=2
                                        ; =>    This Loop Header: Depth=3
                                        ;         Child Loop BB210_29 Depth 4
	s_cmp_lg_u32 s8, 0
	s_cbranch_scc0 .LBB210_31
; %bb.28:                               ;   in Loop: Header=BB210_27 Depth=3
	s_lshl_b32 s25, s8, 4
	v_mov_b32_e32 v12, s25
	buffer_load_dword v0, v12, s[0:3], 0 offen
	buffer_load_dword v1, v12, s[0:3], 0 offen offset:4
	buffer_load_dword v2, v12, s[0:3], 0 offen offset:8
	;; [unrolled: 1-line block ×3, first 2 shown]
	s_add_i32 s24, s8, s18
	s_mov_b32 s26, 0
	s_mov_b32 s27, s33
	;; [unrolled: 1-line block ×3, first 2 shown]
.LBB210_29:                             ;   Parent Loop BB210_15 Depth=1
                                        ;     Parent Loop BB210_18 Depth=2
                                        ;       Parent Loop BB210_27 Depth=3
                                        ; =>      This Inner Loop Header: Depth=4
	v_mov_b32_e32 v12, s26
	buffer_load_dword v16, v12, s[0:3], 0 offen offset:8
	buffer_load_dword v17, v12, s[0:3], 0 offen offset:12
	buffer_load_dword v18, v12, s[0:3], 0 offen
	buffer_load_dword v19, v12, s[0:3], 0 offen offset:4
	v_mov_b32_e32 v12, s27
	ds_read_b128 v[12:15], v12
	s_add_i32 s34, s34, -1
	s_add_i32 s26, s26, 16
	s_add_i32 s27, s27, 16
	s_cmp_eq_u32 s34, 0
	s_waitcnt vmcnt(2) lgkmcnt(0)
	v_mul_f64 v[20:21], v[14:15], v[16:17]
	v_mul_f64 v[16:17], v[12:13], v[16:17]
	s_waitcnt vmcnt(0)
	v_fma_f64 v[12:13], v[12:13], v[18:19], -v[20:21]
	v_fma_f64 v[14:15], v[14:15], v[18:19], v[16:17]
	v_mov_b32_e32 v16, s25
	v_add_f64 v[0:1], v[0:1], -v[12:13]
	v_add_f64 v[2:3], v[2:3], -v[14:15]
	buffer_store_dword v0, v16, s[0:3], 0 offen
	buffer_store_dword v1, v16, s[0:3], 0 offen offset:4
	buffer_store_dword v2, v16, s[0:3], 0 offen offset:8
	;; [unrolled: 1-line block ×3, first 2 shown]
	s_cbranch_scc0 .LBB210_29
; %bb.30:                               ;   in Loop: Header=BB210_27 Depth=3
	s_branch .LBB210_26
.LBB210_31:                             ;   in Loop: Header=BB210_27 Depth=3
                                        ; implicit-def: $vgpr0_vgpr1
                                        ; implicit-def: $vgpr2_vgpr3
                                        ; implicit-def: $sgpr24
	s_cbranch_execz .LBB210_26
; %bb.32:                               ;   in Loop: Header=BB210_27 Depth=3
	buffer_load_dword v0, off, s[0:3], 0
	buffer_load_dword v1, off, s[0:3], 0 offset:4
	buffer_load_dword v2, off, s[0:3], 0 offset:8
	;; [unrolled: 1-line block ×3, first 2 shown]
	s_mov_b32 s24, s18
	s_branch .LBB210_26
.LBB210_33:
	s_mov_b64 s[8:9], 0
.LBB210_34:
	s_and_b64 vcc, exec, s[8:9]
	s_cbranch_vccz .LBB210_54
; %bb.35:
	s_add_i32 s18, s28, -1
	s_add_u32 s6, s10, s6
	s_addc_u32 s7, s11, s7
	s_add_u32 s4, s6, s4
	s_addc_u32 s5, s7, s5
	v_mov_b32_e32 v0, s5
	v_add_co_u32_e32 v1, vcc, s4, v4
	v_addc_co_u32_e32 v0, vcc, v0, v5, vcc
	v_add_co_u32_e32 v4, vcc, 8, v1
	s_mul_i32 s19, s28, 0xc0
	s_mov_b32 s5, 0
	v_addc_co_u32_e32 v5, vcc, 0, v0, vcc
	s_addk_i32 s19, 0xff40
	s_mov_b32 s6, s18
	s_mov_b32 s4, s5
	s_branch .LBB210_37
.LBB210_36:                             ;   in Loop: Header=BB210_37 Depth=1
	s_cmp_lt_i32 s6, 0
	s_cselect_b64 s[8:9], -1, 0
	s_add_i32 s4, s4, 1
	s_cmp_eq_u32 s4, 3
	s_cselect_b64 s[10:11], -1, 0
	s_or_b64 s[8:9], s[8:9], s[10:11]
	s_and_b64 vcc, exec, s[8:9]
	s_cbranch_vccnz .LBB210_54
.LBB210_37:                             ; =>This Loop Header: Depth=1
                                        ;     Child Loop BB210_40 Depth 2
                                        ;       Child Loop BB210_41 Depth 3
                                        ;       Child Loop BB210_43 Depth 3
                                        ;         Child Loop BB210_44 Depth 4
                                        ;       Child Loop BB210_48 Depth 3
                                        ;         Child Loop BB210_50 Depth 4
	s_lshl_b64 s[8:9], s[4:5], 2
	s_getpc_b64 s[10:11]
	s_add_u32 s10, s10, __const._ZL30rocblas_trsm_small_left_deviceILi12ELi12ELb0E19rocblas_complex_numIdES1_PKS1_PS1_Ev13rocblas_fill_18rocblas_operation_17rocblas_diagonal_iiT3_T4_lilT5_lili.step_sizes@rel32@lo+4
	s_addc_u32 s11, s11, __const._ZL30rocblas_trsm_small_left_deviceILi12ELi12ELb0E19rocblas_complex_numIdES1_PKS1_PS1_Ev13rocblas_fill_18rocblas_operation_17rocblas_diagonal_iiT3_T4_lilT5_lili.step_sizes@rel32@hi+12
	s_add_u32 s8, s10, s8
	s_addc_u32 s9, s11, s9
	s_load_dword s20, s[8:9], 0x0
	s_waitcnt lgkmcnt(0)
	s_add_i32 s21, s20, -1
	s_cmp_lt_i32 s6, s21
	s_cbranch_scc1 .LBB210_36
; %bb.38:                               ;   in Loop: Header=BB210_37 Depth=1
	s_lshl_b32 s7, s6, 4
	s_add_i32 s23, s19, s7
	s_lshl_b32 s7, s20, 4
	s_max_i32 s22, s20, 1
	s_sub_i32 s24, 0, s7
	s_mul_i32 s25, s6, 0xd0
	s_mul_i32 s26, s20, 0xffffff30
	s_branch .LBB210_40
.LBB210_39:                             ;   in Loop: Header=BB210_40 Depth=2
	s_sub_i32 s6, s6, s20
	s_add_i32 s23, s23, s24
	s_add_i32 s25, s25, s26
	s_cmp_lt_i32 s6, s21
	s_cbranch_scc1 .LBB210_36
.LBB210_40:                             ;   Parent Loop BB210_37 Depth=1
                                        ; =>  This Loop Header: Depth=2
                                        ;       Child Loop BB210_41 Depth 3
                                        ;       Child Loop BB210_43 Depth 3
                                        ;         Child Loop BB210_44 Depth 4
                                        ;       Child Loop BB210_48 Depth 3
                                        ;         Child Loop BB210_50 Depth 4
	s_ashr_i32 s7, s6, 31
	s_lshl_b64 s[8:9], s[6:7], 4
	v_mov_b32_e32 v1, s9
	v_add_co_u32_e32 v0, vcc, s8, v4
	v_addc_co_u32_e32 v1, vcc, v5, v1, vcc
	s_mov_b32 s8, 0
	s_mov_b32 s9, s22
.LBB210_41:                             ;   Parent Loop BB210_37 Depth=1
                                        ;     Parent Loop BB210_40 Depth=2
                                        ; =>    This Inner Loop Header: Depth=3
	global_load_dwordx4 v[10:13], v[0:1], off offset:-8
	s_add_i32 s9, s9, -1
	v_add_co_u32_e32 v0, vcc, -16, v0
	v_addc_co_u32_e32 v1, vcc, -1, v1, vcc
	s_waitcnt vmcnt(0)
	v_mul_f64 v[2:3], s[14:15], v[12:13]
	v_mul_f64 v[6:7], s[12:13], v[12:13]
	v_mov_b32_e32 v12, s8
	s_add_i32 s8, s8, 16
	s_cmp_eq_u32 s9, 0
	v_fma_f64 v[2:3], s[12:13], v[10:11], -v[2:3]
	v_fma_f64 v[6:7], s[14:15], v[10:11], v[6:7]
	buffer_store_dword v3, v12, s[0:3], 0 offen offset:4
	buffer_store_dword v2, v12, s[0:3], 0 offen
	buffer_store_dword v7, v12, s[0:3], 0 offen offset:12
	buffer_store_dword v6, v12, s[0:3], 0 offen offset:8
	s_cbranch_scc0 .LBB210_41
; %bb.42:                               ;   in Loop: Header=BB210_40 Depth=2
	s_cmp_le_i32 s18, s6
	s_mov_b32 s10, s23
	s_mov_b32 s8, s18
	s_cbranch_scc1 .LBB210_46
.LBB210_43:                             ;   Parent Loop BB210_37 Depth=1
                                        ;     Parent Loop BB210_40 Depth=2
                                        ; =>    This Loop Header: Depth=3
                                        ;         Child Loop BB210_44 Depth 4
	s_ashr_i32 s9, s8, 31
	s_lshl_b64 s[16:17], s[8:9], 4
	v_mov_b32_e32 v1, s17
	v_add_co_u32_e32 v0, vcc, s16, v8
	v_addc_co_u32_e32 v1, vcc, v9, v1, vcc
	global_load_dwordx4 v[0:3], v[0:1], off
	s_mov_b32 s9, 0
	s_mov_b32 s11, s10
	;; [unrolled: 1-line block ×3, first 2 shown]
.LBB210_44:                             ;   Parent Loop BB210_37 Depth=1
                                        ;     Parent Loop BB210_40 Depth=2
                                        ;       Parent Loop BB210_43 Depth=3
                                        ; =>      This Inner Loop Header: Depth=4
	v_mov_b32_e32 v18, s9
	buffer_load_dword v6, v18, s[0:3], 0 offen
	buffer_load_dword v7, v18, s[0:3], 0 offen offset:4
	buffer_load_dword v14, v18, s[0:3], 0 offen offset:8
	;; [unrolled: 1-line block ×3, first 2 shown]
	v_mov_b32_e32 v10, s11
	ds_read_b128 v[10:13], v10
	s_add_i32 s16, s16, -1
	s_add_i32 s11, s11, -16
	s_add_i32 s9, s9, 16
	s_cmp_eq_u32 s16, 0
	s_waitcnt vmcnt(4) lgkmcnt(0)
	v_mul_f64 v[16:17], v[2:3], v[12:13]
	v_mul_f64 v[12:13], v[0:1], v[12:13]
	v_fma_f64 v[16:17], v[0:1], v[10:11], -v[16:17]
	v_fma_f64 v[10:11], v[2:3], v[10:11], v[12:13]
	s_waitcnt vmcnt(2)
	v_add_f64 v[6:7], v[6:7], -v[16:17]
	s_waitcnt vmcnt(0)
	v_add_f64 v[10:11], v[14:15], -v[10:11]
	buffer_store_dword v6, v18, s[0:3], 0 offen
	buffer_store_dword v7, v18, s[0:3], 0 offen offset:4
	buffer_store_dword v10, v18, s[0:3], 0 offen offset:8
	;; [unrolled: 1-line block ×3, first 2 shown]
	s_cbranch_scc0 .LBB210_44
; %bb.45:                               ;   in Loop: Header=BB210_43 Depth=3
	s_add_i32 s8, s8, -1
	s_addk_i32 s10, 0xff40
	s_cmp_le_i32 s8, s6
	s_cbranch_scc0 .LBB210_43
.LBB210_46:                             ;   in Loop: Header=BB210_40 Depth=2
	s_mov_b32 s27, 0
	s_mov_b32 s28, s25
	s_branch .LBB210_48
.LBB210_47:                             ;   in Loop: Header=BB210_48 Depth=3
	s_mulk_i32 s10, 0xd0
	v_mov_b32_e32 v6, s10
	ds_read_b128 v[10:13], v6
	s_lshl_b64 s[8:9], s[8:9], 4
	s_lshl_b32 s10, s27, 4
	s_add_i32 s27, s27, 1
	s_add_i32 s28, s28, -16
	s_waitcnt vmcnt(0) lgkmcnt(0)
	v_mul_f64 v[6:7], v[12:13], v[2:3]
	v_mul_f64 v[2:3], v[10:11], v[2:3]
	v_mov_b32_e32 v14, s10
	s_cmp_eq_u32 s27, s22
	v_fma_f64 v[10:11], v[10:11], v[0:1], -v[6:7]
	v_fma_f64 v[12:13], v[12:13], v[0:1], v[2:3]
	v_mov_b32_e32 v6, s9
	v_add_co_u32_e32 v0, vcc, s8, v8
	v_addc_co_u32_e32 v1, vcc, v9, v6, vcc
	buffer_store_dword v11, v14, s[0:3], 0 offen offset:4
	buffer_store_dword v10, v14, s[0:3], 0 offen
	buffer_store_dword v13, v14, s[0:3], 0 offen offset:12
	buffer_store_dword v12, v14, s[0:3], 0 offen offset:8
	global_store_dwordx4 v[0:1], v[10:13], off
	s_cbranch_scc1 .LBB210_39
.LBB210_48:                             ;   Parent Loop BB210_37 Depth=1
                                        ;     Parent Loop BB210_40 Depth=2
                                        ; =>    This Loop Header: Depth=3
                                        ;         Child Loop BB210_50 Depth 4
	s_cmp_lg_u32 s27, 0
	s_cbranch_scc0 .LBB210_52
; %bb.49:                               ;   in Loop: Header=BB210_48 Depth=3
	s_lshl_b32 s8, s27, 4
	v_mov_b32_e32 v6, s8
	buffer_load_dword v0, v6, s[0:3], 0 offen
	buffer_load_dword v1, v6, s[0:3], 0 offen offset:4
	buffer_load_dword v2, v6, s[0:3], 0 offen offset:8
	;; [unrolled: 1-line block ×3, first 2 shown]
	s_mov_b32 s9, 0
	s_mov_b32 s10, s28
	s_mov_b32 s11, s27
.LBB210_50:                             ;   Parent Loop BB210_37 Depth=1
                                        ;     Parent Loop BB210_40 Depth=2
                                        ;       Parent Loop BB210_48 Depth=3
                                        ; =>      This Inner Loop Header: Depth=4
	v_mov_b32_e32 v10, s9
	buffer_load_dword v6, v10, s[0:3], 0 offen offset:8
	buffer_load_dword v7, v10, s[0:3], 0 offen offset:12
	buffer_load_dword v14, v10, s[0:3], 0 offen
	buffer_load_dword v15, v10, s[0:3], 0 offen offset:4
	v_mov_b32_e32 v10, s10
	ds_read_b128 v[10:13], v10
	s_add_i32 s11, s11, -1
	s_addk_i32 s10, 0xff40
	s_add_i32 s9, s9, 16
	s_cmp_eq_u32 s11, 0
	s_waitcnt vmcnt(2) lgkmcnt(0)
	v_mul_f64 v[16:17], v[12:13], v[6:7]
	v_mul_f64 v[6:7], v[10:11], v[6:7]
	s_waitcnt vmcnt(0)
	v_fma_f64 v[10:11], v[10:11], v[14:15], -v[16:17]
	v_fma_f64 v[6:7], v[12:13], v[14:15], v[6:7]
	v_mov_b32_e32 v12, s8
	v_add_f64 v[0:1], v[0:1], -v[10:11]
	v_add_f64 v[2:3], v[2:3], -v[6:7]
	buffer_store_dword v0, v12, s[0:3], 0 offen
	buffer_store_dword v1, v12, s[0:3], 0 offen offset:4
	buffer_store_dword v2, v12, s[0:3], 0 offen offset:8
	;; [unrolled: 1-line block ×3, first 2 shown]
	s_cbranch_scc0 .LBB210_50
; %bb.51:                               ;   in Loop: Header=BB210_48 Depth=3
	s_sub_i32 s10, s6, s27
	s_ashr_i32 s11, s10, 31
	s_mov_b64 s[8:9], s[10:11]
	s_branch .LBB210_47
.LBB210_52:                             ;   in Loop: Header=BB210_48 Depth=3
                                        ; implicit-def: $vgpr0_vgpr1
                                        ; implicit-def: $vgpr2_vgpr3
                                        ; implicit-def: $sgpr10
                                        ; implicit-def: $sgpr8_sgpr9
	s_cbranch_execz .LBB210_47
; %bb.53:                               ;   in Loop: Header=BB210_48 Depth=3
	buffer_load_dword v0, off, s[0:3], 0
	buffer_load_dword v1, off, s[0:3], 0 offset:4
	buffer_load_dword v2, off, s[0:3], 0 offset:8
	;; [unrolled: 1-line block ×3, first 2 shown]
	s_mov_b64 s[8:9], s[6:7]
	s_mov_b32 s10, s6
	s_branch .LBB210_47
.LBB210_54:
	s_endpgm
	.section	.rodata,"a",@progbits
	.p2align	6, 0x0
	.amdhsa_kernel _ZL30rocblas_trsm_small_left_deviceILi12ELi12ELb0E19rocblas_complex_numIdES1_PKS1_PS1_Ev13rocblas_fill_18rocblas_operation_17rocblas_diagonal_iiT3_T4_lilT5_lili
		.amdhsa_group_segment_fixed_size 2304
		.amdhsa_private_segment_fixed_size 208
		.amdhsa_kernarg_size 368
		.amdhsa_user_sgpr_count 6
		.amdhsa_user_sgpr_private_segment_buffer 1
		.amdhsa_user_sgpr_dispatch_ptr 0
		.amdhsa_user_sgpr_queue_ptr 0
		.amdhsa_user_sgpr_kernarg_segment_ptr 1
		.amdhsa_user_sgpr_dispatch_id 0
		.amdhsa_user_sgpr_flat_scratch_init 0
		.amdhsa_user_sgpr_private_segment_size 0
		.amdhsa_uses_dynamic_stack 0
		.amdhsa_system_sgpr_private_segment_wavefront_offset 1
		.amdhsa_system_sgpr_workgroup_id_x 1
		.amdhsa_system_sgpr_workgroup_id_y 0
		.amdhsa_system_sgpr_workgroup_id_z 1
		.amdhsa_system_sgpr_workgroup_info 0
		.amdhsa_system_vgpr_workitem_id 0
		.amdhsa_next_free_vgpr 33
		.amdhsa_next_free_sgpr 77
		.amdhsa_reserve_vcc 1
		.amdhsa_reserve_flat_scratch 0
		.amdhsa_float_round_mode_32 0
		.amdhsa_float_round_mode_16_64 0
		.amdhsa_float_denorm_mode_32 3
		.amdhsa_float_denorm_mode_16_64 3
		.amdhsa_dx10_clamp 1
		.amdhsa_ieee_mode 1
		.amdhsa_fp16_overflow 0
		.amdhsa_exception_fp_ieee_invalid_op 0
		.amdhsa_exception_fp_denorm_src 0
		.amdhsa_exception_fp_ieee_div_zero 0
		.amdhsa_exception_fp_ieee_overflow 0
		.amdhsa_exception_fp_ieee_underflow 0
		.amdhsa_exception_fp_ieee_inexact 0
		.amdhsa_exception_int_div_zero 0
	.end_amdhsa_kernel
	.section	.text._ZL30rocblas_trsm_small_left_deviceILi12ELi12ELb0E19rocblas_complex_numIdES1_PKS1_PS1_Ev13rocblas_fill_18rocblas_operation_17rocblas_diagonal_iiT3_T4_lilT5_lili,"axG",@progbits,_ZL30rocblas_trsm_small_left_deviceILi12ELi12ELb0E19rocblas_complex_numIdES1_PKS1_PS1_Ev13rocblas_fill_18rocblas_operation_17rocblas_diagonal_iiT3_T4_lilT5_lili,comdat
.Lfunc_end210:
	.size	_ZL30rocblas_trsm_small_left_deviceILi12ELi12ELb0E19rocblas_complex_numIdES1_PKS1_PS1_Ev13rocblas_fill_18rocblas_operation_17rocblas_diagonal_iiT3_T4_lilT5_lili, .Lfunc_end210-_ZL30rocblas_trsm_small_left_deviceILi12ELi12ELb0E19rocblas_complex_numIdES1_PKS1_PS1_Ev13rocblas_fill_18rocblas_operation_17rocblas_diagonal_iiT3_T4_lilT5_lili
                                        ; -- End function
	.set _ZL30rocblas_trsm_small_left_deviceILi12ELi12ELb0E19rocblas_complex_numIdES1_PKS1_PS1_Ev13rocblas_fill_18rocblas_operation_17rocblas_diagonal_iiT3_T4_lilT5_lili.num_vgpr, 23
	.set _ZL30rocblas_trsm_small_left_deviceILi12ELi12ELb0E19rocblas_complex_numIdES1_PKS1_PS1_Ev13rocblas_fill_18rocblas_operation_17rocblas_diagonal_iiT3_T4_lilT5_lili.num_agpr, 0
	.set _ZL30rocblas_trsm_small_left_deviceILi12ELi12ELb0E19rocblas_complex_numIdES1_PKS1_PS1_Ev13rocblas_fill_18rocblas_operation_17rocblas_diagonal_iiT3_T4_lilT5_lili.numbered_sgpr, 35
	.set _ZL30rocblas_trsm_small_left_deviceILi12ELi12ELb0E19rocblas_complex_numIdES1_PKS1_PS1_Ev13rocblas_fill_18rocblas_operation_17rocblas_diagonal_iiT3_T4_lilT5_lili.num_named_barrier, 0
	.set _ZL30rocblas_trsm_small_left_deviceILi12ELi12ELb0E19rocblas_complex_numIdES1_PKS1_PS1_Ev13rocblas_fill_18rocblas_operation_17rocblas_diagonal_iiT3_T4_lilT5_lili.private_seg_size, 208
	.set _ZL30rocblas_trsm_small_left_deviceILi12ELi12ELb0E19rocblas_complex_numIdES1_PKS1_PS1_Ev13rocblas_fill_18rocblas_operation_17rocblas_diagonal_iiT3_T4_lilT5_lili.uses_vcc, 1
	.set _ZL30rocblas_trsm_small_left_deviceILi12ELi12ELb0E19rocblas_complex_numIdES1_PKS1_PS1_Ev13rocblas_fill_18rocblas_operation_17rocblas_diagonal_iiT3_T4_lilT5_lili.uses_flat_scratch, 0
	.set _ZL30rocblas_trsm_small_left_deviceILi12ELi12ELb0E19rocblas_complex_numIdES1_PKS1_PS1_Ev13rocblas_fill_18rocblas_operation_17rocblas_diagonal_iiT3_T4_lilT5_lili.has_dyn_sized_stack, 0
	.set _ZL30rocblas_trsm_small_left_deviceILi12ELi12ELb0E19rocblas_complex_numIdES1_PKS1_PS1_Ev13rocblas_fill_18rocblas_operation_17rocblas_diagonal_iiT3_T4_lilT5_lili.has_recursion, 0
	.set _ZL30rocblas_trsm_small_left_deviceILi12ELi12ELb0E19rocblas_complex_numIdES1_PKS1_PS1_Ev13rocblas_fill_18rocblas_operation_17rocblas_diagonal_iiT3_T4_lilT5_lili.has_indirect_call, 0
	.section	.AMDGPU.csdata,"",@progbits
; Kernel info:
; codeLenInByte = 2964
; TotalNumSgprs: 39
; NumVgprs: 23
; ScratchSize: 208
; MemoryBound: 0
; FloatMode: 240
; IeeeMode: 1
; LDSByteSize: 2304 bytes/workgroup (compile time only)
; SGPRBlocks: 10
; VGPRBlocks: 8
; NumSGPRsForWavesPerEU: 81
; NumVGPRsForWavesPerEU: 33
; Occupancy: 7
; WaveLimiterHint : 0
; COMPUTE_PGM_RSRC2:SCRATCH_EN: 1
; COMPUTE_PGM_RSRC2:USER_SGPR: 6
; COMPUTE_PGM_RSRC2:TRAP_HANDLER: 0
; COMPUTE_PGM_RSRC2:TGID_X_EN: 1
; COMPUTE_PGM_RSRC2:TGID_Y_EN: 0
; COMPUTE_PGM_RSRC2:TGID_Z_EN: 1
; COMPUTE_PGM_RSRC2:TIDIG_COMP_CNT: 0
	.section	.text._ZL38rocblas_trsm_small_left_device_sharedBILi12ELi12ELb1E19rocblas_complex_numIdES1_PKS1_PS1_Ev13rocblas_fill_18rocblas_operation_17rocblas_diagonal_iiT3_T4_lilT5_lili,"axG",@progbits,_ZL38rocblas_trsm_small_left_device_sharedBILi12ELi12ELb1E19rocblas_complex_numIdES1_PKS1_PS1_Ev13rocblas_fill_18rocblas_operation_17rocblas_diagonal_iiT3_T4_lilT5_lili,comdat
	.globl	_ZL38rocblas_trsm_small_left_device_sharedBILi12ELi12ELb1E19rocblas_complex_numIdES1_PKS1_PS1_Ev13rocblas_fill_18rocblas_operation_17rocblas_diagonal_iiT3_T4_lilT5_lili ; -- Begin function _ZL38rocblas_trsm_small_left_device_sharedBILi12ELi12ELb1E19rocblas_complex_numIdES1_PKS1_PS1_Ev13rocblas_fill_18rocblas_operation_17rocblas_diagonal_iiT3_T4_lilT5_lili
	.p2align	8
	.type	_ZL38rocblas_trsm_small_left_device_sharedBILi12ELi12ELb1E19rocblas_complex_numIdES1_PKS1_PS1_Ev13rocblas_fill_18rocblas_operation_17rocblas_diagonal_iiT3_T4_lilT5_lili,@function
_ZL38rocblas_trsm_small_left_device_sharedBILi12ELi12ELb1E19rocblas_complex_numIdES1_PKS1_PS1_Ev13rocblas_fill_18rocblas_operation_17rocblas_diagonal_iiT3_T4_lilT5_lili: ; @_ZL38rocblas_trsm_small_left_device_sharedBILi12ELi12ELb1E19rocblas_complex_numIdES1_PKS1_PS1_Ev13rocblas_fill_18rocblas_operation_17rocblas_diagonal_iiT3_T4_lilT5_lili
; %bb.0:
	s_add_u32 s0, s0, s8
	s_load_dwordx4 s[20:23], s[4:5], 0x4
	s_load_dwordx8 s[12:19], s[4:5], 0x18
	s_load_dwordx4 s[8:11], s[4:5], 0x40
	s_load_dwordx2 s[24:25], s[4:5], 0x50
	s_load_dword s29, s[4:5], 0x70
	s_addc_u32 s1, s1, 0
	s_waitcnt lgkmcnt(0)
	s_min_i32 s28, s22, 12
	v_cmp_gt_i32_e32 vcc, s28, v0
	s_and_saveexec_b64 s[26:27], vcc
	s_cbranch_execz .LBB211_11
; %bb.1:
	s_load_dword s30, s[4:5], 0x38
	s_mul_i32 s9, s9, s7
	s_mul_hi_u32 s33, s8, s7
	s_mul_i32 s8, s8, s7
	v_lshlrev_b32_e32 v3, 4, v0
	s_waitcnt lgkmcnt(0)
	s_ashr_i32 s31, s30, 31
	s_cmpk_eq_i32 s20, 0x71
	s_cselect_b64 vcc, -1, 0
	s_add_i32 s9, s33, s9
	s_lshl_b64 s[8:9], s[8:9], 4
	s_lshl_b64 s[18:19], s[18:19], 4
	s_add_u32 s8, s8, s18
	s_addc_u32 s9, s9, s19
	s_add_u32 s8, s16, s8
	s_addc_u32 s9, s17, s9
	v_mov_b32_e32 v1, s9
	v_add_co_u32_e64 v2, s[8:9], s8, v3
	v_addc_co_u32_e64 v4, s[8:9], 0, v1, s[8:9]
	v_add_co_u32_e64 v1, s[8:9], 8, v2
	s_lshl_b64 s[16:17], s[30:31], 4
	v_addc_co_u32_e64 v2, s[8:9], 0, v4, s[8:9]
	v_mov_b32_e32 v4, s17
	v_mov_b32_e32 v5, v3
	s_mov_b32 s17, s28
.LBB211_2:                              ; =>This Inner Loop Header: Depth=1
	global_load_dwordx4 v[6:9], v[1:2], off offset:-8
	s_add_i32 s17, s17, -1
	v_add_co_u32_e64 v1, s[8:9], s16, v1
	v_addc_co_u32_e64 v2, s[8:9], v2, v4, s[8:9]
	s_cmp_eq_u32 s17, 0
	s_waitcnt vmcnt(0)
	v_xor_b32_e32 v10, 0x80000000, v9
	v_cndmask_b32_e32 v9, v9, v10, vcc
	ds_write_b128 v5, v[6:9]
	v_add_u32_e32 v5, 0xc0, v5
	s_cbranch_scc0 .LBB211_2
; %bb.3:
	v_mul_u32_u24_e32 v1, 0xc0, v0
	s_cmpk_lg_i32 s21, 0x84
	v_add_u32_e32 v9, v3, v1
	s_cbranch_scc0 .LBB211_9
; %bb.4:
	ds_read_b128 v[1:4], v9
                                        ; implicit-def: $vgpr7_vgpr8
	s_waitcnt lgkmcnt(0)
	v_cmp_ngt_f64_e64 s[8:9], |v[1:2]|, |v[3:4]|
	s_and_saveexec_b64 s[16:17], s[8:9]
	s_xor_b64 s[8:9], exec, s[16:17]
	s_cbranch_execz .LBB211_6
; %bb.5:
	v_div_scale_f64 v[5:6], s[16:17], v[3:4], v[3:4], v[1:2]
	v_rcp_f64_e32 v[7:8], v[5:6]
	v_fma_f64 v[10:11], -v[5:6], v[7:8], 1.0
	v_fma_f64 v[7:8], v[7:8], v[10:11], v[7:8]
	v_div_scale_f64 v[10:11], vcc, v[1:2], v[3:4], v[1:2]
	v_fma_f64 v[12:13], -v[5:6], v[7:8], 1.0
	v_fma_f64 v[7:8], v[7:8], v[12:13], v[7:8]
	v_mul_f64 v[12:13], v[10:11], v[7:8]
	v_fma_f64 v[5:6], -v[5:6], v[12:13], v[10:11]
	v_div_fmas_f64 v[5:6], v[5:6], v[7:8], v[12:13]
	v_div_fixup_f64 v[5:6], v[5:6], v[3:4], v[1:2]
	v_fma_f64 v[1:2], v[1:2], v[5:6], v[3:4]
	v_div_scale_f64 v[3:4], s[16:17], v[1:2], v[1:2], 1.0
	v_rcp_f64_e32 v[7:8], v[3:4]
	v_fma_f64 v[10:11], -v[3:4], v[7:8], 1.0
	v_fma_f64 v[7:8], v[7:8], v[10:11], v[7:8]
	v_div_scale_f64 v[10:11], vcc, 1.0, v[1:2], 1.0
	v_fma_f64 v[12:13], -v[3:4], v[7:8], 1.0
	v_fma_f64 v[7:8], v[7:8], v[12:13], v[7:8]
	v_mul_f64 v[12:13], v[10:11], v[7:8]
	v_fma_f64 v[3:4], -v[3:4], v[12:13], v[10:11]
	v_div_fmas_f64 v[3:4], v[3:4], v[7:8], v[12:13]
	v_add_f64 v[7:8], v[5:6], 0
	v_div_fixup_f64 v[1:2], v[3:4], v[1:2], 1.0
	v_fma_f64 v[3:4], v[5:6], 0, -1.0
	v_mul_f64 v[5:6], v[7:8], v[1:2]
	v_mul_f64 v[7:8], v[3:4], v[1:2]
                                        ; implicit-def: $vgpr1_vgpr2
.LBB211_6:
	s_andn2_saveexec_b64 s[8:9], s[8:9]
	s_cbranch_execz .LBB211_8
; %bb.7:
	v_div_scale_f64 v[5:6], s[16:17], v[1:2], v[1:2], v[3:4]
	v_rcp_f64_e32 v[7:8], v[5:6]
	v_fma_f64 v[10:11], -v[5:6], v[7:8], 1.0
	v_fma_f64 v[7:8], v[7:8], v[10:11], v[7:8]
	v_div_scale_f64 v[10:11], vcc, v[3:4], v[1:2], v[3:4]
	v_fma_f64 v[12:13], -v[5:6], v[7:8], 1.0
	v_fma_f64 v[7:8], v[7:8], v[12:13], v[7:8]
	v_mul_f64 v[12:13], v[10:11], v[7:8]
	v_fma_f64 v[5:6], -v[5:6], v[12:13], v[10:11]
	v_div_fmas_f64 v[5:6], v[5:6], v[7:8], v[12:13]
	v_div_fixup_f64 v[5:6], v[5:6], v[1:2], v[3:4]
	v_fma_f64 v[1:2], v[3:4], v[5:6], v[1:2]
	v_div_scale_f64 v[3:4], s[16:17], v[1:2], v[1:2], 1.0
	v_rcp_f64_e32 v[7:8], v[3:4]
	v_fma_f64 v[10:11], -v[3:4], v[7:8], 1.0
	v_fma_f64 v[7:8], v[7:8], v[10:11], v[7:8]
	v_div_scale_f64 v[10:11], vcc, 1.0, v[1:2], 1.0
	v_fma_f64 v[12:13], -v[3:4], v[7:8], 1.0
	v_fma_f64 v[7:8], v[7:8], v[12:13], v[7:8]
	v_mul_f64 v[12:13], v[10:11], v[7:8]
	v_fma_f64 v[3:4], -v[3:4], v[12:13], v[10:11]
	v_div_fmas_f64 v[3:4], v[3:4], v[7:8], v[12:13]
	v_fma_f64 v[7:8], v[5:6], 0, 1.0
	v_div_fixup_f64 v[1:2], v[3:4], v[1:2], 1.0
	v_add_f64 v[3:4], -v[5:6], 0
	v_mul_f64 v[5:6], v[7:8], v[1:2]
	v_mul_f64 v[7:8], v[3:4], v[1:2]
.LBB211_8:
	s_or_b64 exec, exec, s[8:9]
	s_branch .LBB211_10
.LBB211_9:
	v_mov_b32_e32 v7, 0
	v_mov_b32_e32 v5, 0
	;; [unrolled: 1-line block ×4, first 2 shown]
.LBB211_10:
	ds_write_b128 v9, v[5:8]
.LBB211_11:
	s_or_b64 exec, exec, s[26:27]
	s_load_dword s21, s[4:5], 0x58
	s_load_dwordx2 s[8:9], s[4:5], 0x60
	s_add_i32 s29, s29, -1
	s_waitcnt lgkmcnt(0)
	s_ashr_i32 s26, s21, 31
	s_mul_i32 s4, s9, s7
	s_mul_hi_u32 s5, s8, s7
	s_add_i32 s9, s5, s4
	s_mul_i32 s4, s6, -12
	s_add_i32 s4, s23, s4
	s_cmp_ge_u32 s6, s29
	s_mul_i32 s6, s6, 12
	s_mul_i32 s8, s8, s7
	s_cselect_b32 s4, s4, 12
	s_ashr_i32 s7, s6, 31
	s_cmp_gt_i32 s22, 0
	v_cmp_gt_i32_e64 s[4:5], s4, v0
	s_cselect_b64 s[16:17], -1, 0
	s_and_b64 s[22:23], s[4:5], s[16:17]
	s_and_saveexec_b64 s[18:19], s[22:23]
	s_cbranch_execz .LBB211_14
; %bb.12:
	v_lshlrev_b32_e32 v3, 4, v0
	s_lshl_b64 s[30:31], s[6:7], 4
	s_lshl_b64 s[22:23], s[8:9], 4
	v_mov_b32_e32 v1, s31
	v_add_co_u32_e32 v4, vcc, s30, v3
	s_lshl_b64 s[30:31], s[24:25], 4
	s_add_u32 s7, s10, s30
	s_addc_u32 s27, s11, s31
	s_add_u32 s22, s7, s22
	v_addc_co_u32_e32 v5, vcc, 0, v1, vcc
	s_addc_u32 s23, s27, s23
	v_mov_b32_e32 v1, s22
	v_mov_b32_e32 v2, s23
	v_mad_u64_u32 v[1:2], s[22:23], v4, s21, v[1:2]
	v_mul_lo_u32 v4, v4, s26
	v_mul_lo_u32 v5, v5, s21
	v_add_co_u32_e32 v1, vcc, 8, v1
	v_or_b32_e32 v3, 0x900, v3
	v_add3_u32 v2, v5, v2, v4
	v_addc_co_u32_e32 v2, vcc, 0, v2, vcc
	s_mov_b32 s7, s28
.LBB211_13:                             ; =>This Inner Loop Header: Depth=1
	global_load_dwordx4 v[4:7], v[1:2], off offset:-8
	s_add_i32 s7, s7, -1
	v_add_co_u32_e32 v1, vcc, 16, v1
	v_addc_co_u32_e32 v2, vcc, 0, v2, vcc
	s_cmp_lg_u32 s7, 0
	s_waitcnt vmcnt(0)
	v_mul_f64 v[8:9], s[14:15], v[6:7]
	v_mul_f64 v[10:11], s[12:13], v[6:7]
	v_fma_f64 v[6:7], s[12:13], v[4:5], -v[8:9]
	v_fma_f64 v[8:9], s[14:15], v[4:5], v[10:11]
	ds_write_b128 v3, v[6:9]
	v_add_u32_e32 v3, 0xc0, v3
	s_cbranch_scc1 .LBB211_13
.LBB211_14:
	s_or_b64 exec, exec, s[18:19]
	v_mov_b32_e32 v1, 0x900
	s_cmpk_eq_i32 s20, 0x6f
	v_lshl_or_b32 v5, v0, 4, v1
	s_mov_b64 s[12:13], -1
	s_waitcnt lgkmcnt(0)
	; wave barrier
	s_cbranch_scc1 .LBB211_35
; %bb.15:
	s_add_i32 s7, s28, -1
	s_lshl_b32 s18, s28, 4
	s_mov_b32 s13, 0
	s_add_i32 s18, s18, -16
	s_mov_b32 s12, s13
	s_mov_b32 s19, s7
	s_branch .LBB211_17
.LBB211_16:                             ;   in Loop: Header=BB211_17 Depth=1
	s_cmp_lt_i32 s19, 0
	s_cselect_b64 s[14:15], -1, 0
	s_add_i32 s12, s12, 1
	s_cmp_eq_u32 s12, 3
	s_cselect_b64 s[22:23], -1, 0
	s_or_b64 s[14:15], s[14:15], s[22:23]
	s_andn2_b64 vcc, exec, s[14:15]
	s_cbranch_vccz .LBB211_34
.LBB211_17:                             ; =>This Loop Header: Depth=1
                                        ;     Child Loop BB211_20 Depth 2
                                        ;       Child Loop BB211_21 Depth 3
                                        ;       Child Loop BB211_23 Depth 3
                                        ;         Child Loop BB211_24 Depth 4
                                        ;       Child Loop BB211_28 Depth 3
                                        ;         Child Loop BB211_30 Depth 4
	s_lshl_b64 s[14:15], s[12:13], 2
	s_getpc_b64 s[22:23]
	s_add_u32 s22, s22, __const._ZL38rocblas_trsm_small_left_device_sharedBILi12ELi12ELb1E19rocblas_complex_numIdES1_PKS1_PS1_Ev13rocblas_fill_18rocblas_operation_17rocblas_diagonal_iiT3_T4_lilT5_lili.step_sizes@rel32@lo+4
	s_addc_u32 s23, s23, __const._ZL38rocblas_trsm_small_left_device_sharedBILi12ELi12ELb1E19rocblas_complex_numIdES1_PKS1_PS1_Ev13rocblas_fill_18rocblas_operation_17rocblas_diagonal_iiT3_T4_lilT5_lili.step_sizes@rel32@hi+12
	s_add_u32 s14, s22, s14
	s_addc_u32 s15, s23, s15
	s_load_dword s20, s[14:15], 0x0
	s_waitcnt lgkmcnt(0)
	s_add_i32 s22, s20, -1
	s_cmp_lt_i32 s19, s22
	s_cbranch_scc1 .LBB211_16
; %bb.18:                               ;   in Loop: Header=BB211_17 Depth=1
	s_mul_i32 s14, s19, 0xc0
	s_max_i32 s23, s20, 1
	v_add_u32_e32 v6, s14, v5
	s_mul_i32 s26, s20, 0xffffff40
	s_add_i32 s27, s18, s14
	s_mul_i32 s29, s19, 0xd0
	s_mul_i32 s30, s20, 0xffffff30
	s_branch .LBB211_20
.LBB211_19:                             ;   in Loop: Header=BB211_20 Depth=2
	s_sub_i32 s19, s19, s20
	s_add_i32 s27, s27, s26
	s_add_i32 s29, s29, s30
	s_cmp_lt_i32 s19, s22
	v_add_u32_e32 v6, s26, v6
	s_cbranch_scc1 .LBB211_16
.LBB211_20:                             ;   Parent Loop BB211_17 Depth=1
                                        ; =>  This Loop Header: Depth=2
                                        ;       Child Loop BB211_21 Depth 3
                                        ;       Child Loop BB211_23 Depth 3
                                        ;         Child Loop BB211_24 Depth 4
                                        ;       Child Loop BB211_28 Depth 3
                                        ;         Child Loop BB211_30 Depth 4
	s_mov_b32 s14, 0
	v_mov_b32_e32 v1, v6
	s_mov_b32 s15, s23
.LBB211_21:                             ;   Parent Loop BB211_17 Depth=1
                                        ;     Parent Loop BB211_20 Depth=2
                                        ; =>    This Inner Loop Header: Depth=3
	ds_read_b128 v[7:10], v1
	v_mov_b32_e32 v2, s14
	s_add_i32 s15, s15, -1
	s_add_i32 s14, s14, 16
	v_add_u32_e32 v1, 0xffffff40, v1
	s_cmp_eq_u32 s15, 0
	s_waitcnt lgkmcnt(0)
	buffer_store_dword v10, v2, s[0:3], 0 offen offset:12
	buffer_store_dword v9, v2, s[0:3], 0 offen offset:8
	;; [unrolled: 1-line block ×3, first 2 shown]
	buffer_store_dword v7, v2, s[0:3], 0 offen
	s_cbranch_scc0 .LBB211_21
; %bb.22:                               ;   in Loop: Header=BB211_20 Depth=2
	s_cmp_le_i32 s7, s19
	s_mov_b32 s14, s27
	s_mov_b32 s15, s7
	s_cbranch_scc1 .LBB211_26
.LBB211_23:                             ;   Parent Loop BB211_17 Depth=1
                                        ;     Parent Loop BB211_20 Depth=2
                                        ; =>    This Loop Header: Depth=3
                                        ;         Child Loop BB211_24 Depth 4
	s_mul_i32 s31, s15, 0xc0
	v_add_u32_e32 v1, s31, v5
	ds_read_b128 v[1:4], v1
	s_mov_b32 s31, 0
	s_mov_b32 s33, s14
	;; [unrolled: 1-line block ×3, first 2 shown]
.LBB211_24:                             ;   Parent Loop BB211_17 Depth=1
                                        ;     Parent Loop BB211_20 Depth=2
                                        ;       Parent Loop BB211_23 Depth=3
                                        ; =>      This Inner Loop Header: Depth=4
	v_mov_b32_e32 v17, s31
	buffer_load_dword v11, v17, s[0:3], 0 offen
	buffer_load_dword v12, v17, s[0:3], 0 offen offset:4
	buffer_load_dword v13, v17, s[0:3], 0 offen offset:8
	;; [unrolled: 1-line block ×3, first 2 shown]
	v_mov_b32_e32 v7, s33
	ds_read_b128 v[7:10], v7
	s_add_i32 s34, s34, -1
	s_addk_i32 s33, 0xff40
	s_add_i32 s31, s31, 16
	s_cmp_eq_u32 s34, 0
	s_waitcnt lgkmcnt(0)
	v_mul_f64 v[15:16], v[3:4], v[9:10]
	v_mul_f64 v[9:10], v[1:2], v[9:10]
	v_fma_f64 v[15:16], v[1:2], v[7:8], -v[15:16]
	v_fma_f64 v[7:8], v[3:4], v[7:8], v[9:10]
	s_waitcnt vmcnt(2)
	v_add_f64 v[9:10], v[11:12], -v[15:16]
	s_waitcnt vmcnt(0)
	v_add_f64 v[7:8], v[13:14], -v[7:8]
	buffer_store_dword v9, v17, s[0:3], 0 offen
	buffer_store_dword v10, v17, s[0:3], 0 offen offset:4
	buffer_store_dword v7, v17, s[0:3], 0 offen offset:8
	;; [unrolled: 1-line block ×3, first 2 shown]
	s_cbranch_scc0 .LBB211_24
; %bb.25:                               ;   in Loop: Header=BB211_23 Depth=3
	s_add_i32 s15, s15, -1
	s_add_i32 s14, s14, -16
	s_cmp_le_i32 s15, s19
	s_cbranch_scc0 .LBB211_23
.LBB211_26:                             ;   in Loop: Header=BB211_20 Depth=2
	s_mul_i32 s31, s19, 0xc0
	s_mov_b32 s33, 0
	s_mov_b32 s34, s29
	s_branch .LBB211_28
.LBB211_27:                             ;   in Loop: Header=BB211_28 Depth=3
	s_mul_i32 s14, s36, 0xd0
	v_mov_b32_e32 v7, s14
	ds_read_b128 v[7:10], v7
	s_lshl_b32 s14, s33, 4
	s_add_i32 s33, s33, 1
	s_addk_i32 s34, 0xff40
	s_cmp_eq_u32 s33, s23
	s_waitcnt vmcnt(0) lgkmcnt(0)
	v_mul_f64 v[11:12], v[9:10], v[3:4]
	v_mul_f64 v[3:4], v[7:8], v[3:4]
	v_fma_f64 v[7:8], v[7:8], v[1:2], -v[11:12]
	v_fma_f64 v[9:10], v[9:10], v[1:2], v[3:4]
	v_add_u32_e32 v1, s35, v5
	v_mov_b32_e32 v2, s14
	buffer_store_dword v8, v2, s[0:3], 0 offen offset:4
	buffer_store_dword v7, v2, s[0:3], 0 offen
	buffer_store_dword v10, v2, s[0:3], 0 offen offset:12
	buffer_store_dword v9, v2, s[0:3], 0 offen offset:8
	ds_write_b128 v1, v[7:10]
	s_cbranch_scc1 .LBB211_19
.LBB211_28:                             ;   Parent Loop BB211_17 Depth=1
                                        ;     Parent Loop BB211_20 Depth=2
                                        ; =>    This Loop Header: Depth=3
                                        ;         Child Loop BB211_30 Depth 4
	s_cmp_lg_u32 s33, 0
	s_cbranch_scc0 .LBB211_32
; %bb.29:                               ;   in Loop: Header=BB211_28 Depth=3
	s_lshl_b32 s14, s33, 4
	v_mov_b32_e32 v7, s14
	buffer_load_dword v1, v7, s[0:3], 0 offen
	buffer_load_dword v2, v7, s[0:3], 0 offen offset:4
	buffer_load_dword v3, v7, s[0:3], 0 offen offset:8
	;; [unrolled: 1-line block ×3, first 2 shown]
	s_sub_i32 s36, s19, s33
	s_mul_i32 s35, s36, 0xc0
	s_mov_b32 s14, 0
	s_mov_b32 s15, s34
	;; [unrolled: 1-line block ×3, first 2 shown]
.LBB211_30:                             ;   Parent Loop BB211_17 Depth=1
                                        ;     Parent Loop BB211_20 Depth=2
                                        ;       Parent Loop BB211_28 Depth=3
                                        ; =>      This Inner Loop Header: Depth=4
	v_mov_b32_e32 v8, s14
	buffer_load_dword v12, v8, s[0:3], 0 offen offset:8
	buffer_load_dword v13, v8, s[0:3], 0 offen offset:12
	buffer_load_dword v14, v8, s[0:3], 0 offen
	buffer_load_dword v15, v8, s[0:3], 0 offen offset:4
	v_mov_b32_e32 v8, s15
	ds_read_b128 v[8:11], v8
	s_add_i32 s37, s37, -1
	s_add_i32 s15, s15, -16
	s_add_i32 s14, s14, 16
	s_cmp_eq_u32 s37, 0
	s_waitcnt vmcnt(2) lgkmcnt(0)
	v_mul_f64 v[16:17], v[10:11], v[12:13]
	v_mul_f64 v[12:13], v[8:9], v[12:13]
	s_waitcnt vmcnt(0)
	v_fma_f64 v[8:9], v[8:9], v[14:15], -v[16:17]
	v_fma_f64 v[10:11], v[10:11], v[14:15], v[12:13]
	v_add_f64 v[1:2], v[1:2], -v[8:9]
	v_add_f64 v[3:4], v[3:4], -v[10:11]
	buffer_store_dword v1, v7, s[0:3], 0 offen
	buffer_store_dword v2, v7, s[0:3], 0 offen offset:4
	buffer_store_dword v3, v7, s[0:3], 0 offen offset:8
	;; [unrolled: 1-line block ×3, first 2 shown]
	s_cbranch_scc0 .LBB211_30
; %bb.31:                               ;   in Loop: Header=BB211_28 Depth=3
	s_branch .LBB211_27
.LBB211_32:                             ;   in Loop: Header=BB211_28 Depth=3
                                        ; implicit-def: $vgpr1_vgpr2
                                        ; implicit-def: $vgpr3_vgpr4
                                        ; implicit-def: $sgpr36
                                        ; implicit-def: $sgpr35
	s_cbranch_execz .LBB211_27
; %bb.33:                               ;   in Loop: Header=BB211_28 Depth=3
	buffer_load_dword v1, off, s[0:3], 0
	buffer_load_dword v2, off, s[0:3], 0 offset:4
	buffer_load_dword v3, off, s[0:3], 0 offset:8
	;; [unrolled: 1-line block ×3, first 2 shown]
	s_mov_b32 s35, s31
	s_mov_b32 s36, s19
	s_branch .LBB211_27
.LBB211_34:
	s_mov_b64 s[12:13], 0
.LBB211_35:
	s_and_b64 vcc, exec, s[12:13]
	s_cbranch_vccz .LBB211_56
; %bb.36:
	v_mov_b32_e32 v1, 0x900
	s_mov_b32 s13, 0
	v_lshl_or_b32 v6, v0, 4, v1
	s_mov_b32 s12, s13
	s_mov_b32 s7, s13
	s_branch .LBB211_38
.LBB211_37:                             ;   in Loop: Header=BB211_38 Depth=1
	s_cmp_ge_i32 s7, s28
	s_cselect_b64 s[14:15], -1, 0
	s_add_i32 s12, s12, 1
	s_cmp_eq_u32 s12, 3
	s_cselect_b64 s[18:19], -1, 0
	s_or_b64 s[14:15], s[14:15], s[18:19]
	s_and_b64 vcc, exec, s[14:15]
	s_cbranch_vccnz .LBB211_56
.LBB211_38:                             ; =>This Loop Header: Depth=1
                                        ;     Child Loop BB211_41 Depth 2
                                        ;       Child Loop BB211_42 Depth 3
                                        ;       Child Loop BB211_45 Depth 3
                                        ;         Child Loop BB211_46 Depth 4
                                        ;       Child Loop BB211_50 Depth 3
                                        ;         Child Loop BB211_52 Depth 4
	s_lshl_b64 s[14:15], s[12:13], 2
	s_getpc_b64 s[18:19]
	s_add_u32 s18, s18, __const._ZL38rocblas_trsm_small_left_device_sharedBILi12ELi12ELb1E19rocblas_complex_numIdES1_PKS1_PS1_Ev13rocblas_fill_18rocblas_operation_17rocblas_diagonal_iiT3_T4_lilT5_lili.step_sizes@rel32@lo+4
	s_addc_u32 s19, s19, __const._ZL38rocblas_trsm_small_left_device_sharedBILi12ELi12ELb1E19rocblas_complex_numIdES1_PKS1_PS1_Ev13rocblas_fill_18rocblas_operation_17rocblas_diagonal_iiT3_T4_lilT5_lili.step_sizes@rel32@hi+12
	s_add_u32 s14, s18, s14
	s_addc_u32 s15, s19, s15
	s_load_dword s18, s[14:15], 0x0
	s_waitcnt lgkmcnt(0)
	s_add_i32 s19, s18, -1
	s_add_i32 s14, s19, s7
	s_cmp_ge_i32 s14, s28
	s_cbranch_scc1 .LBB211_37
; %bb.39:                               ;   in Loop: Header=BB211_38 Depth=1
	s_mul_i32 s14, s7, 0xc0
	s_max_i32 s20, s18, 1
	v_add_u32_e32 v7, s14, v6
	s_mul_i32 s22, s18, 0xc0
	s_lshl_b32 s23, s7, 4
	s_lshl_b32 s26, s18, 4
	s_mul_i32 s27, s7, 0xd0
	s_mul_i32 s29, s18, 0xd0
	s_branch .LBB211_41
.LBB211_40:                             ;   in Loop: Header=BB211_41 Depth=2
	s_add_i32 s7, s7, s18
	s_add_i32 s14, s19, s7
	;; [unrolled: 1-line block ×4, first 2 shown]
	s_cmp_ge_i32 s14, s28
	v_add_u32_e32 v7, s22, v7
	s_cbranch_scc1 .LBB211_37
.LBB211_41:                             ;   Parent Loop BB211_38 Depth=1
                                        ; =>  This Loop Header: Depth=2
                                        ;       Child Loop BB211_42 Depth 3
                                        ;       Child Loop BB211_45 Depth 3
                                        ;         Child Loop BB211_46 Depth 4
                                        ;       Child Loop BB211_50 Depth 3
                                        ;         Child Loop BB211_52 Depth 4
	s_mov_b32 s14, 0
	v_mov_b32_e32 v1, v7
	s_mov_b32 s15, s20
.LBB211_42:                             ;   Parent Loop BB211_38 Depth=1
                                        ;     Parent Loop BB211_41 Depth=2
                                        ; =>    This Inner Loop Header: Depth=3
	ds_read_b128 v[8:11], v1
	v_mov_b32_e32 v2, s14
	s_add_i32 s15, s15, -1
	s_add_i32 s14, s14, 16
	v_add_u32_e32 v1, 0xc0, v1
	s_cmp_eq_u32 s15, 0
	s_waitcnt lgkmcnt(0)
	buffer_store_dword v11, v2, s[0:3], 0 offen offset:12
	buffer_store_dword v10, v2, s[0:3], 0 offen offset:8
	;; [unrolled: 1-line block ×3, first 2 shown]
	buffer_store_dword v8, v2, s[0:3], 0 offen
	s_cbranch_scc0 .LBB211_42
; %bb.43:                               ;   in Loop: Header=BB211_41 Depth=2
	s_cmp_lt_i32 s7, 1
	s_cbranch_scc1 .LBB211_48
; %bb.44:                               ;   in Loop: Header=BB211_41 Depth=2
	s_mov_b32 s14, 0
	s_mov_b32 s15, s23
.LBB211_45:                             ;   Parent Loop BB211_38 Depth=1
                                        ;     Parent Loop BB211_41 Depth=2
                                        ; =>    This Loop Header: Depth=3
                                        ;         Child Loop BB211_46 Depth 4
	s_mul_i32 s30, s14, 0xc0
	v_add_u32_e32 v1, s30, v5
	ds_read_b128 v[1:4], v1
	s_mov_b32 s30, 0
	s_mov_b32 s31, s15
	;; [unrolled: 1-line block ×3, first 2 shown]
.LBB211_46:                             ;   Parent Loop BB211_38 Depth=1
                                        ;     Parent Loop BB211_41 Depth=2
                                        ;       Parent Loop BB211_45 Depth=3
                                        ; =>      This Inner Loop Header: Depth=4
	v_mov_b32_e32 v18, s30
	buffer_load_dword v12, v18, s[0:3], 0 offen
	buffer_load_dword v13, v18, s[0:3], 0 offen offset:4
	buffer_load_dword v14, v18, s[0:3], 0 offen offset:8
	;; [unrolled: 1-line block ×3, first 2 shown]
	v_mov_b32_e32 v8, s31
	ds_read_b128 v[8:11], v8
	s_add_i32 s33, s33, -1
	s_add_i32 s31, s31, 16
	s_add_i32 s30, s30, 16
	s_cmp_eq_u32 s33, 0
	s_waitcnt lgkmcnt(0)
	v_mul_f64 v[16:17], v[3:4], v[10:11]
	v_mul_f64 v[10:11], v[1:2], v[10:11]
	v_fma_f64 v[16:17], v[1:2], v[8:9], -v[16:17]
	v_fma_f64 v[8:9], v[3:4], v[8:9], v[10:11]
	s_waitcnt vmcnt(2)
	v_add_f64 v[10:11], v[12:13], -v[16:17]
	s_waitcnt vmcnt(0)
	v_add_f64 v[8:9], v[14:15], -v[8:9]
	buffer_store_dword v10, v18, s[0:3], 0 offen
	buffer_store_dword v11, v18, s[0:3], 0 offen offset:4
	buffer_store_dword v8, v18, s[0:3], 0 offen offset:8
	;; [unrolled: 1-line block ×3, first 2 shown]
	s_cbranch_scc0 .LBB211_46
; %bb.47:                               ;   in Loop: Header=BB211_45 Depth=3
	s_add_i32 s14, s14, 1
	s_addk_i32 s15, 0xc0
	s_cmp_eq_u32 s14, s7
	s_cbranch_scc0 .LBB211_45
.LBB211_48:                             ;   in Loop: Header=BB211_41 Depth=2
	s_mov_b32 s30, 0
	s_mov_b32 s31, s27
	s_branch .LBB211_50
.LBB211_49:                             ;   in Loop: Header=BB211_50 Depth=3
	s_add_i32 s14, s30, s7
	s_mul_i32 s15, s14, 0xd0
	v_mov_b32_e32 v8, s15
	ds_read_b128 v[8:11], v8
	s_lshl_b32 s15, s30, 4
	s_add_i32 s30, s30, 1
	s_add_i32 s31, s31, 16
	s_mulk_i32 s14, 0xc0
	s_waitcnt vmcnt(0) lgkmcnt(0)
	v_mul_f64 v[12:13], v[10:11], v[3:4]
	v_mul_f64 v[3:4], v[8:9], v[3:4]
	s_cmp_eq_u32 s30, s20
	v_fma_f64 v[8:9], v[8:9], v[1:2], -v[12:13]
	v_fma_f64 v[10:11], v[10:11], v[1:2], v[3:4]
	v_mov_b32_e32 v1, s15
	v_add_u32_e32 v2, s14, v5
	buffer_store_dword v9, v1, s[0:3], 0 offen offset:4
	buffer_store_dword v8, v1, s[0:3], 0 offen
	buffer_store_dword v11, v1, s[0:3], 0 offen offset:12
	buffer_store_dword v10, v1, s[0:3], 0 offen offset:8
	ds_write_b128 v2, v[8:11]
	s_cbranch_scc1 .LBB211_40
.LBB211_50:                             ;   Parent Loop BB211_38 Depth=1
                                        ;     Parent Loop BB211_41 Depth=2
                                        ; =>    This Loop Header: Depth=3
                                        ;         Child Loop BB211_52 Depth 4
	s_cmp_lg_u32 s30, 0
	s_cbranch_scc0 .LBB211_54
; %bb.51:                               ;   in Loop: Header=BB211_50 Depth=3
	s_lshl_b32 s14, s30, 4
	v_mov_b32_e32 v8, s14
	buffer_load_dword v1, v8, s[0:3], 0 offen
	buffer_load_dword v2, v8, s[0:3], 0 offen offset:4
	buffer_load_dword v3, v8, s[0:3], 0 offen offset:8
	;; [unrolled: 1-line block ×3, first 2 shown]
	s_mov_b32 s14, 0
	s_mov_b32 s15, s31
	;; [unrolled: 1-line block ×3, first 2 shown]
.LBB211_52:                             ;   Parent Loop BB211_38 Depth=1
                                        ;     Parent Loop BB211_41 Depth=2
                                        ;       Parent Loop BB211_50 Depth=3
                                        ; =>      This Inner Loop Header: Depth=4
	v_mov_b32_e32 v9, s14
	buffer_load_dword v13, v9, s[0:3], 0 offen offset:8
	buffer_load_dword v14, v9, s[0:3], 0 offen offset:12
	buffer_load_dword v15, v9, s[0:3], 0 offen
	buffer_load_dword v16, v9, s[0:3], 0 offen offset:4
	v_mov_b32_e32 v9, s15
	ds_read_b128 v[9:12], v9
	s_add_i32 s33, s33, -1
	s_addk_i32 s15, 0xc0
	s_add_i32 s14, s14, 16
	s_cmp_eq_u32 s33, 0
	s_waitcnt vmcnt(2) lgkmcnt(0)
	v_mul_f64 v[17:18], v[11:12], v[13:14]
	v_mul_f64 v[13:14], v[9:10], v[13:14]
	s_waitcnt vmcnt(0)
	v_fma_f64 v[9:10], v[9:10], v[15:16], -v[17:18]
	v_fma_f64 v[11:12], v[11:12], v[15:16], v[13:14]
	v_add_f64 v[1:2], v[1:2], -v[9:10]
	v_add_f64 v[3:4], v[3:4], -v[11:12]
	buffer_store_dword v1, v8, s[0:3], 0 offen
	buffer_store_dword v2, v8, s[0:3], 0 offen offset:4
	buffer_store_dword v3, v8, s[0:3], 0 offen offset:8
	;; [unrolled: 1-line block ×3, first 2 shown]
	s_cbranch_scc0 .LBB211_52
; %bb.53:                               ;   in Loop: Header=BB211_50 Depth=3
	s_branch .LBB211_49
.LBB211_54:                             ;   in Loop: Header=BB211_50 Depth=3
                                        ; implicit-def: $vgpr1_vgpr2
                                        ; implicit-def: $vgpr3_vgpr4
	s_cbranch_execz .LBB211_49
; %bb.55:                               ;   in Loop: Header=BB211_50 Depth=3
	buffer_load_dword v1, off, s[0:3], 0
	buffer_load_dword v2, off, s[0:3], 0 offset:4
	buffer_load_dword v3, off, s[0:3], 0 offset:8
	;; [unrolled: 1-line block ×3, first 2 shown]
	s_branch .LBB211_49
.LBB211_56:
	s_waitcnt lgkmcnt(0)
	; wave barrier
	s_and_saveexec_b64 s[12:13], s[4:5]
	s_cbranch_execz .LBB211_60
; %bb.57:
	s_andn2_b64 vcc, exec, s[16:17]
	s_cbranch_vccnz .LBB211_60
; %bb.58:
	s_lshl_b64 s[4:5], s[8:9], 4
	s_add_u32 s7, s10, s4
	s_addc_u32 s8, s11, s5
	s_lshl_b64 s[4:5], s[24:25], 4
	s_add_u32 s9, s7, s4
	s_addc_u32 s8, s8, s5
	s_mul_hi_i32 s5, s21, s6
	s_mul_i32 s4, s21, s6
	v_mad_i64_i32 v[1:2], s[6:7], s21, v0, 0
	s_lshl_b64 s[4:5], s[4:5], 4
	s_add_u32 s4, s9, s4
	v_lshlrev_b64 v[1:2], 4, v[1:2]
	s_addc_u32 s5, s8, s5
	v_mov_b32_e32 v3, s5
	v_add_co_u32_e32 v1, vcc, s4, v1
	v_addc_co_u32_e32 v2, vcc, v3, v2, vcc
	v_mov_b32_e32 v3, 0x900
	v_lshl_or_b32 v0, v0, 4, v3
.LBB211_59:                             ; =>This Inner Loop Header: Depth=1
	ds_read2_b64 v[3:6], v0 offset1:1
	s_add_i32 s28, s28, -1
	v_add_u32_e32 v0, 0xc0, v0
	s_cmp_lg_u32 s28, 0
	s_waitcnt lgkmcnt(0)
	global_store_dwordx4 v[1:2], v[3:6], off
	v_add_co_u32_e32 v1, vcc, 16, v1
	v_addc_co_u32_e32 v2, vcc, 0, v2, vcc
	s_cbranch_scc1 .LBB211_59
.LBB211_60:
	s_endpgm
	.section	.rodata,"a",@progbits
	.p2align	6, 0x0
	.amdhsa_kernel _ZL38rocblas_trsm_small_left_device_sharedBILi12ELi12ELb1E19rocblas_complex_numIdES1_PKS1_PS1_Ev13rocblas_fill_18rocblas_operation_17rocblas_diagonal_iiT3_T4_lilT5_lili
		.amdhsa_group_segment_fixed_size 4608
		.amdhsa_private_segment_fixed_size 208
		.amdhsa_kernarg_size 368
		.amdhsa_user_sgpr_count 6
		.amdhsa_user_sgpr_private_segment_buffer 1
		.amdhsa_user_sgpr_dispatch_ptr 0
		.amdhsa_user_sgpr_queue_ptr 0
		.amdhsa_user_sgpr_kernarg_segment_ptr 1
		.amdhsa_user_sgpr_dispatch_id 0
		.amdhsa_user_sgpr_flat_scratch_init 0
		.amdhsa_user_sgpr_private_segment_size 0
		.amdhsa_uses_dynamic_stack 0
		.amdhsa_system_sgpr_private_segment_wavefront_offset 1
		.amdhsa_system_sgpr_workgroup_id_x 1
		.amdhsa_system_sgpr_workgroup_id_y 0
		.amdhsa_system_sgpr_workgroup_id_z 1
		.amdhsa_system_sgpr_workgroup_info 0
		.amdhsa_system_vgpr_workitem_id 0
		.amdhsa_next_free_vgpr 49
		.amdhsa_next_free_sgpr 98
		.amdhsa_reserve_vcc 1
		.amdhsa_reserve_flat_scratch 0
		.amdhsa_float_round_mode_32 0
		.amdhsa_float_round_mode_16_64 0
		.amdhsa_float_denorm_mode_32 3
		.amdhsa_float_denorm_mode_16_64 3
		.amdhsa_dx10_clamp 1
		.amdhsa_ieee_mode 1
		.amdhsa_fp16_overflow 0
		.amdhsa_exception_fp_ieee_invalid_op 0
		.amdhsa_exception_fp_denorm_src 0
		.amdhsa_exception_fp_ieee_div_zero 0
		.amdhsa_exception_fp_ieee_overflow 0
		.amdhsa_exception_fp_ieee_underflow 0
		.amdhsa_exception_fp_ieee_inexact 0
		.amdhsa_exception_int_div_zero 0
	.end_amdhsa_kernel
	.section	.text._ZL38rocblas_trsm_small_left_device_sharedBILi12ELi12ELb1E19rocblas_complex_numIdES1_PKS1_PS1_Ev13rocblas_fill_18rocblas_operation_17rocblas_diagonal_iiT3_T4_lilT5_lili,"axG",@progbits,_ZL38rocblas_trsm_small_left_device_sharedBILi12ELi12ELb1E19rocblas_complex_numIdES1_PKS1_PS1_Ev13rocblas_fill_18rocblas_operation_17rocblas_diagonal_iiT3_T4_lilT5_lili,comdat
.Lfunc_end211:
	.size	_ZL38rocblas_trsm_small_left_device_sharedBILi12ELi12ELb1E19rocblas_complex_numIdES1_PKS1_PS1_Ev13rocblas_fill_18rocblas_operation_17rocblas_diagonal_iiT3_T4_lilT5_lili, .Lfunc_end211-_ZL38rocblas_trsm_small_left_device_sharedBILi12ELi12ELb1E19rocblas_complex_numIdES1_PKS1_PS1_Ev13rocblas_fill_18rocblas_operation_17rocblas_diagonal_iiT3_T4_lilT5_lili
                                        ; -- End function
	.set _ZL38rocblas_trsm_small_left_device_sharedBILi12ELi12ELb1E19rocblas_complex_numIdES1_PKS1_PS1_Ev13rocblas_fill_18rocblas_operation_17rocblas_diagonal_iiT3_T4_lilT5_lili.num_vgpr, 19
	.set _ZL38rocblas_trsm_small_left_device_sharedBILi12ELi12ELb1E19rocblas_complex_numIdES1_PKS1_PS1_Ev13rocblas_fill_18rocblas_operation_17rocblas_diagonal_iiT3_T4_lilT5_lili.num_agpr, 0
	.set _ZL38rocblas_trsm_small_left_device_sharedBILi12ELi12ELb1E19rocblas_complex_numIdES1_PKS1_PS1_Ev13rocblas_fill_18rocblas_operation_17rocblas_diagonal_iiT3_T4_lilT5_lili.numbered_sgpr, 38
	.set _ZL38rocblas_trsm_small_left_device_sharedBILi12ELi12ELb1E19rocblas_complex_numIdES1_PKS1_PS1_Ev13rocblas_fill_18rocblas_operation_17rocblas_diagonal_iiT3_T4_lilT5_lili.num_named_barrier, 0
	.set _ZL38rocblas_trsm_small_left_device_sharedBILi12ELi12ELb1E19rocblas_complex_numIdES1_PKS1_PS1_Ev13rocblas_fill_18rocblas_operation_17rocblas_diagonal_iiT3_T4_lilT5_lili.private_seg_size, 208
	.set _ZL38rocblas_trsm_small_left_device_sharedBILi12ELi12ELb1E19rocblas_complex_numIdES1_PKS1_PS1_Ev13rocblas_fill_18rocblas_operation_17rocblas_diagonal_iiT3_T4_lilT5_lili.uses_vcc, 1
	.set _ZL38rocblas_trsm_small_left_device_sharedBILi12ELi12ELb1E19rocblas_complex_numIdES1_PKS1_PS1_Ev13rocblas_fill_18rocblas_operation_17rocblas_diagonal_iiT3_T4_lilT5_lili.uses_flat_scratch, 0
	.set _ZL38rocblas_trsm_small_left_device_sharedBILi12ELi12ELb1E19rocblas_complex_numIdES1_PKS1_PS1_Ev13rocblas_fill_18rocblas_operation_17rocblas_diagonal_iiT3_T4_lilT5_lili.has_dyn_sized_stack, 0
	.set _ZL38rocblas_trsm_small_left_device_sharedBILi12ELi12ELb1E19rocblas_complex_numIdES1_PKS1_PS1_Ev13rocblas_fill_18rocblas_operation_17rocblas_diagonal_iiT3_T4_lilT5_lili.has_recursion, 0
	.set _ZL38rocblas_trsm_small_left_device_sharedBILi12ELi12ELb1E19rocblas_complex_numIdES1_PKS1_PS1_Ev13rocblas_fill_18rocblas_operation_17rocblas_diagonal_iiT3_T4_lilT5_lili.has_indirect_call, 0
	.section	.AMDGPU.csdata,"",@progbits
; Kernel info:
; codeLenInByte = 3096
; TotalNumSgprs: 42
; NumVgprs: 19
; ScratchSize: 208
; MemoryBound: 0
; FloatMode: 240
; IeeeMode: 1
; LDSByteSize: 4608 bytes/workgroup (compile time only)
; SGPRBlocks: 12
; VGPRBlocks: 12
; NumSGPRsForWavesPerEU: 102
; NumVGPRsForWavesPerEU: 49
; Occupancy: 4
; WaveLimiterHint : 0
; COMPUTE_PGM_RSRC2:SCRATCH_EN: 1
; COMPUTE_PGM_RSRC2:USER_SGPR: 6
; COMPUTE_PGM_RSRC2:TRAP_HANDLER: 0
; COMPUTE_PGM_RSRC2:TGID_X_EN: 1
; COMPUTE_PGM_RSRC2:TGID_Y_EN: 0
; COMPUTE_PGM_RSRC2:TGID_Z_EN: 1
; COMPUTE_PGM_RSRC2:TIDIG_COMP_CNT: 0
	.section	.text._ZL30rocblas_trsm_small_left_deviceILi12ELi12ELb1E19rocblas_complex_numIdES1_PKS1_PS1_Ev13rocblas_fill_18rocblas_operation_17rocblas_diagonal_iiT3_T4_lilT5_lili,"axG",@progbits,_ZL30rocblas_trsm_small_left_deviceILi12ELi12ELb1E19rocblas_complex_numIdES1_PKS1_PS1_Ev13rocblas_fill_18rocblas_operation_17rocblas_diagonal_iiT3_T4_lilT5_lili,comdat
	.globl	_ZL30rocblas_trsm_small_left_deviceILi12ELi12ELb1E19rocblas_complex_numIdES1_PKS1_PS1_Ev13rocblas_fill_18rocblas_operation_17rocblas_diagonal_iiT3_T4_lilT5_lili ; -- Begin function _ZL30rocblas_trsm_small_left_deviceILi12ELi12ELb1E19rocblas_complex_numIdES1_PKS1_PS1_Ev13rocblas_fill_18rocblas_operation_17rocblas_diagonal_iiT3_T4_lilT5_lili
	.p2align	8
	.type	_ZL30rocblas_trsm_small_left_deviceILi12ELi12ELb1E19rocblas_complex_numIdES1_PKS1_PS1_Ev13rocblas_fill_18rocblas_operation_17rocblas_diagonal_iiT3_T4_lilT5_lili,@function
_ZL30rocblas_trsm_small_left_deviceILi12ELi12ELb1E19rocblas_complex_numIdES1_PKS1_PS1_Ev13rocblas_fill_18rocblas_operation_17rocblas_diagonal_iiT3_T4_lilT5_lili: ; @_ZL30rocblas_trsm_small_left_deviceILi12ELi12ELb1E19rocblas_complex_numIdES1_PKS1_PS1_Ev13rocblas_fill_18rocblas_operation_17rocblas_diagonal_iiT3_T4_lilT5_lili
; %bb.0:
	s_add_u32 s0, s0, s8
	s_load_dwordx4 s[20:23], s[4:5], 0x4
	s_load_dwordx8 s[12:19], s[4:5], 0x18
	s_load_dwordx4 s[8:11], s[4:5], 0x40
	s_load_dwordx2 s[24:25], s[4:5], 0x50
	s_load_dword s29, s[4:5], 0x70
	s_addc_u32 s1, s1, 0
	s_waitcnt lgkmcnt(0)
	s_min_i32 s28, s22, 12
	v_cmp_gt_i32_e32 vcc, s28, v0
	s_and_saveexec_b64 s[26:27], vcc
	s_cbranch_execz .LBB212_11
; %bb.1:
	s_load_dword s30, s[4:5], 0x38
	s_mul_i32 s9, s9, s7
	s_mul_hi_u32 s22, s8, s7
	s_mul_i32 s8, s8, s7
	v_lshlrev_b32_e32 v3, 4, v0
	s_waitcnt lgkmcnt(0)
	s_ashr_i32 s31, s30, 31
	s_cmpk_eq_i32 s20, 0x71
	s_cselect_b64 vcc, -1, 0
	s_add_i32 s9, s22, s9
	s_lshl_b64 s[8:9], s[8:9], 4
	s_lshl_b64 s[18:19], s[18:19], 4
	s_add_u32 s8, s8, s18
	s_addc_u32 s9, s9, s19
	s_add_u32 s8, s16, s8
	s_addc_u32 s9, s17, s9
	v_mov_b32_e32 v1, s9
	v_add_co_u32_e64 v2, s[8:9], s8, v3
	v_addc_co_u32_e64 v4, s[8:9], 0, v1, s[8:9]
	v_add_co_u32_e64 v1, s[8:9], 8, v2
	s_lshl_b64 s[16:17], s[30:31], 4
	v_addc_co_u32_e64 v2, s[8:9], 0, v4, s[8:9]
	v_mov_b32_e32 v4, s17
	v_mov_b32_e32 v5, v3
	s_mov_b32 s17, s28
.LBB212_2:                              ; =>This Inner Loop Header: Depth=1
	global_load_dwordx4 v[6:9], v[1:2], off offset:-8
	s_add_i32 s17, s17, -1
	v_add_co_u32_e64 v1, s[8:9], s16, v1
	v_addc_co_u32_e64 v2, s[8:9], v2, v4, s[8:9]
	s_cmp_eq_u32 s17, 0
	s_waitcnt vmcnt(0)
	v_xor_b32_e32 v10, 0x80000000, v9
	v_cndmask_b32_e32 v9, v9, v10, vcc
	ds_write_b128 v5, v[6:9]
	v_add_u32_e32 v5, 0xc0, v5
	s_cbranch_scc0 .LBB212_2
; %bb.3:
	v_mul_u32_u24_e32 v1, 0xc0, v0
	s_cmpk_lg_i32 s21, 0x84
	v_add_u32_e32 v9, v3, v1
	s_cbranch_scc0 .LBB212_9
; %bb.4:
	ds_read_b128 v[1:4], v9
                                        ; implicit-def: $vgpr7_vgpr8
	s_waitcnt lgkmcnt(0)
	v_cmp_ngt_f64_e64 s[8:9], |v[1:2]|, |v[3:4]|
	s_and_saveexec_b64 s[16:17], s[8:9]
	s_xor_b64 s[8:9], exec, s[16:17]
	s_cbranch_execz .LBB212_6
; %bb.5:
	v_div_scale_f64 v[5:6], s[16:17], v[3:4], v[3:4], v[1:2]
	v_rcp_f64_e32 v[7:8], v[5:6]
	v_fma_f64 v[10:11], -v[5:6], v[7:8], 1.0
	v_fma_f64 v[7:8], v[7:8], v[10:11], v[7:8]
	v_div_scale_f64 v[10:11], vcc, v[1:2], v[3:4], v[1:2]
	v_fma_f64 v[12:13], -v[5:6], v[7:8], 1.0
	v_fma_f64 v[7:8], v[7:8], v[12:13], v[7:8]
	v_mul_f64 v[12:13], v[10:11], v[7:8]
	v_fma_f64 v[5:6], -v[5:6], v[12:13], v[10:11]
	v_div_fmas_f64 v[5:6], v[5:6], v[7:8], v[12:13]
	v_div_fixup_f64 v[5:6], v[5:6], v[3:4], v[1:2]
	v_fma_f64 v[1:2], v[1:2], v[5:6], v[3:4]
	v_div_scale_f64 v[3:4], s[16:17], v[1:2], v[1:2], 1.0
	v_rcp_f64_e32 v[7:8], v[3:4]
	v_fma_f64 v[10:11], -v[3:4], v[7:8], 1.0
	v_fma_f64 v[7:8], v[7:8], v[10:11], v[7:8]
	v_div_scale_f64 v[10:11], vcc, 1.0, v[1:2], 1.0
	v_fma_f64 v[12:13], -v[3:4], v[7:8], 1.0
	v_fma_f64 v[7:8], v[7:8], v[12:13], v[7:8]
	v_mul_f64 v[12:13], v[10:11], v[7:8]
	v_fma_f64 v[3:4], -v[3:4], v[12:13], v[10:11]
	v_div_fmas_f64 v[3:4], v[3:4], v[7:8], v[12:13]
	v_add_f64 v[7:8], v[5:6], 0
	v_div_fixup_f64 v[1:2], v[3:4], v[1:2], 1.0
	v_fma_f64 v[3:4], v[5:6], 0, -1.0
	v_mul_f64 v[5:6], v[7:8], v[1:2]
	v_mul_f64 v[7:8], v[3:4], v[1:2]
                                        ; implicit-def: $vgpr1_vgpr2
.LBB212_6:
	s_andn2_saveexec_b64 s[8:9], s[8:9]
	s_cbranch_execz .LBB212_8
; %bb.7:
	v_div_scale_f64 v[5:6], s[16:17], v[1:2], v[1:2], v[3:4]
	v_rcp_f64_e32 v[7:8], v[5:6]
	v_fma_f64 v[10:11], -v[5:6], v[7:8], 1.0
	v_fma_f64 v[7:8], v[7:8], v[10:11], v[7:8]
	v_div_scale_f64 v[10:11], vcc, v[3:4], v[1:2], v[3:4]
	v_fma_f64 v[12:13], -v[5:6], v[7:8], 1.0
	v_fma_f64 v[7:8], v[7:8], v[12:13], v[7:8]
	v_mul_f64 v[12:13], v[10:11], v[7:8]
	v_fma_f64 v[5:6], -v[5:6], v[12:13], v[10:11]
	v_div_fmas_f64 v[5:6], v[5:6], v[7:8], v[12:13]
	v_div_fixup_f64 v[5:6], v[5:6], v[1:2], v[3:4]
	v_fma_f64 v[1:2], v[3:4], v[5:6], v[1:2]
	v_div_scale_f64 v[3:4], s[16:17], v[1:2], v[1:2], 1.0
	v_rcp_f64_e32 v[7:8], v[3:4]
	v_fma_f64 v[10:11], -v[3:4], v[7:8], 1.0
	v_fma_f64 v[7:8], v[7:8], v[10:11], v[7:8]
	v_div_scale_f64 v[10:11], vcc, 1.0, v[1:2], 1.0
	v_fma_f64 v[12:13], -v[3:4], v[7:8], 1.0
	v_fma_f64 v[7:8], v[7:8], v[12:13], v[7:8]
	v_mul_f64 v[12:13], v[10:11], v[7:8]
	v_fma_f64 v[3:4], -v[3:4], v[12:13], v[10:11]
	v_div_fmas_f64 v[3:4], v[3:4], v[7:8], v[12:13]
	v_fma_f64 v[7:8], v[5:6], 0, 1.0
	v_div_fixup_f64 v[1:2], v[3:4], v[1:2], 1.0
	v_add_f64 v[3:4], -v[5:6], 0
	v_mul_f64 v[5:6], v[7:8], v[1:2]
	v_mul_f64 v[7:8], v[3:4], v[1:2]
.LBB212_8:
	s_or_b64 exec, exec, s[8:9]
	s_branch .LBB212_10
.LBB212_9:
	v_mov_b32_e32 v7, 0
	v_mov_b32_e32 v5, 0
	;; [unrolled: 1-line block ×4, first 2 shown]
.LBB212_10:
	ds_write_b128 v9, v[5:8]
.LBB212_11:
	s_or_b64 exec, exec, s[26:27]
	s_mul_i32 s8, s6, -12
	s_add_i32 s29, s29, -1
	s_add_i32 s8, s23, s8
	s_cmp_ge_u32 s6, s29
	s_cselect_b32 s8, s8, 12
	v_cmp_gt_i32_e32 vcc, s8, v0
	s_waitcnt lgkmcnt(0)
	; wave barrier
	s_and_saveexec_b64 s[8:9], vcc
	s_cbranch_execz .LBB212_54
; %bb.12:
	s_load_dwordx2 s[8:9], s[4:5], 0x60
	s_load_dword s16, s[4:5], 0x58
	s_waitcnt lgkmcnt(0)
	s_mul_i32 s5, s9, s7
	s_mul_hi_u32 s9, s8, s7
	s_mul_i32 s4, s8, s7
	v_mad_u64_u32 v[0:1], s[6:7], s6, 12, v[0:1]
	s_add_i32 s5, s9, s5
	s_lshl_b64 s[4:5], s[4:5], 4
	v_mad_i64_i32 v[0:1], s[6:7], s16, v0, 0
	s_add_u32 s8, s10, s4
	s_addc_u32 s9, s11, s5
	s_lshl_b64 s[6:7], s[24:25], 4
	s_add_u32 s8, s8, s6
	v_lshlrev_b64 v[4:5], 4, v[0:1]
	s_addc_u32 s9, s9, s7
	v_mov_b32_e32 v0, s9
	v_add_co_u32_e32 v6, vcc, s8, v4
	v_addc_co_u32_e32 v7, vcc, v0, v5, vcc
	s_cmpk_eq_i32 s20, 0x6f
	s_mov_b64 s[8:9], -1
	s_cbranch_scc1 .LBB212_33
; %bb.13:
	s_add_i32 s24, s28, -1
	s_add_u32 s8, s10, s6
	s_addc_u32 s9, s11, s7
	s_add_u32 s8, s8, s4
	s_addc_u32 s9, s9, s5
	v_mov_b32_e32 v0, s9
	v_add_co_u32_e32 v1, vcc, s8, v4
	v_addc_co_u32_e32 v0, vcc, v0, v5, vcc
	v_add_co_u32_e32 v8, vcc, 8, v1
	s_lshl_b32 s25, s28, 4
	s_mov_b32 s9, 0
	v_addc_co_u32_e32 v9, vcc, 0, v0, vcc
	s_add_i32 s25, s25, -16
	s_mov_b32 s8, s9
	s_mov_b32 s16, s24
	s_branch .LBB212_15
.LBB212_14:                             ;   in Loop: Header=BB212_15 Depth=1
	s_cmp_lt_i32 s16, 0
	s_cselect_b64 s[18:19], -1, 0
	s_add_i32 s8, s8, 1
	s_cmp_eq_u32 s8, 3
	s_cselect_b64 s[20:21], -1, 0
	s_or_b64 s[18:19], s[18:19], s[20:21]
	s_andn2_b64 vcc, exec, s[18:19]
	s_cbranch_vccz .LBB212_32
.LBB212_15:                             ; =>This Loop Header: Depth=1
                                        ;     Child Loop BB212_18 Depth 2
                                        ;       Child Loop BB212_19 Depth 3
                                        ;       Child Loop BB212_21 Depth 3
                                        ;         Child Loop BB212_22 Depth 4
                                        ;       Child Loop BB212_26 Depth 3
                                        ;         Child Loop BB212_28 Depth 4
	s_lshl_b64 s[18:19], s[8:9], 2
	s_getpc_b64 s[20:21]
	s_add_u32 s20, s20, __const._ZL30rocblas_trsm_small_left_deviceILi12ELi12ELb1E19rocblas_complex_numIdES1_PKS1_PS1_Ev13rocblas_fill_18rocblas_operation_17rocblas_diagonal_iiT3_T4_lilT5_lili.step_sizes@rel32@lo+4
	s_addc_u32 s21, s21, __const._ZL30rocblas_trsm_small_left_deviceILi12ELi12ELb1E19rocblas_complex_numIdES1_PKS1_PS1_Ev13rocblas_fill_18rocblas_operation_17rocblas_diagonal_iiT3_T4_lilT5_lili.step_sizes@rel32@hi+12
	s_add_u32 s18, s20, s18
	s_addc_u32 s19, s21, s19
	s_load_dword s26, s[18:19], 0x0
	s_waitcnt lgkmcnt(0)
	s_add_i32 s27, s26, -1
	s_cmp_lt_i32 s16, s27
	s_cbranch_scc1 .LBB212_14
; %bb.16:                               ;   in Loop: Header=BB212_15 Depth=1
	s_mul_i32 s17, s16, 0xc0
	s_max_i32 s29, s26, 1
	s_add_i32 s30, s25, s17
	s_mul_i32 s31, s26, 0xffffff40
	s_mul_i32 s33, s16, 0xd0
	;; [unrolled: 1-line block ×3, first 2 shown]
	s_branch .LBB212_18
.LBB212_17:                             ;   in Loop: Header=BB212_18 Depth=2
	s_sub_i32 s16, s16, s26
	s_add_i32 s30, s30, s31
	s_add_i32 s33, s33, s34
	s_cmp_lt_i32 s16, s27
	s_cbranch_scc1 .LBB212_14
.LBB212_18:                             ;   Parent Loop BB212_15 Depth=1
                                        ; =>  This Loop Header: Depth=2
                                        ;       Child Loop BB212_19 Depth 3
                                        ;       Child Loop BB212_21 Depth 3
                                        ;         Child Loop BB212_22 Depth 4
                                        ;       Child Loop BB212_26 Depth 3
                                        ;         Child Loop BB212_28 Depth 4
	s_ashr_i32 s17, s16, 31
	s_lshl_b64 s[18:19], s[16:17], 4
	v_mov_b32_e32 v1, s19
	v_add_co_u32_e32 v0, vcc, s18, v8
	v_addc_co_u32_e32 v1, vcc, v9, v1, vcc
	s_mov_b32 s18, 0
	s_mov_b32 s19, s29
.LBB212_19:                             ;   Parent Loop BB212_15 Depth=1
                                        ;     Parent Loop BB212_18 Depth=2
                                        ; =>    This Inner Loop Header: Depth=3
	global_load_dwordx4 v[10:13], v[0:1], off offset:-8
	v_mov_b32_e32 v14, s18
	s_add_i32 s19, s19, -1
	v_add_co_u32_e32 v0, vcc, -16, v0
	s_add_i32 s18, s18, 16
	v_addc_co_u32_e32 v1, vcc, -1, v1, vcc
	s_cmp_eq_u32 s19, 0
	s_waitcnt vmcnt(0)
	v_mul_f64 v[2:3], s[14:15], v[12:13]
	v_mul_f64 v[12:13], s[12:13], v[12:13]
	v_fma_f64 v[2:3], s[12:13], v[10:11], -v[2:3]
	v_fma_f64 v[10:11], s[14:15], v[10:11], v[12:13]
	buffer_store_dword v3, v14, s[0:3], 0 offen offset:4
	buffer_store_dword v2, v14, s[0:3], 0 offen
	buffer_store_dword v11, v14, s[0:3], 0 offen offset:12
	buffer_store_dword v10, v14, s[0:3], 0 offen offset:8
	s_cbranch_scc0 .LBB212_19
; %bb.20:                               ;   in Loop: Header=BB212_18 Depth=2
	s_cmp_le_i32 s24, s16
	s_mov_b32 s20, s30
	s_mov_b32 s18, s24
	s_cbranch_scc1 .LBB212_24
.LBB212_21:                             ;   Parent Loop BB212_15 Depth=1
                                        ;     Parent Loop BB212_18 Depth=2
                                        ; =>    This Loop Header: Depth=3
                                        ;         Child Loop BB212_22 Depth 4
	s_ashr_i32 s19, s18, 31
	s_lshl_b64 s[22:23], s[18:19], 4
	v_mov_b32_e32 v1, s23
	v_add_co_u32_e32 v0, vcc, s22, v6
	v_addc_co_u32_e32 v1, vcc, v7, v1, vcc
	global_load_dwordx4 v[0:3], v[0:1], off
	s_mov_b32 s19, 0
	s_mov_b32 s21, s20
	;; [unrolled: 1-line block ×3, first 2 shown]
.LBB212_22:                             ;   Parent Loop BB212_15 Depth=1
                                        ;     Parent Loop BB212_18 Depth=2
                                        ;       Parent Loop BB212_21 Depth=3
                                        ; =>      This Inner Loop Header: Depth=4
	v_mov_b32_e32 v20, s19
	buffer_load_dword v14, v20, s[0:3], 0 offen
	buffer_load_dword v15, v20, s[0:3], 0 offen offset:4
	buffer_load_dword v16, v20, s[0:3], 0 offen offset:8
	;; [unrolled: 1-line block ×3, first 2 shown]
	v_mov_b32_e32 v10, s21
	ds_read_b128 v[10:13], v10
	s_add_i32 s22, s22, -1
	s_addk_i32 s21, 0xff40
	s_add_i32 s19, s19, 16
	s_cmp_eq_u32 s22, 0
	s_waitcnt vmcnt(4) lgkmcnt(0)
	v_mul_f64 v[18:19], v[2:3], v[12:13]
	v_mul_f64 v[12:13], v[0:1], v[12:13]
	v_fma_f64 v[18:19], v[0:1], v[10:11], -v[18:19]
	v_fma_f64 v[10:11], v[2:3], v[10:11], v[12:13]
	s_waitcnt vmcnt(2)
	v_add_f64 v[12:13], v[14:15], -v[18:19]
	s_waitcnt vmcnt(0)
	v_add_f64 v[10:11], v[16:17], -v[10:11]
	buffer_store_dword v12, v20, s[0:3], 0 offen
	buffer_store_dword v13, v20, s[0:3], 0 offen offset:4
	buffer_store_dword v10, v20, s[0:3], 0 offen offset:8
	;; [unrolled: 1-line block ×3, first 2 shown]
	s_cbranch_scc0 .LBB212_22
; %bb.23:                               ;   in Loop: Header=BB212_21 Depth=3
	s_add_i32 s18, s18, -1
	s_add_i32 s20, s20, -16
	s_cmp_le_i32 s18, s16
	s_cbranch_scc0 .LBB212_21
.LBB212_24:                             ;   in Loop: Header=BB212_18 Depth=2
	s_mov_b32 s35, 0
	s_mov_b32 s36, s33
	s_branch .LBB212_26
.LBB212_25:                             ;   in Loop: Header=BB212_26 Depth=3
	s_mulk_i32 s20, 0xd0
	v_mov_b32_e32 v10, s20
	ds_read_b128 v[10:13], v10
	s_lshl_b64 s[18:19], s[18:19], 4
	s_lshl_b32 s20, s35, 4
	s_add_i32 s35, s35, 1
	s_addk_i32 s36, 0xff40
	s_waitcnt vmcnt(0) lgkmcnt(0)
	v_mul_f64 v[14:15], v[12:13], v[2:3]
	v_mul_f64 v[2:3], v[10:11], v[2:3]
	v_mov_b32_e32 v16, s20
	s_cmp_eq_u32 s35, s29
	v_fma_f64 v[10:11], v[10:11], v[0:1], -v[14:15]
	v_fma_f64 v[12:13], v[12:13], v[0:1], v[2:3]
	v_mov_b32_e32 v14, s19
	v_add_co_u32_e32 v0, vcc, s18, v6
	v_addc_co_u32_e32 v1, vcc, v7, v14, vcc
	buffer_store_dword v11, v16, s[0:3], 0 offen offset:4
	buffer_store_dword v10, v16, s[0:3], 0 offen
	buffer_store_dword v13, v16, s[0:3], 0 offen offset:12
	buffer_store_dword v12, v16, s[0:3], 0 offen offset:8
	global_store_dwordx4 v[0:1], v[10:13], off
	s_cbranch_scc1 .LBB212_17
.LBB212_26:                             ;   Parent Loop BB212_15 Depth=1
                                        ;     Parent Loop BB212_18 Depth=2
                                        ; =>    This Loop Header: Depth=3
                                        ;         Child Loop BB212_28 Depth 4
	s_cmp_lg_u32 s35, 0
	s_cbranch_scc0 .LBB212_30
; %bb.27:                               ;   in Loop: Header=BB212_26 Depth=3
	s_lshl_b32 s18, s35, 4
	v_mov_b32_e32 v10, s18
	buffer_load_dword v0, v10, s[0:3], 0 offen
	buffer_load_dword v1, v10, s[0:3], 0 offen offset:4
	buffer_load_dword v2, v10, s[0:3], 0 offen offset:8
	;; [unrolled: 1-line block ×3, first 2 shown]
	s_mov_b32 s19, 0
	s_mov_b32 s20, s36
	;; [unrolled: 1-line block ×3, first 2 shown]
.LBB212_28:                             ;   Parent Loop BB212_15 Depth=1
                                        ;     Parent Loop BB212_18 Depth=2
                                        ;       Parent Loop BB212_26 Depth=3
                                        ; =>      This Inner Loop Header: Depth=4
	v_mov_b32_e32 v10, s19
	buffer_load_dword v14, v10, s[0:3], 0 offen offset:8
	buffer_load_dword v15, v10, s[0:3], 0 offen offset:12
	buffer_load_dword v16, v10, s[0:3], 0 offen
	buffer_load_dword v17, v10, s[0:3], 0 offen offset:4
	v_mov_b32_e32 v10, s20
	ds_read_b128 v[10:13], v10
	s_add_i32 s21, s21, -1
	s_add_i32 s20, s20, -16
	s_add_i32 s19, s19, 16
	s_cmp_eq_u32 s21, 0
	s_waitcnt vmcnt(2) lgkmcnt(0)
	v_mul_f64 v[18:19], v[12:13], v[14:15]
	v_mul_f64 v[14:15], v[10:11], v[14:15]
	s_waitcnt vmcnt(0)
	v_fma_f64 v[10:11], v[10:11], v[16:17], -v[18:19]
	v_fma_f64 v[12:13], v[12:13], v[16:17], v[14:15]
	v_mov_b32_e32 v14, s18
	v_add_f64 v[0:1], v[0:1], -v[10:11]
	v_add_f64 v[2:3], v[2:3], -v[12:13]
	buffer_store_dword v0, v14, s[0:3], 0 offen
	buffer_store_dword v1, v14, s[0:3], 0 offen offset:4
	buffer_store_dword v2, v14, s[0:3], 0 offen offset:8
	;; [unrolled: 1-line block ×3, first 2 shown]
	s_cbranch_scc0 .LBB212_28
; %bb.29:                               ;   in Loop: Header=BB212_26 Depth=3
	s_sub_i32 s20, s16, s35
	s_ashr_i32 s21, s20, 31
	s_mov_b64 s[18:19], s[20:21]
	s_branch .LBB212_25
.LBB212_30:                             ;   in Loop: Header=BB212_26 Depth=3
                                        ; implicit-def: $vgpr0_vgpr1
                                        ; implicit-def: $vgpr2_vgpr3
                                        ; implicit-def: $sgpr20
                                        ; implicit-def: $sgpr18_sgpr19
	s_cbranch_execz .LBB212_25
; %bb.31:                               ;   in Loop: Header=BB212_26 Depth=3
	buffer_load_dword v0, off, s[0:3], 0
	buffer_load_dword v1, off, s[0:3], 0 offset:4
	buffer_load_dword v2, off, s[0:3], 0 offset:8
	;; [unrolled: 1-line block ×3, first 2 shown]
	s_mov_b64 s[18:19], s[16:17]
	s_mov_b32 s20, s16
	s_branch .LBB212_25
.LBB212_32:
	s_mov_b64 s[8:9], 0
.LBB212_33:
	s_and_b64 vcc, exec, s[8:9]
	s_cbranch_vccz .LBB212_54
; %bb.34:
	s_add_u32 s6, s10, s6
	s_addc_u32 s7, s11, s7
	s_add_u32 s4, s6, s4
	s_addc_u32 s5, s7, s5
	v_mov_b32_e32 v0, s5
	v_add_co_u32_e32 v1, vcc, s4, v4
	v_addc_co_u32_e32 v0, vcc, v0, v5, vcc
	v_add_co_u32_e32 v8, vcc, 8, v1
	s_mov_b32 s5, 0
	v_addc_co_u32_e32 v9, vcc, 0, v0, vcc
	s_mov_b32 s6, s5
	s_mov_b32 s8, s5
	s_branch .LBB212_36
.LBB212_35:                             ;   in Loop: Header=BB212_36 Depth=1
	s_cmp_ge_i32 s6, s28
	s_cselect_b64 s[10:11], -1, 0
	s_add_i32 s8, s8, 1
	s_cmp_eq_u32 s8, 3
	s_cselect_b64 s[16:17], -1, 0
	s_or_b64 s[10:11], s[10:11], s[16:17]
	s_and_b64 vcc, exec, s[10:11]
	s_cbranch_vccnz .LBB212_54
.LBB212_36:                             ; =>This Loop Header: Depth=1
                                        ;     Child Loop BB212_39 Depth 2
                                        ;       Child Loop BB212_40 Depth 3
                                        ;       Child Loop BB212_43 Depth 3
                                        ;         Child Loop BB212_44 Depth 4
                                        ;       Child Loop BB212_48 Depth 3
                                        ;         Child Loop BB212_50 Depth 4
	s_mov_b32 s9, s5
	s_lshl_b64 s[10:11], s[8:9], 2
	s_getpc_b64 s[16:17]
	s_add_u32 s16, s16, __const._ZL30rocblas_trsm_small_left_deviceILi12ELi12ELb1E19rocblas_complex_numIdES1_PKS1_PS1_Ev13rocblas_fill_18rocblas_operation_17rocblas_diagonal_iiT3_T4_lilT5_lili.step_sizes@rel32@lo+4
	s_addc_u32 s17, s17, __const._ZL30rocblas_trsm_small_left_deviceILi12ELi12ELb1E19rocblas_complex_numIdES1_PKS1_PS1_Ev13rocblas_fill_18rocblas_operation_17rocblas_diagonal_iiT3_T4_lilT5_lili.step_sizes@rel32@hi+12
	s_add_u32 s10, s16, s10
	s_addc_u32 s11, s17, s11
	s_load_dword s10, s[10:11], 0x0
	s_waitcnt lgkmcnt(0)
	s_add_i32 s9, s10, -1
	s_add_i32 s4, s9, s6
	s_cmp_ge_i32 s4, s28
	s_cbranch_scc1 .LBB212_35
; %bb.37:                               ;   in Loop: Header=BB212_36 Depth=1
	s_ashr_i32 s7, s6, 31
	s_lshl_b64 s[16:17], s[6:7], 4
	v_mov_b32_e32 v0, s17
	v_add_co_u32_e32 v4, vcc, s16, v8
	s_ashr_i32 s11, s10, 31
	s_max_i32 s20, s10, 1
	v_addc_co_u32_e32 v5, vcc, v9, v0, vcc
	s_lshl_b64 s[16:17], s[10:11], 4
	s_lshl_b32 s7, s6, 4
	s_lshl_b32 s11, s10, 4
	s_mul_i32 s21, s6, 0xd0
	s_mul_i32 s22, s10, 0xd0
	s_branch .LBB212_39
.LBB212_38:                             ;   in Loop: Header=BB212_39 Depth=2
	s_add_i32 s6, s6, s10
	s_add_i32 s4, s9, s6
	v_mov_b32_e32 v0, s17
	s_add_i32 s7, s7, s11
	s_add_i32 s21, s21, s22
	v_add_co_u32_e32 v4, vcc, s16, v4
	s_cmp_ge_i32 s4, s28
	v_addc_co_u32_e32 v5, vcc, v5, v0, vcc
	s_cbranch_scc1 .LBB212_35
.LBB212_39:                             ;   Parent Loop BB212_36 Depth=1
                                        ; =>  This Loop Header: Depth=2
                                        ;       Child Loop BB212_40 Depth 3
                                        ;       Child Loop BB212_43 Depth 3
                                        ;         Child Loop BB212_44 Depth 4
                                        ;       Child Loop BB212_48 Depth 3
                                        ;         Child Loop BB212_50 Depth 4
	v_mov_b32_e32 v0, v4
	s_mov_b32 s4, 0
	v_mov_b32_e32 v1, v5
	s_mov_b32 s18, s20
.LBB212_40:                             ;   Parent Loop BB212_36 Depth=1
                                        ;     Parent Loop BB212_39 Depth=2
                                        ; =>    This Inner Loop Header: Depth=3
	global_load_dwordx4 v[10:13], v[0:1], off offset:-8
	v_mov_b32_e32 v14, s4
	s_add_i32 s18, s18, -1
	v_add_co_u32_e32 v0, vcc, 16, v0
	s_add_i32 s4, s4, 16
	v_addc_co_u32_e32 v1, vcc, 0, v1, vcc
	s_cmp_eq_u32 s18, 0
	s_waitcnt vmcnt(0)
	v_mul_f64 v[2:3], s[14:15], v[12:13]
	v_mul_f64 v[12:13], s[12:13], v[12:13]
	v_fma_f64 v[2:3], s[12:13], v[10:11], -v[2:3]
	v_fma_f64 v[10:11], s[14:15], v[10:11], v[12:13]
	buffer_store_dword v3, v14, s[0:3], 0 offen offset:4
	buffer_store_dword v2, v14, s[0:3], 0 offen
	buffer_store_dword v11, v14, s[0:3], 0 offen offset:12
	buffer_store_dword v10, v14, s[0:3], 0 offen offset:8
	s_cbranch_scc0 .LBB212_40
; %bb.41:                               ;   in Loop: Header=BB212_39 Depth=2
	s_cmp_lt_i32 s6, 1
	s_cbranch_scc1 .LBB212_46
; %bb.42:                               ;   in Loop: Header=BB212_39 Depth=2
	s_mov_b32 s4, 0
	s_mov_b32 s18, s7
.LBB212_43:                             ;   Parent Loop BB212_36 Depth=1
                                        ;     Parent Loop BB212_39 Depth=2
                                        ; =>    This Loop Header: Depth=3
                                        ;         Child Loop BB212_44 Depth 4
	s_lshl_b64 s[24:25], s[4:5], 4
	v_mov_b32_e32 v1, s25
	v_add_co_u32_e32 v0, vcc, s24, v6
	v_addc_co_u32_e32 v1, vcc, v7, v1, vcc
	global_load_dwordx4 v[0:3], v[0:1], off
	s_mov_b32 s19, 0
	s_mov_b32 s23, s18
	;; [unrolled: 1-line block ×3, first 2 shown]
.LBB212_44:                             ;   Parent Loop BB212_36 Depth=1
                                        ;     Parent Loop BB212_39 Depth=2
                                        ;       Parent Loop BB212_43 Depth=3
                                        ; =>      This Inner Loop Header: Depth=4
	v_mov_b32_e32 v20, s19
	buffer_load_dword v14, v20, s[0:3], 0 offen
	buffer_load_dword v15, v20, s[0:3], 0 offen offset:4
	buffer_load_dword v16, v20, s[0:3], 0 offen offset:8
	;; [unrolled: 1-line block ×3, first 2 shown]
	v_mov_b32_e32 v10, s23
	ds_read_b128 v[10:13], v10
	s_add_i32 s24, s24, -1
	s_add_i32 s23, s23, 16
	s_add_i32 s19, s19, 16
	s_cmp_eq_u32 s24, 0
	s_waitcnt vmcnt(4) lgkmcnt(0)
	v_mul_f64 v[18:19], v[2:3], v[12:13]
	v_mul_f64 v[12:13], v[0:1], v[12:13]
	v_fma_f64 v[18:19], v[0:1], v[10:11], -v[18:19]
	v_fma_f64 v[10:11], v[2:3], v[10:11], v[12:13]
	s_waitcnt vmcnt(2)
	v_add_f64 v[12:13], v[14:15], -v[18:19]
	s_waitcnt vmcnt(0)
	v_add_f64 v[10:11], v[16:17], -v[10:11]
	buffer_store_dword v12, v20, s[0:3], 0 offen
	buffer_store_dword v13, v20, s[0:3], 0 offen offset:4
	buffer_store_dword v10, v20, s[0:3], 0 offen offset:8
	;; [unrolled: 1-line block ×3, first 2 shown]
	s_cbranch_scc0 .LBB212_44
; %bb.45:                               ;   in Loop: Header=BB212_43 Depth=3
	s_add_i32 s4, s4, 1
	s_addk_i32 s18, 0xc0
	s_cmp_eq_u32 s4, s6
	s_cbranch_scc0 .LBB212_43
.LBB212_46:                             ;   in Loop: Header=BB212_39 Depth=2
	s_mov_b32 s4, 0
	s_mov_b32 s23, s21
	s_branch .LBB212_48
.LBB212_47:                             ;   in Loop: Header=BB212_48 Depth=3
	s_add_i32 s18, s4, s6
	s_mul_i32 s19, s18, 0xd0
	v_mov_b32_e32 v10, s19
	ds_read_b128 v[10:13], v10
	s_lshl_b32 s19, s4, 4
	v_mov_b32_e32 v16, s19
	s_ashr_i32 s19, s18, 31
	s_lshl_b64 s[18:19], s[18:19], 4
	s_waitcnt vmcnt(0) lgkmcnt(0)
	v_mul_f64 v[14:15], v[12:13], v[2:3]
	v_mul_f64 v[2:3], v[10:11], v[2:3]
	s_add_i32 s4, s4, 1
	s_add_i32 s23, s23, 16
	s_cmp_eq_u32 s4, s20
	v_fma_f64 v[10:11], v[10:11], v[0:1], -v[14:15]
	v_fma_f64 v[12:13], v[12:13], v[0:1], v[2:3]
	v_mov_b32_e32 v14, s19
	v_add_co_u32_e32 v0, vcc, s18, v6
	v_addc_co_u32_e32 v1, vcc, v7, v14, vcc
	buffer_store_dword v11, v16, s[0:3], 0 offen offset:4
	buffer_store_dword v10, v16, s[0:3], 0 offen
	buffer_store_dword v13, v16, s[0:3], 0 offen offset:12
	buffer_store_dword v12, v16, s[0:3], 0 offen offset:8
	global_store_dwordx4 v[0:1], v[10:13], off
	s_cbranch_scc1 .LBB212_38
.LBB212_48:                             ;   Parent Loop BB212_36 Depth=1
                                        ;     Parent Loop BB212_39 Depth=2
                                        ; =>    This Loop Header: Depth=3
                                        ;         Child Loop BB212_50 Depth 4
	s_cmp_lg_u32 s4, 0
	s_cbranch_scc0 .LBB212_52
; %bb.49:                               ;   in Loop: Header=BB212_48 Depth=3
	s_lshl_b32 s18, s4, 4
	v_mov_b32_e32 v10, s18
	buffer_load_dword v0, v10, s[0:3], 0 offen
	buffer_load_dword v1, v10, s[0:3], 0 offen offset:4
	buffer_load_dword v2, v10, s[0:3], 0 offen offset:8
	;; [unrolled: 1-line block ×3, first 2 shown]
	s_mov_b32 s19, 0
	s_mov_b32 s24, s23
	;; [unrolled: 1-line block ×3, first 2 shown]
.LBB212_50:                             ;   Parent Loop BB212_36 Depth=1
                                        ;     Parent Loop BB212_39 Depth=2
                                        ;       Parent Loop BB212_48 Depth=3
                                        ; =>      This Inner Loop Header: Depth=4
	v_mov_b32_e32 v10, s19
	buffer_load_dword v14, v10, s[0:3], 0 offen offset:8
	buffer_load_dword v15, v10, s[0:3], 0 offen offset:12
	buffer_load_dword v16, v10, s[0:3], 0 offen
	buffer_load_dword v17, v10, s[0:3], 0 offen offset:4
	v_mov_b32_e32 v10, s24
	ds_read_b128 v[10:13], v10
	s_add_i32 s25, s25, -1
	s_addk_i32 s24, 0xc0
	s_add_i32 s19, s19, 16
	s_cmp_eq_u32 s25, 0
	s_waitcnt vmcnt(2) lgkmcnt(0)
	v_mul_f64 v[18:19], v[12:13], v[14:15]
	v_mul_f64 v[14:15], v[10:11], v[14:15]
	s_waitcnt vmcnt(0)
	v_fma_f64 v[10:11], v[10:11], v[16:17], -v[18:19]
	v_fma_f64 v[12:13], v[12:13], v[16:17], v[14:15]
	v_mov_b32_e32 v14, s18
	v_add_f64 v[0:1], v[0:1], -v[10:11]
	v_add_f64 v[2:3], v[2:3], -v[12:13]
	buffer_store_dword v0, v14, s[0:3], 0 offen
	buffer_store_dword v1, v14, s[0:3], 0 offen offset:4
	buffer_store_dword v2, v14, s[0:3], 0 offen offset:8
	;; [unrolled: 1-line block ×3, first 2 shown]
	s_cbranch_scc0 .LBB212_50
; %bb.51:                               ;   in Loop: Header=BB212_48 Depth=3
	s_branch .LBB212_47
.LBB212_52:                             ;   in Loop: Header=BB212_48 Depth=3
                                        ; implicit-def: $vgpr0_vgpr1
                                        ; implicit-def: $vgpr2_vgpr3
	s_cbranch_execz .LBB212_47
; %bb.53:                               ;   in Loop: Header=BB212_48 Depth=3
	buffer_load_dword v0, off, s[0:3], 0
	buffer_load_dword v1, off, s[0:3], 0 offset:4
	buffer_load_dword v2, off, s[0:3], 0 offset:8
	;; [unrolled: 1-line block ×3, first 2 shown]
	s_branch .LBB212_47
.LBB212_54:
	s_endpgm
	.section	.rodata,"a",@progbits
	.p2align	6, 0x0
	.amdhsa_kernel _ZL30rocblas_trsm_small_left_deviceILi12ELi12ELb1E19rocblas_complex_numIdES1_PKS1_PS1_Ev13rocblas_fill_18rocblas_operation_17rocblas_diagonal_iiT3_T4_lilT5_lili
		.amdhsa_group_segment_fixed_size 2304
		.amdhsa_private_segment_fixed_size 208
		.amdhsa_kernarg_size 368
		.amdhsa_user_sgpr_count 6
		.amdhsa_user_sgpr_private_segment_buffer 1
		.amdhsa_user_sgpr_dispatch_ptr 0
		.amdhsa_user_sgpr_queue_ptr 0
		.amdhsa_user_sgpr_kernarg_segment_ptr 1
		.amdhsa_user_sgpr_dispatch_id 0
		.amdhsa_user_sgpr_flat_scratch_init 0
		.amdhsa_user_sgpr_private_segment_size 0
		.amdhsa_uses_dynamic_stack 0
		.amdhsa_system_sgpr_private_segment_wavefront_offset 1
		.amdhsa_system_sgpr_workgroup_id_x 1
		.amdhsa_system_sgpr_workgroup_id_y 0
		.amdhsa_system_sgpr_workgroup_id_z 1
		.amdhsa_system_sgpr_workgroup_info 0
		.amdhsa_system_vgpr_workitem_id 0
		.amdhsa_next_free_vgpr 33
		.amdhsa_next_free_sgpr 77
		.amdhsa_reserve_vcc 1
		.amdhsa_reserve_flat_scratch 0
		.amdhsa_float_round_mode_32 0
		.amdhsa_float_round_mode_16_64 0
		.amdhsa_float_denorm_mode_32 3
		.amdhsa_float_denorm_mode_16_64 3
		.amdhsa_dx10_clamp 1
		.amdhsa_ieee_mode 1
		.amdhsa_fp16_overflow 0
		.amdhsa_exception_fp_ieee_invalid_op 0
		.amdhsa_exception_fp_denorm_src 0
		.amdhsa_exception_fp_ieee_div_zero 0
		.amdhsa_exception_fp_ieee_overflow 0
		.amdhsa_exception_fp_ieee_underflow 0
		.amdhsa_exception_fp_ieee_inexact 0
		.amdhsa_exception_int_div_zero 0
	.end_amdhsa_kernel
	.section	.text._ZL30rocblas_trsm_small_left_deviceILi12ELi12ELb1E19rocblas_complex_numIdES1_PKS1_PS1_Ev13rocblas_fill_18rocblas_operation_17rocblas_diagonal_iiT3_T4_lilT5_lili,"axG",@progbits,_ZL30rocblas_trsm_small_left_deviceILi12ELi12ELb1E19rocblas_complex_numIdES1_PKS1_PS1_Ev13rocblas_fill_18rocblas_operation_17rocblas_diagonal_iiT3_T4_lilT5_lili,comdat
.Lfunc_end212:
	.size	_ZL30rocblas_trsm_small_left_deviceILi12ELi12ELb1E19rocblas_complex_numIdES1_PKS1_PS1_Ev13rocblas_fill_18rocblas_operation_17rocblas_diagonal_iiT3_T4_lilT5_lili, .Lfunc_end212-_ZL30rocblas_trsm_small_left_deviceILi12ELi12ELb1E19rocblas_complex_numIdES1_PKS1_PS1_Ev13rocblas_fill_18rocblas_operation_17rocblas_diagonal_iiT3_T4_lilT5_lili
                                        ; -- End function
	.set _ZL30rocblas_trsm_small_left_deviceILi12ELi12ELb1E19rocblas_complex_numIdES1_PKS1_PS1_Ev13rocblas_fill_18rocblas_operation_17rocblas_diagonal_iiT3_T4_lilT5_lili.num_vgpr, 21
	.set _ZL30rocblas_trsm_small_left_deviceILi12ELi12ELb1E19rocblas_complex_numIdES1_PKS1_PS1_Ev13rocblas_fill_18rocblas_operation_17rocblas_diagonal_iiT3_T4_lilT5_lili.num_agpr, 0
	.set _ZL30rocblas_trsm_small_left_deviceILi12ELi12ELb1E19rocblas_complex_numIdES1_PKS1_PS1_Ev13rocblas_fill_18rocblas_operation_17rocblas_diagonal_iiT3_T4_lilT5_lili.numbered_sgpr, 37
	.set _ZL30rocblas_trsm_small_left_deviceILi12ELi12ELb1E19rocblas_complex_numIdES1_PKS1_PS1_Ev13rocblas_fill_18rocblas_operation_17rocblas_diagonal_iiT3_T4_lilT5_lili.num_named_barrier, 0
	.set _ZL30rocblas_trsm_small_left_deviceILi12ELi12ELb1E19rocblas_complex_numIdES1_PKS1_PS1_Ev13rocblas_fill_18rocblas_operation_17rocblas_diagonal_iiT3_T4_lilT5_lili.private_seg_size, 208
	.set _ZL30rocblas_trsm_small_left_deviceILi12ELi12ELb1E19rocblas_complex_numIdES1_PKS1_PS1_Ev13rocblas_fill_18rocblas_operation_17rocblas_diagonal_iiT3_T4_lilT5_lili.uses_vcc, 1
	.set _ZL30rocblas_trsm_small_left_deviceILi12ELi12ELb1E19rocblas_complex_numIdES1_PKS1_PS1_Ev13rocblas_fill_18rocblas_operation_17rocblas_diagonal_iiT3_T4_lilT5_lili.uses_flat_scratch, 0
	.set _ZL30rocblas_trsm_small_left_deviceILi12ELi12ELb1E19rocblas_complex_numIdES1_PKS1_PS1_Ev13rocblas_fill_18rocblas_operation_17rocblas_diagonal_iiT3_T4_lilT5_lili.has_dyn_sized_stack, 0
	.set _ZL30rocblas_trsm_small_left_deviceILi12ELi12ELb1E19rocblas_complex_numIdES1_PKS1_PS1_Ev13rocblas_fill_18rocblas_operation_17rocblas_diagonal_iiT3_T4_lilT5_lili.has_recursion, 0
	.set _ZL30rocblas_trsm_small_left_deviceILi12ELi12ELb1E19rocblas_complex_numIdES1_PKS1_PS1_Ev13rocblas_fill_18rocblas_operation_17rocblas_diagonal_iiT3_T4_lilT5_lili.has_indirect_call, 0
	.section	.AMDGPU.csdata,"",@progbits
; Kernel info:
; codeLenInByte = 2952
; TotalNumSgprs: 41
; NumVgprs: 21
; ScratchSize: 208
; MemoryBound: 0
; FloatMode: 240
; IeeeMode: 1
; LDSByteSize: 2304 bytes/workgroup (compile time only)
; SGPRBlocks: 10
; VGPRBlocks: 8
; NumSGPRsForWavesPerEU: 81
; NumVGPRsForWavesPerEU: 33
; Occupancy: 7
; WaveLimiterHint : 0
; COMPUTE_PGM_RSRC2:SCRATCH_EN: 1
; COMPUTE_PGM_RSRC2:USER_SGPR: 6
; COMPUTE_PGM_RSRC2:TRAP_HANDLER: 0
; COMPUTE_PGM_RSRC2:TGID_X_EN: 1
; COMPUTE_PGM_RSRC2:TGID_Y_EN: 0
; COMPUTE_PGM_RSRC2:TGID_Z_EN: 1
; COMPUTE_PGM_RSRC2:TIDIG_COMP_CNT: 0
	.section	.text._ZL31rocblas_trsm_small_right_deviceI19rocblas_complex_numIdES1_PKS1_PS1_Li12EEv13rocblas_fill_18rocblas_operation_17rocblas_diagonal_iiT0_T1_lilT2_lili,"axG",@progbits,_ZL31rocblas_trsm_small_right_deviceI19rocblas_complex_numIdES1_PKS1_PS1_Li12EEv13rocblas_fill_18rocblas_operation_17rocblas_diagonal_iiT0_T1_lilT2_lili,comdat
	.globl	_ZL31rocblas_trsm_small_right_deviceI19rocblas_complex_numIdES1_PKS1_PS1_Li12EEv13rocblas_fill_18rocblas_operation_17rocblas_diagonal_iiT0_T1_lilT2_lili ; -- Begin function _ZL31rocblas_trsm_small_right_deviceI19rocblas_complex_numIdES1_PKS1_PS1_Li12EEv13rocblas_fill_18rocblas_operation_17rocblas_diagonal_iiT0_T1_lilT2_lili
	.p2align	8
	.type	_ZL31rocblas_trsm_small_right_deviceI19rocblas_complex_numIdES1_PKS1_PS1_Li12EEv13rocblas_fill_18rocblas_operation_17rocblas_diagonal_iiT0_T1_lilT2_lili,@function
_ZL31rocblas_trsm_small_right_deviceI19rocblas_complex_numIdES1_PKS1_PS1_Li12EEv13rocblas_fill_18rocblas_operation_17rocblas_diagonal_iiT0_T1_lilT2_lili: ; @_ZL31rocblas_trsm_small_right_deviceI19rocblas_complex_numIdES1_PKS1_PS1_Li12EEv13rocblas_fill_18rocblas_operation_17rocblas_diagonal_iiT0_T1_lilT2_lili
; %bb.0:
	s_load_dwordx4 s[16:19], s[4:5], 0x0
	s_load_dword s24, s[4:5], 0x10
	s_load_dwordx8 s[8:15], s[4:5], 0x18
	s_load_dwordx2 s[20:21], s[4:5], 0x50
	s_load_dwordx4 s[0:3], s[4:5], 0x40
	s_waitcnt lgkmcnt(0)
	s_min_i32 s25, s24, 12
	v_cmp_gt_i32_e32 vcc, s25, v0
	s_and_saveexec_b64 s[22:23], vcc
	s_cbranch_execz .LBB213_5
; %bb.1:
	s_load_dword s26, s[4:5], 0x38
	s_mul_i32 s1, s1, s7
	s_mul_hi_u32 s28, s0, s7
	s_mul_i32 s0, s0, s7
	v_lshlrev_b32_e32 v3, 4, v0
	s_waitcnt lgkmcnt(0)
	s_ashr_i32 s27, s26, 31
	s_cmpk_eq_i32 s17, 0x71
	s_cselect_b64 vcc, -1, 0
	s_add_i32 s1, s28, s1
	s_lshl_b64 s[0:1], s[0:1], 4
	s_lshl_b64 s[14:15], s[14:15], 4
	s_add_u32 s0, s0, s14
	s_addc_u32 s1, s1, s15
	s_add_u32 s0, s12, s0
	s_addc_u32 s1, s13, s1
	v_mov_b32_e32 v1, s1
	v_add_co_u32_e64 v2, s[0:1], s0, v3
	v_addc_co_u32_e64 v4, s[0:1], 0, v1, s[0:1]
	v_add_co_u32_e64 v1, s[0:1], 8, v2
	s_lshl_b64 s[12:13], s[26:27], 4
	v_addc_co_u32_e64 v2, s[0:1], 0, v4, s[0:1]
	v_mov_b32_e32 v4, s13
	v_mov_b32_e32 v5, v3
	s_mov_b32 s13, s25
.LBB213_2:                              ; =>This Inner Loop Header: Depth=1
	global_load_dwordx4 v[6:9], v[1:2], off offset:-8
	s_add_i32 s13, s13, -1
	v_add_co_u32_e64 v1, s[0:1], s12, v1
	v_addc_co_u32_e64 v2, s[0:1], v2, v4, s[0:1]
	s_cmp_eq_u32 s13, 0
	s_waitcnt vmcnt(0)
	v_xor_b32_e32 v10, 0x80000000, v9
	v_cndmask_b32_e32 v9, v9, v10, vcc
	ds_write_b128 v5, v[6:9]
	v_add_u32_e32 v5, 0xc0, v5
	s_cbranch_scc0 .LBB213_2
; %bb.3:
	s_cmpk_eq_i32 s18, 0x84
	s_cbranch_scc0 .LBB213_5
; %bb.4:
	s_movk_i32 s0, 0xc0
	v_mov_b32_e32 v1, 0
	v_mad_u32_u24 v5, v0, s0, v3
	v_mov_b32_e32 v2, 0x3ff00000
	v_mov_b32_e32 v3, v1
	;; [unrolled: 1-line block ×3, first 2 shown]
	ds_write_b128 v5, v[1:4]
.LBB213_5:
	s_or_b64 exec, exec, s[22:23]
	s_load_dword s0, s[4:5], 0x70
	s_load_dwordx2 s[14:15], s[4:5], 0x60
	s_load_dword s12, s[4:5], 0x58
	s_mul_hi_i32 s18, s6, 0xc0
	s_waitcnt lgkmcnt(0)
	s_add_i32 s0, s0, -1
	s_mul_i32 s1, s15, s7
	s_mul_hi_u32 s5, s14, s7
	s_add_i32 s5, s5, s1
	s_mul_i32 s1, s6, -12
	s_add_i32 s1, s19, s1
	s_cmp_ge_u32 s6, s0
	s_cselect_b32 s0, s1, 12
	s_mul_i32 s4, s14, s7
	s_mul_i32 s19, s6, 0xc0
	v_cmp_gt_i32_e64 s[0:1], s0, v0
	s_and_saveexec_b64 s[6:7], s[0:1]
	s_cbranch_execz .LBB213_9
; %bb.6:
	s_cmp_lt_i32 s24, 1
	s_cbranch_scc1 .LBB213_9
; %bb.7:
	s_ashr_i32 s13, s12, 31
	s_lshl_b64 s[14:15], s[4:5], 4
	s_add_u32 s22, s14, s19
	s_addc_u32 s23, s15, s18
	s_lshl_b64 s[14:15], s[20:21], 4
	s_add_u32 s14, s22, s14
	s_addc_u32 s15, s23, s15
	s_add_u32 s14, s2, s14
	v_lshlrev_b32_e32 v3, 4, v0
	s_addc_u32 s15, s3, s15
	v_mov_b32_e32 v1, s15
	v_add_co_u32_e32 v2, vcc, s14, v3
	v_addc_co_u32_e32 v4, vcc, 0, v1, vcc
	v_add_co_u32_e32 v1, vcc, 8, v2
	s_lshl_b64 s[14:15], s[12:13], 4
	v_addc_co_u32_e32 v2, vcc, 0, v4, vcc
	v_or_b32_e32 v3, 0x900, v3
	v_mov_b32_e32 v4, s15
	s_mov_b32 s13, s24
.LBB213_8:                              ; =>This Inner Loop Header: Depth=1
	global_load_dwordx4 v[5:8], v[1:2], off offset:-8
	s_add_i32 s13, s13, -1
	v_add_co_u32_e32 v1, vcc, s14, v1
	v_addc_co_u32_e32 v2, vcc, v2, v4, vcc
	s_cmp_lg_u32 s13, 0
	s_waitcnt vmcnt(0)
	v_mul_f64 v[9:10], s[10:11], v[7:8]
	v_mul_f64 v[11:12], s[8:9], v[7:8]
	v_fma_f64 v[7:8], s[8:9], v[5:6], -v[9:10]
	v_fma_f64 v[9:10], s[10:11], v[5:6], v[11:12]
	ds_write_b128 v3, v[7:10]
	v_add_u32_e32 v3, 0xc0, v3
	s_cbranch_scc1 .LBB213_8
.LBB213_9:
	s_or_b64 exec, exec, s[6:7]
	s_cmpk_eq_i32 s17, 0x6f
	s_cselect_b64 s[6:7], -1, 0
	s_cmpk_lg_i32 s16, 0x79
	s_cselect_b64 s[8:9], -1, 0
	s_cmpk_eq_i32 s16, 0x79
	s_cselect_b64 s[10:11], -1, 0
	s_and_b64 s[10:11], s[10:11], s[6:7]
	s_andn2_b64 vcc, exec, s[10:11]
	s_mov_b64 s[10:11], -1
	s_waitcnt lgkmcnt(0)
	; wave barrier
	s_cbranch_vccz .LBB213_110
; %bb.10:
	s_cmpk_lg_i32 s16, 0x7a
	s_cselect_b64 s[14:15], -1, 0
	s_xor_b64 s[6:7], s[6:7], -1
	s_add_i32 s13, s25, -1
	s_or_b64 s[14:15], s[14:15], s[6:7]
	v_mov_b32_e32 v1, 0x900
	s_cmp_gt_i32 s24, 3
	v_lshl_or_b32 v25, v0, 4, v1
	s_cselect_b64 s[6:7], -1, 0
	s_and_b64 vcc, exec, s[14:15]
	s_cbranch_vccz .LBB213_77
; %bb.11:
	s_andn2_b64 vcc, exec, s[8:9]
	s_mov_b64 s[8:9], -1
	s_cbranch_vccnz .LBB213_44
; %bb.12:
	s_andn2_b64 vcc, exec, s[6:7]
	s_mov_b32 s14, 0
	s_cbranch_vccnz .LBB213_34
; %bb.13:
	v_mov_b32_e32 v1, 0x900
	v_lshl_or_b32 v26, v0, 4, v1
	s_mov_b32 s10, 0
	s_mov_b32 s11, 0
.LBB213_14:                             ; =>This Loop Header: Depth=1
                                        ;     Child Loop BB213_15 Depth 2
	s_or_b32 s9, s11, 3
	s_mul_i32 s8, s11, 0xc0
	v_add_u32_e32 v28, s8, v25
	s_mulk_i32 s9, 0xc0
	ds_read_b128 v[17:20], v28
	ds_read_b128 v[13:16], v28 offset:192
	v_add_u32_e32 v27, s9, v25
	ds_read_b128 v[5:8], v28 offset:384
	ds_read_b128 v[1:4], v27
	s_cmp_eq_u32 s11, 0
	v_mov_b32_e32 v9, v26
	s_mov_b32 s9, s10
	s_mov_b32 s14, s11
	s_cbranch_scc1 .LBB213_16
.LBB213_15:                             ;   Parent Loop BB213_14 Depth=1
                                        ; =>  This Inner Loop Header: Depth=2
	v_mov_b32_e32 v10, s9
	ds_read_b128 v[21:24], v9
	ds_read_b128 v[29:32], v10
	ds_read_b128 v[33:36], v10 offset:16
	ds_read_b128 v[37:40], v10 offset:32
	;; [unrolled: 1-line block ×3, first 2 shown]
	s_add_i32 s14, s14, -1
	s_addk_i32 s9, 0xc0
	s_cmp_eq_u32 s14, 0
	s_waitcnt lgkmcnt(3)
	v_mul_f64 v[10:11], v[23:24], v[31:32]
	v_mul_f64 v[31:32], v[21:22], v[31:32]
	s_waitcnt lgkmcnt(2)
	v_mul_f64 v[45:46], v[23:24], v[35:36]
	v_mul_f64 v[35:36], v[21:22], v[35:36]
	;; [unrolled: 3-line block ×4, first 2 shown]
	v_fma_f64 v[10:11], v[21:22], v[29:30], -v[10:11]
	v_fma_f64 v[29:30], v[23:24], v[29:30], v[31:32]
	v_fma_f64 v[31:32], v[21:22], v[33:34], -v[45:46]
	v_fma_f64 v[33:34], v[23:24], v[33:34], v[35:36]
	;; [unrolled: 2-line block ×4, first 2 shown]
	v_add_f64 v[17:18], v[17:18], -v[10:11]
	v_add_f64 v[19:20], v[19:20], -v[29:30]
	;; [unrolled: 1-line block ×8, first 2 shown]
	v_add_u32_e32 v9, 0xc0, v9
	s_cbranch_scc0 .LBB213_15
.LBB213_16:                             ;   in Loop: Header=BB213_14 Depth=1
	s_lshl_b32 s14, s11, 4
	s_add_i32 s15, s14, s8
	v_mov_b32_e32 v9, s15
	ds_read_b128 v[21:24], v9
	s_mov_b64 s[8:9], -1
                                        ; implicit-def: $vgpr11_vgpr12
	s_waitcnt lgkmcnt(0)
	v_cmp_ngt_f64_e64 s[16:17], |v[21:22]|, |v[23:24]|
	s_and_b64 vcc, exec, s[16:17]
	s_cbranch_vccz .LBB213_18
; %bb.17:                               ;   in Loop: Header=BB213_14 Depth=1
	v_div_scale_f64 v[9:10], s[8:9], v[23:24], v[23:24], v[21:22]
	v_rcp_f64_e32 v[11:12], v[9:10]
	v_fma_f64 v[29:30], -v[9:10], v[11:12], 1.0
	v_fma_f64 v[11:12], v[11:12], v[29:30], v[11:12]
	v_div_scale_f64 v[29:30], vcc, v[21:22], v[23:24], v[21:22]
	v_fma_f64 v[31:32], -v[9:10], v[11:12], 1.0
	v_fma_f64 v[11:12], v[11:12], v[31:32], v[11:12]
	v_mul_f64 v[31:32], v[29:30], v[11:12]
	v_fma_f64 v[9:10], -v[9:10], v[31:32], v[29:30]
	v_div_fmas_f64 v[9:10], v[9:10], v[11:12], v[31:32]
	v_div_fixup_f64 v[9:10], v[9:10], v[23:24], v[21:22]
	v_fma_f64 v[11:12], v[21:22], v[9:10], v[23:24]
	v_div_scale_f64 v[29:30], s[8:9], v[11:12], v[11:12], 1.0
	s_mov_b64 s[8:9], 0
	v_rcp_f64_e32 v[31:32], v[29:30]
	v_fma_f64 v[33:34], -v[29:30], v[31:32], 1.0
	v_fma_f64 v[31:32], v[31:32], v[33:34], v[31:32]
	v_div_scale_f64 v[33:34], vcc, 1.0, v[11:12], 1.0
	v_fma_f64 v[35:36], -v[29:30], v[31:32], 1.0
	v_fma_f64 v[31:32], v[31:32], v[35:36], v[31:32]
	v_mul_f64 v[35:36], v[33:34], v[31:32]
	v_fma_f64 v[29:30], -v[29:30], v[35:36], v[33:34]
	v_div_fmas_f64 v[29:30], v[29:30], v[31:32], v[35:36]
	v_fma_f64 v[31:32], v[17:18], v[9:10], v[19:20]
	v_div_fixup_f64 v[11:12], v[29:30], v[11:12], 1.0
	v_fma_f64 v[29:30], v[19:20], v[9:10], -v[17:18]
	v_mul_f64 v[9:10], v[31:32], v[11:12]
	v_mul_f64 v[11:12], v[29:30], v[11:12]
.LBB213_18:                             ;   in Loop: Header=BB213_14 Depth=1
	s_andn2_b64 vcc, exec, s[8:9]
	s_cbranch_vccnz .LBB213_20
; %bb.19:                               ;   in Loop: Header=BB213_14 Depth=1
	v_div_scale_f64 v[9:10], s[8:9], v[21:22], v[21:22], v[23:24]
	v_rcp_f64_e32 v[11:12], v[9:10]
	v_fma_f64 v[29:30], -v[9:10], v[11:12], 1.0
	v_fma_f64 v[11:12], v[11:12], v[29:30], v[11:12]
	v_div_scale_f64 v[29:30], vcc, v[23:24], v[21:22], v[23:24]
	v_fma_f64 v[31:32], -v[9:10], v[11:12], 1.0
	v_fma_f64 v[11:12], v[11:12], v[31:32], v[11:12]
	v_mul_f64 v[31:32], v[29:30], v[11:12]
	v_fma_f64 v[9:10], -v[9:10], v[31:32], v[29:30]
	v_div_fmas_f64 v[9:10], v[9:10], v[11:12], v[31:32]
	v_div_fixup_f64 v[9:10], v[9:10], v[21:22], v[23:24]
	v_fma_f64 v[11:12], v[23:24], v[9:10], v[21:22]
	v_div_scale_f64 v[21:22], s[8:9], v[11:12], v[11:12], 1.0
	v_rcp_f64_e32 v[23:24], v[21:22]
	v_fma_f64 v[29:30], -v[21:22], v[23:24], 1.0
	v_fma_f64 v[23:24], v[23:24], v[29:30], v[23:24]
	v_div_scale_f64 v[29:30], vcc, 1.0, v[11:12], 1.0
	v_fma_f64 v[31:32], -v[21:22], v[23:24], 1.0
	v_fma_f64 v[23:24], v[23:24], v[31:32], v[23:24]
	v_mul_f64 v[31:32], v[29:30], v[23:24]
	v_fma_f64 v[21:22], -v[21:22], v[31:32], v[29:30]
	v_div_fmas_f64 v[21:22], v[21:22], v[23:24], v[31:32]
	v_fma_f64 v[23:24], v[19:20], v[9:10], v[17:18]
	v_fma_f64 v[17:18], -v[17:18], v[9:10], v[19:20]
	v_div_fixup_f64 v[11:12], v[21:22], v[11:12], 1.0
	v_mul_f64 v[9:10], v[23:24], v[11:12]
	v_mul_f64 v[11:12], v[17:18], v[11:12]
.LBB213_20:                             ;   in Loop: Header=BB213_14 Depth=1
	v_mov_b32_e32 v17, s15
	ds_read_b128 v[21:24], v17 offset:16
	ds_read_b128 v[17:20], v17 offset:208
	s_mov_b64 s[8:9], -1
	ds_write_b128 v28, v[9:12]
	s_waitcnt lgkmcnt(2)
	v_mul_f64 v[29:30], v[11:12], v[23:24]
	v_mul_f64 v[23:24], v[9:10], v[23:24]
	s_waitcnt lgkmcnt(1)
	v_cmp_ngt_f64_e64 s[16:17], |v[17:18]|, |v[19:20]|
	v_fma_f64 v[29:30], v[9:10], v[21:22], -v[29:30]
	v_fma_f64 v[23:24], v[11:12], v[21:22], v[23:24]
	s_and_b64 vcc, exec, s[16:17]
	v_add_f64 v[21:22], v[13:14], -v[29:30]
	v_add_f64 v[23:24], v[15:16], -v[23:24]
                                        ; implicit-def: $vgpr15_vgpr16
	s_cbranch_vccz .LBB213_22
; %bb.21:                               ;   in Loop: Header=BB213_14 Depth=1
	v_div_scale_f64 v[13:14], s[8:9], v[19:20], v[19:20], v[17:18]
	v_rcp_f64_e32 v[15:16], v[13:14]
	v_fma_f64 v[29:30], -v[13:14], v[15:16], 1.0
	v_fma_f64 v[15:16], v[15:16], v[29:30], v[15:16]
	v_div_scale_f64 v[29:30], vcc, v[17:18], v[19:20], v[17:18]
	v_fma_f64 v[31:32], -v[13:14], v[15:16], 1.0
	v_fma_f64 v[15:16], v[15:16], v[31:32], v[15:16]
	v_mul_f64 v[31:32], v[29:30], v[15:16]
	v_fma_f64 v[13:14], -v[13:14], v[31:32], v[29:30]
	v_div_fmas_f64 v[13:14], v[13:14], v[15:16], v[31:32]
	v_div_fixup_f64 v[13:14], v[13:14], v[19:20], v[17:18]
	v_fma_f64 v[15:16], v[17:18], v[13:14], v[19:20]
	v_div_scale_f64 v[29:30], s[8:9], v[15:16], v[15:16], 1.0
	s_mov_b64 s[8:9], 0
	v_rcp_f64_e32 v[31:32], v[29:30]
	v_fma_f64 v[33:34], -v[29:30], v[31:32], 1.0
	v_fma_f64 v[31:32], v[31:32], v[33:34], v[31:32]
	v_div_scale_f64 v[33:34], vcc, 1.0, v[15:16], 1.0
	v_fma_f64 v[35:36], -v[29:30], v[31:32], 1.0
	v_fma_f64 v[31:32], v[31:32], v[35:36], v[31:32]
	v_mul_f64 v[35:36], v[33:34], v[31:32]
	v_fma_f64 v[29:30], -v[29:30], v[35:36], v[33:34]
	v_div_fmas_f64 v[29:30], v[29:30], v[31:32], v[35:36]
	v_fma_f64 v[31:32], v[13:14], v[21:22], v[23:24]
	v_div_fixup_f64 v[15:16], v[29:30], v[15:16], 1.0
	v_fma_f64 v[29:30], v[13:14], v[23:24], -v[21:22]
	v_mul_f64 v[13:14], v[31:32], v[15:16]
	v_mul_f64 v[15:16], v[29:30], v[15:16]
.LBB213_22:                             ;   in Loop: Header=BB213_14 Depth=1
	s_andn2_b64 vcc, exec, s[8:9]
	s_cbranch_vccnz .LBB213_24
; %bb.23:                               ;   in Loop: Header=BB213_14 Depth=1
	v_div_scale_f64 v[13:14], s[8:9], v[17:18], v[17:18], v[19:20]
	v_rcp_f64_e32 v[15:16], v[13:14]
	v_fma_f64 v[29:30], -v[13:14], v[15:16], 1.0
	v_fma_f64 v[15:16], v[15:16], v[29:30], v[15:16]
	v_div_scale_f64 v[29:30], vcc, v[19:20], v[17:18], v[19:20]
	v_fma_f64 v[31:32], -v[13:14], v[15:16], 1.0
	v_fma_f64 v[15:16], v[15:16], v[31:32], v[15:16]
	v_mul_f64 v[31:32], v[29:30], v[15:16]
	v_fma_f64 v[13:14], -v[13:14], v[31:32], v[29:30]
	v_div_fmas_f64 v[13:14], v[13:14], v[15:16], v[31:32]
	v_div_fixup_f64 v[13:14], v[13:14], v[17:18], v[19:20]
	v_fma_f64 v[15:16], v[19:20], v[13:14], v[17:18]
	v_div_scale_f64 v[17:18], s[8:9], v[15:16], v[15:16], 1.0
	v_rcp_f64_e32 v[19:20], v[17:18]
	v_fma_f64 v[29:30], -v[17:18], v[19:20], 1.0
	v_fma_f64 v[19:20], v[19:20], v[29:30], v[19:20]
	v_div_scale_f64 v[29:30], vcc, 1.0, v[15:16], 1.0
	v_fma_f64 v[31:32], -v[17:18], v[19:20], 1.0
	v_fma_f64 v[19:20], v[19:20], v[31:32], v[19:20]
	v_mul_f64 v[31:32], v[29:30], v[19:20]
	v_fma_f64 v[17:18], -v[17:18], v[31:32], v[29:30]
	v_div_fmas_f64 v[17:18], v[17:18], v[19:20], v[31:32]
	v_fma_f64 v[19:20], v[13:14], v[23:24], v[21:22]
	v_div_fixup_f64 v[15:16], v[17:18], v[15:16], 1.0
	v_fma_f64 v[17:18], -v[13:14], v[21:22], v[23:24]
	v_mul_f64 v[13:14], v[19:20], v[15:16]
	v_mul_f64 v[15:16], v[17:18], v[15:16]
.LBB213_24:                             ;   in Loop: Header=BB213_14 Depth=1
	v_mov_b32_e32 v21, s15
	ds_read_b128 v[17:20], v21 offset:32
	s_add_i32 s16, s15, 0xd0
	s_or_b32 s8, s14, 16
	s_sub_i32 s17, s16, s8
	s_add_i32 s17, s17, s14
	v_mov_b32_e32 v29, s17
	ds_read_b128 v[29:32], v29 offset:32
	s_waitcnt lgkmcnt(1)
	v_mul_f64 v[33:34], v[11:12], v[19:20]
	v_mul_f64 v[19:20], v[9:10], v[19:20]
	ds_read_b128 v[21:24], v21 offset:416
	s_mov_b64 s[8:9], -1
	s_waitcnt lgkmcnt(1)
	v_mul_f64 v[35:36], v[15:16], v[31:32]
	v_mul_f64 v[31:32], v[13:14], v[31:32]
	ds_write_b128 v28, v[13:16] offset:192
	s_waitcnt lgkmcnt(1)
	v_cmp_ngt_f64_e64 s[22:23], |v[21:22]|, |v[23:24]|
	v_fma_f64 v[33:34], v[9:10], v[17:18], -v[33:34]
	v_fma_f64 v[17:18], v[11:12], v[17:18], v[19:20]
	v_fma_f64 v[19:20], v[13:14], v[29:30], -v[35:36]
	v_fma_f64 v[29:30], v[15:16], v[29:30], v[31:32]
	s_and_b64 vcc, exec, s[22:23]
	v_add_f64 v[5:6], v[5:6], -v[33:34]
	v_add_f64 v[7:8], v[7:8], -v[17:18]
	;; [unrolled: 1-line block ×4, first 2 shown]
                                        ; implicit-def: $vgpr19_vgpr20
	s_cbranch_vccz .LBB213_26
; %bb.25:                               ;   in Loop: Header=BB213_14 Depth=1
	v_div_scale_f64 v[17:18], s[8:9], v[23:24], v[23:24], v[21:22]
	v_rcp_f64_e32 v[19:20], v[17:18]
	v_fma_f64 v[29:30], -v[17:18], v[19:20], 1.0
	v_fma_f64 v[19:20], v[19:20], v[29:30], v[19:20]
	v_div_scale_f64 v[29:30], vcc, v[21:22], v[23:24], v[21:22]
	v_fma_f64 v[31:32], -v[17:18], v[19:20], 1.0
	v_fma_f64 v[19:20], v[19:20], v[31:32], v[19:20]
	v_mul_f64 v[31:32], v[29:30], v[19:20]
	v_fma_f64 v[17:18], -v[17:18], v[31:32], v[29:30]
	v_div_fmas_f64 v[17:18], v[17:18], v[19:20], v[31:32]
	v_div_fixup_f64 v[17:18], v[17:18], v[23:24], v[21:22]
	v_fma_f64 v[19:20], v[21:22], v[17:18], v[23:24]
	v_div_scale_f64 v[29:30], s[8:9], v[19:20], v[19:20], 1.0
	s_mov_b64 s[8:9], 0
	v_rcp_f64_e32 v[31:32], v[29:30]
	v_fma_f64 v[33:34], -v[29:30], v[31:32], 1.0
	v_fma_f64 v[31:32], v[31:32], v[33:34], v[31:32]
	v_div_scale_f64 v[33:34], vcc, 1.0, v[19:20], 1.0
	v_fma_f64 v[35:36], -v[29:30], v[31:32], 1.0
	v_fma_f64 v[31:32], v[31:32], v[35:36], v[31:32]
	v_mul_f64 v[35:36], v[33:34], v[31:32]
	v_fma_f64 v[29:30], -v[29:30], v[35:36], v[33:34]
	v_div_fmas_f64 v[29:30], v[29:30], v[31:32], v[35:36]
	v_fma_f64 v[31:32], v[17:18], v[5:6], v[7:8]
	v_div_fixup_f64 v[19:20], v[29:30], v[19:20], 1.0
	v_fma_f64 v[29:30], v[17:18], v[7:8], -v[5:6]
	v_mul_f64 v[17:18], v[31:32], v[19:20]
	v_mul_f64 v[19:20], v[29:30], v[19:20]
.LBB213_26:                             ;   in Loop: Header=BB213_14 Depth=1
	s_andn2_b64 vcc, exec, s[8:9]
	s_cbranch_vccnz .LBB213_28
; %bb.27:                               ;   in Loop: Header=BB213_14 Depth=1
	v_div_scale_f64 v[17:18], s[8:9], v[21:22], v[21:22], v[23:24]
	v_rcp_f64_e32 v[19:20], v[17:18]
	v_fma_f64 v[29:30], -v[17:18], v[19:20], 1.0
	v_fma_f64 v[19:20], v[19:20], v[29:30], v[19:20]
	v_div_scale_f64 v[29:30], vcc, v[23:24], v[21:22], v[23:24]
	v_fma_f64 v[31:32], -v[17:18], v[19:20], 1.0
	v_fma_f64 v[19:20], v[19:20], v[31:32], v[19:20]
	v_mul_f64 v[31:32], v[29:30], v[19:20]
	v_fma_f64 v[17:18], -v[17:18], v[31:32], v[29:30]
	v_div_fmas_f64 v[17:18], v[17:18], v[19:20], v[31:32]
	v_div_fixup_f64 v[17:18], v[17:18], v[21:22], v[23:24]
	v_fma_f64 v[19:20], v[23:24], v[17:18], v[21:22]
	v_div_scale_f64 v[21:22], s[8:9], v[19:20], v[19:20], 1.0
	v_rcp_f64_e32 v[23:24], v[21:22]
	v_fma_f64 v[29:30], -v[21:22], v[23:24], 1.0
	v_fma_f64 v[23:24], v[23:24], v[29:30], v[23:24]
	v_div_scale_f64 v[29:30], vcc, 1.0, v[19:20], 1.0
	v_fma_f64 v[31:32], -v[21:22], v[23:24], 1.0
	v_fma_f64 v[23:24], v[23:24], v[31:32], v[23:24]
	v_mul_f64 v[31:32], v[29:30], v[23:24]
	v_fma_f64 v[21:22], -v[21:22], v[31:32], v[29:30]
	v_div_fmas_f64 v[21:22], v[21:22], v[23:24], v[31:32]
	v_fma_f64 v[23:24], v[17:18], v[7:8], v[5:6]
	v_fma_f64 v[5:6], -v[17:18], v[5:6], v[7:8]
	v_div_fixup_f64 v[19:20], v[21:22], v[19:20], 1.0
	v_mul_f64 v[17:18], v[23:24], v[19:20]
	v_mul_f64 v[19:20], v[5:6], v[19:20]
.LBB213_28:                             ;   in Loop: Header=BB213_14 Depth=1
	v_mov_b32_e32 v5, s15
	ds_read_b128 v[21:24], v5 offset:48
	v_mov_b32_e32 v6, s17
	ds_read_b128 v[29:32], v6 offset:48
	ds_read_b128 v[5:8], v5 offset:624
	s_or_b32 s8, s14, 32
	s_sub_i32 s8, s16, s8
	s_waitcnt lgkmcnt(2)
	v_mul_f64 v[37:38], v[11:12], v[23:24]
	v_mul_f64 v[23:24], v[9:10], v[23:24]
	s_waitcnt lgkmcnt(1)
	v_mul_f64 v[39:40], v[15:16], v[31:32]
	v_mul_f64 v[31:32], v[13:14], v[31:32]
	s_add_i32 s8, s8, s14
	v_mov_b32_e32 v33, s8
	ds_read_b128 v[33:36], v33 offset:256
	s_waitcnt lgkmcnt(1)
	v_cmp_ngt_f64_e64 s[14:15], |v[5:6]|, |v[7:8]|
	v_fma_f64 v[9:10], v[9:10], v[21:22], -v[37:38]
	v_fma_f64 v[11:12], v[11:12], v[21:22], v[23:24]
	v_fma_f64 v[13:14], v[13:14], v[29:30], -v[39:40]
	s_waitcnt lgkmcnt(0)
	v_mul_f64 v[21:22], v[19:20], v[35:36]
	v_mul_f64 v[23:24], v[17:18], v[35:36]
	v_fma_f64 v[15:16], v[15:16], v[29:30], v[31:32]
	s_mov_b64 s[8:9], -1
	s_and_b64 vcc, exec, s[14:15]
	v_add_f64 v[1:2], v[1:2], -v[9:10]
	v_add_f64 v[3:4], v[3:4], -v[11:12]
	ds_write_b128 v28, v[17:20] offset:384
	v_fma_f64 v[9:10], v[17:18], v[33:34], -v[21:22]
	v_fma_f64 v[11:12], v[19:20], v[33:34], v[23:24]
	v_add_f64 v[1:2], v[1:2], -v[13:14]
	v_add_f64 v[3:4], v[3:4], -v[15:16]
	;; [unrolled: 1-line block ×4, first 2 shown]
                                        ; implicit-def: $vgpr3_vgpr4
	s_cbranch_vccz .LBB213_30
; %bb.29:                               ;   in Loop: Header=BB213_14 Depth=1
	v_div_scale_f64 v[1:2], s[8:9], v[7:8], v[7:8], v[5:6]
	v_rcp_f64_e32 v[3:4], v[1:2]
	v_fma_f64 v[13:14], -v[1:2], v[3:4], 1.0
	v_fma_f64 v[3:4], v[3:4], v[13:14], v[3:4]
	v_div_scale_f64 v[13:14], vcc, v[5:6], v[7:8], v[5:6]
	v_fma_f64 v[15:16], -v[1:2], v[3:4], 1.0
	v_fma_f64 v[3:4], v[3:4], v[15:16], v[3:4]
	v_mul_f64 v[15:16], v[13:14], v[3:4]
	v_fma_f64 v[1:2], -v[1:2], v[15:16], v[13:14]
	v_div_fmas_f64 v[1:2], v[1:2], v[3:4], v[15:16]
	v_div_fixup_f64 v[1:2], v[1:2], v[7:8], v[5:6]
	v_fma_f64 v[3:4], v[5:6], v[1:2], v[7:8]
	v_div_scale_f64 v[13:14], s[8:9], v[3:4], v[3:4], 1.0
	s_mov_b64 s[8:9], 0
	v_rcp_f64_e32 v[15:16], v[13:14]
	v_fma_f64 v[17:18], -v[13:14], v[15:16], 1.0
	v_fma_f64 v[15:16], v[15:16], v[17:18], v[15:16]
	v_div_scale_f64 v[17:18], vcc, 1.0, v[3:4], 1.0
	v_fma_f64 v[19:20], -v[13:14], v[15:16], 1.0
	v_fma_f64 v[15:16], v[15:16], v[19:20], v[15:16]
	v_mul_f64 v[19:20], v[17:18], v[15:16]
	v_fma_f64 v[13:14], -v[13:14], v[19:20], v[17:18]
	v_div_fmas_f64 v[13:14], v[13:14], v[15:16], v[19:20]
	v_fma_f64 v[15:16], v[1:2], v[9:10], v[11:12]
	v_div_fixup_f64 v[3:4], v[13:14], v[3:4], 1.0
	v_fma_f64 v[13:14], v[1:2], v[11:12], -v[9:10]
	v_mul_f64 v[1:2], v[15:16], v[3:4]
	v_mul_f64 v[3:4], v[13:14], v[3:4]
.LBB213_30:                             ;   in Loop: Header=BB213_14 Depth=1
	s_andn2_b64 vcc, exec, s[8:9]
	s_cbranch_vccnz .LBB213_32
; %bb.31:                               ;   in Loop: Header=BB213_14 Depth=1
	v_div_scale_f64 v[1:2], s[8:9], v[5:6], v[5:6], v[7:8]
	v_rcp_f64_e32 v[3:4], v[1:2]
	v_fma_f64 v[13:14], -v[1:2], v[3:4], 1.0
	v_fma_f64 v[3:4], v[3:4], v[13:14], v[3:4]
	v_div_scale_f64 v[13:14], vcc, v[7:8], v[5:6], v[7:8]
	v_fma_f64 v[15:16], -v[1:2], v[3:4], 1.0
	v_fma_f64 v[3:4], v[3:4], v[15:16], v[3:4]
	v_mul_f64 v[15:16], v[13:14], v[3:4]
	v_fma_f64 v[1:2], -v[1:2], v[15:16], v[13:14]
	v_div_fmas_f64 v[1:2], v[1:2], v[3:4], v[15:16]
	v_div_fixup_f64 v[1:2], v[1:2], v[5:6], v[7:8]
	v_fma_f64 v[3:4], v[7:8], v[1:2], v[5:6]
	v_div_scale_f64 v[5:6], s[8:9], v[3:4], v[3:4], 1.0
	v_rcp_f64_e32 v[7:8], v[5:6]
	v_fma_f64 v[13:14], -v[5:6], v[7:8], 1.0
	v_fma_f64 v[7:8], v[7:8], v[13:14], v[7:8]
	v_div_scale_f64 v[13:14], vcc, 1.0, v[3:4], 1.0
	v_fma_f64 v[15:16], -v[5:6], v[7:8], 1.0
	v_fma_f64 v[7:8], v[7:8], v[15:16], v[7:8]
	v_mul_f64 v[15:16], v[13:14], v[7:8]
	v_fma_f64 v[5:6], -v[5:6], v[15:16], v[13:14]
	v_div_fmas_f64 v[5:6], v[5:6], v[7:8], v[15:16]
	v_fma_f64 v[7:8], v[1:2], v[11:12], v[9:10]
	v_div_fixup_f64 v[3:4], v[5:6], v[3:4], 1.0
	v_fma_f64 v[5:6], -v[1:2], v[9:10], v[11:12]
	v_mul_f64 v[1:2], v[7:8], v[3:4]
	v_mul_f64 v[3:4], v[5:6], v[3:4]
.LBB213_32:                             ;   in Loop: Header=BB213_14 Depth=1
	s_add_i32 s14, s11, 4
	s_add_i32 s8, s11, 7
	s_add_i32 s10, s10, 64
	s_cmp_ge_i32 s8, s25
	ds_write_b128 v27, v[1:4]
	s_cbranch_scc1 .LBB213_34
; %bb.33:                               ;   in Loop: Header=BB213_14 Depth=1
	s_mov_b32 s11, s14
	s_branch .LBB213_14
.LBB213_34:
	s_cmp_ge_i32 s14, s25
	s_cbranch_scc1 .LBB213_43
; %bb.35:
	v_mov_b32_e32 v1, 0x900
	s_lshl_b32 s10, s14, 4
	v_lshl_or_b32 v13, v0, 4, v1
	s_branch .LBB213_37
.LBB213_36:                             ;   in Loop: Header=BB213_37 Depth=1
	s_add_i32 s14, s14, 1
	s_add_i32 s10, s10, 16
	s_cmp_ge_i32 s14, s25
	ds_write_b128 v14, v[9:12]
	s_cbranch_scc1 .LBB213_43
.LBB213_37:                             ; =>This Loop Header: Depth=1
                                        ;     Child Loop BB213_38 Depth 2
	s_mul_i32 s8, s14, 0xc0
	v_add_u32_e32 v14, s8, v25
	ds_read_b128 v[1:4], v14
	s_cmp_eq_u32 s14, 0
	v_mov_b32_e32 v5, v13
	s_mov_b32 s9, s10
	s_mov_b32 s11, s14
	s_cbranch_scc1 .LBB213_39
.LBB213_38:                             ;   Parent Loop BB213_37 Depth=1
                                        ; =>  This Inner Loop Header: Depth=2
	v_mov_b32_e32 v10, s9
	ds_read_b128 v[6:9], v5
	ds_read_b128 v[15:18], v10
	s_add_i32 s11, s11, -1
	s_addk_i32 s9, 0xc0
	s_cmp_eq_u32 s11, 0
	v_add_u32_e32 v5, 0xc0, v5
	s_waitcnt lgkmcnt(0)
	v_mul_f64 v[10:11], v[17:18], v[8:9]
	v_mul_f64 v[8:9], v[15:16], v[8:9]
	v_fma_f64 v[10:11], v[15:16], v[6:7], -v[10:11]
	v_fma_f64 v[6:7], v[17:18], v[6:7], v[8:9]
	v_add_f64 v[1:2], v[1:2], -v[10:11]
	v_add_f64 v[3:4], v[3:4], -v[6:7]
	s_cbranch_scc0 .LBB213_38
.LBB213_39:                             ;   in Loop: Header=BB213_37 Depth=1
	s_lshl_b32 s9, s14, 4
	s_add_i32 s8, s9, s8
	v_mov_b32_e32 v5, s8
	ds_read_b128 v[5:8], v5
	s_mov_b64 s[8:9], -1
                                        ; implicit-def: $vgpr9_vgpr10
	s_waitcnt lgkmcnt(0)
	v_cmp_ngt_f64_e64 s[16:17], |v[5:6]|, |v[7:8]|
	s_and_b64 vcc, exec, s[16:17]
	s_cbranch_vccz .LBB213_41
; %bb.40:                               ;   in Loop: Header=BB213_37 Depth=1
	v_div_scale_f64 v[9:10], s[8:9], v[7:8], v[7:8], v[5:6]
	v_rcp_f64_e32 v[11:12], v[9:10]
	v_fma_f64 v[15:16], -v[9:10], v[11:12], 1.0
	v_fma_f64 v[11:12], v[11:12], v[15:16], v[11:12]
	v_div_scale_f64 v[15:16], vcc, v[5:6], v[7:8], v[5:6]
	v_fma_f64 v[17:18], -v[9:10], v[11:12], 1.0
	v_fma_f64 v[11:12], v[11:12], v[17:18], v[11:12]
	v_mul_f64 v[17:18], v[15:16], v[11:12]
	v_fma_f64 v[9:10], -v[9:10], v[17:18], v[15:16]
	v_div_fmas_f64 v[9:10], v[9:10], v[11:12], v[17:18]
	v_div_fixup_f64 v[9:10], v[9:10], v[7:8], v[5:6]
	v_fma_f64 v[11:12], v[5:6], v[9:10], v[7:8]
	v_div_scale_f64 v[15:16], s[8:9], v[11:12], v[11:12], 1.0
	s_mov_b64 s[8:9], 0
	v_rcp_f64_e32 v[17:18], v[15:16]
	v_fma_f64 v[19:20], -v[15:16], v[17:18], 1.0
	v_fma_f64 v[17:18], v[17:18], v[19:20], v[17:18]
	v_div_scale_f64 v[19:20], vcc, 1.0, v[11:12], 1.0
	v_fma_f64 v[21:22], -v[15:16], v[17:18], 1.0
	v_fma_f64 v[17:18], v[17:18], v[21:22], v[17:18]
	v_mul_f64 v[21:22], v[19:20], v[17:18]
	v_fma_f64 v[15:16], -v[15:16], v[21:22], v[19:20]
	v_div_fmas_f64 v[15:16], v[15:16], v[17:18], v[21:22]
	v_fma_f64 v[17:18], v[1:2], v[9:10], v[3:4]
	v_div_fixup_f64 v[11:12], v[15:16], v[11:12], 1.0
	v_fma_f64 v[15:16], v[3:4], v[9:10], -v[1:2]
	v_mul_f64 v[9:10], v[17:18], v[11:12]
	v_mul_f64 v[11:12], v[15:16], v[11:12]
.LBB213_41:                             ;   in Loop: Header=BB213_37 Depth=1
	s_andn2_b64 vcc, exec, s[8:9]
	s_cbranch_vccnz .LBB213_36
; %bb.42:                               ;   in Loop: Header=BB213_37 Depth=1
	v_div_scale_f64 v[9:10], s[8:9], v[5:6], v[5:6], v[7:8]
	v_rcp_f64_e32 v[11:12], v[9:10]
	v_fma_f64 v[15:16], -v[9:10], v[11:12], 1.0
	v_fma_f64 v[11:12], v[11:12], v[15:16], v[11:12]
	v_div_scale_f64 v[15:16], vcc, v[7:8], v[5:6], v[7:8]
	v_fma_f64 v[17:18], -v[9:10], v[11:12], 1.0
	v_fma_f64 v[11:12], v[11:12], v[17:18], v[11:12]
	v_mul_f64 v[17:18], v[15:16], v[11:12]
	v_fma_f64 v[9:10], -v[9:10], v[17:18], v[15:16]
	v_div_fmas_f64 v[9:10], v[9:10], v[11:12], v[17:18]
	v_div_fixup_f64 v[9:10], v[9:10], v[5:6], v[7:8]
	v_fma_f64 v[5:6], v[7:8], v[9:10], v[5:6]
	v_div_scale_f64 v[7:8], s[8:9], v[5:6], v[5:6], 1.0
	v_rcp_f64_e32 v[11:12], v[7:8]
	v_fma_f64 v[15:16], -v[7:8], v[11:12], 1.0
	v_fma_f64 v[11:12], v[11:12], v[15:16], v[11:12]
	v_div_scale_f64 v[15:16], vcc, 1.0, v[5:6], 1.0
	v_fma_f64 v[17:18], -v[7:8], v[11:12], 1.0
	v_fma_f64 v[11:12], v[11:12], v[17:18], v[11:12]
	v_mul_f64 v[17:18], v[15:16], v[11:12]
	v_fma_f64 v[7:8], -v[7:8], v[17:18], v[15:16]
	v_div_fmas_f64 v[7:8], v[7:8], v[11:12], v[17:18]
	v_fma_f64 v[11:12], v[3:4], v[9:10], v[1:2]
	v_fma_f64 v[1:2], -v[1:2], v[9:10], v[3:4]
	v_div_fixup_f64 v[5:6], v[7:8], v[5:6], 1.0
	v_mul_f64 v[9:10], v[11:12], v[5:6]
	v_mul_f64 v[11:12], v[1:2], v[5:6]
	s_branch .LBB213_36
.LBB213_43:
	s_mov_b64 s[8:9], 0
.LBB213_44:
	s_and_b64 vcc, exec, s[8:9]
	s_cbranch_vccz .LBB213_76
; %bb.45:
	s_andn2_b64 vcc, exec, s[6:7]
	s_mov_b32 s14, s13
	s_cbranch_vccnz .LBB213_67
; %bb.46:
	s_mul_i32 s8, s25, 0xd0
	s_add_i32 s10, s8, 0xffffff00
	s_mul_i32 s8, s25, 0xc0
	v_lshl_add_u32 v1, v0, 4, s8
	v_add_u32_e32 v26, 0x840, v1
	s_mov_b32 s11, s13
.LBB213_47:                             ; =>This Loop Header: Depth=1
                                        ;     Child Loop BB213_48 Depth 2
	s_mul_i32 s8, s11, 0xc0
	v_add_u32_e32 v30, s8, v25
	v_add_u32_e32 v28, 0xfffffe80, v30
	s_add_i32 s9, s8, 0xfffffdc0
	v_add_u32_e32 v29, 0xffffff40, v30
	ds_read_b128 v[17:20], v30
	ds_read_b128 v[13:16], v29
	v_add_u32_e32 v27, s9, v25
	ds_read_b128 v[5:8], v28
	ds_read_b128 v[1:4], v27
	s_cmp_le_i32 s13, s11
	v_mov_b32_e32 v9, v26
	s_mov_b32 s9, s10
	s_mov_b32 s14, s13
	s_cbranch_scc1 .LBB213_49
.LBB213_48:                             ;   Parent Loop BB213_47 Depth=1
                                        ; =>  This Inner Loop Header: Depth=2
	v_mov_b32_e32 v10, s9
	ds_read_b128 v[21:24], v9
	ds_read_b128 v[31:34], v10 offset:48
	ds_read_b128 v[35:38], v10 offset:32
	ds_read_b128 v[39:42], v10
	ds_read_b128 v[43:46], v10 offset:16
	s_add_i32 s14, s14, -1
	s_addk_i32 s9, 0xff40
	s_cmp_le_i32 s14, s11
	s_waitcnt lgkmcnt(3)
	v_mul_f64 v[10:11], v[23:24], v[33:34]
	v_mul_f64 v[33:34], v[21:22], v[33:34]
	s_waitcnt lgkmcnt(2)
	v_mul_f64 v[47:48], v[23:24], v[37:38]
	v_mul_f64 v[37:38], v[21:22], v[37:38]
	;; [unrolled: 3-line block ×3, first 2 shown]
	v_mul_f64 v[51:52], v[23:24], v[41:42]
	v_mul_f64 v[41:42], v[21:22], v[41:42]
	v_fma_f64 v[10:11], v[21:22], v[31:32], -v[10:11]
	v_fma_f64 v[31:32], v[23:24], v[31:32], v[33:34]
	v_fma_f64 v[33:34], v[21:22], v[35:36], -v[47:48]
	v_fma_f64 v[35:36], v[23:24], v[35:36], v[37:38]
	;; [unrolled: 2-line block ×4, first 2 shown]
	v_add_f64 v[17:18], v[17:18], -v[10:11]
	v_add_f64 v[19:20], v[19:20], -v[31:32]
	;; [unrolled: 1-line block ×8, first 2 shown]
	v_add_u32_e32 v9, 0xffffff40, v9
	s_cbranch_scc0 .LBB213_48
.LBB213_49:                             ;   in Loop: Header=BB213_47 Depth=1
	s_lshl_b32 s15, s11, 4
	s_add_i32 s15, s15, s8
	v_mov_b32_e32 v9, s15
	ds_read_b128 v[21:24], v9
	s_add_i32 s14, s11, -3
	s_mov_b64 s[8:9], -1
                                        ; implicit-def: $vgpr11_vgpr12
	s_waitcnt lgkmcnt(0)
	v_cmp_ngt_f64_e64 s[16:17], |v[21:22]|, |v[23:24]|
	s_and_b64 vcc, exec, s[16:17]
	s_cbranch_vccz .LBB213_51
; %bb.50:                               ;   in Loop: Header=BB213_47 Depth=1
	v_div_scale_f64 v[9:10], s[8:9], v[23:24], v[23:24], v[21:22]
	v_rcp_f64_e32 v[11:12], v[9:10]
	v_fma_f64 v[31:32], -v[9:10], v[11:12], 1.0
	v_fma_f64 v[11:12], v[11:12], v[31:32], v[11:12]
	v_div_scale_f64 v[31:32], vcc, v[21:22], v[23:24], v[21:22]
	v_fma_f64 v[33:34], -v[9:10], v[11:12], 1.0
	v_fma_f64 v[11:12], v[11:12], v[33:34], v[11:12]
	v_mul_f64 v[33:34], v[31:32], v[11:12]
	v_fma_f64 v[9:10], -v[9:10], v[33:34], v[31:32]
	v_div_fmas_f64 v[9:10], v[9:10], v[11:12], v[33:34]
	v_div_fixup_f64 v[9:10], v[9:10], v[23:24], v[21:22]
	v_fma_f64 v[11:12], v[21:22], v[9:10], v[23:24]
	v_div_scale_f64 v[31:32], s[8:9], v[11:12], v[11:12], 1.0
	s_mov_b64 s[8:9], 0
	v_rcp_f64_e32 v[33:34], v[31:32]
	v_fma_f64 v[35:36], -v[31:32], v[33:34], 1.0
	v_fma_f64 v[33:34], v[33:34], v[35:36], v[33:34]
	v_div_scale_f64 v[35:36], vcc, 1.0, v[11:12], 1.0
	v_fma_f64 v[37:38], -v[31:32], v[33:34], 1.0
	v_fma_f64 v[33:34], v[33:34], v[37:38], v[33:34]
	v_mul_f64 v[37:38], v[35:36], v[33:34]
	v_fma_f64 v[31:32], -v[31:32], v[37:38], v[35:36]
	v_div_fmas_f64 v[31:32], v[31:32], v[33:34], v[37:38]
	v_fma_f64 v[33:34], v[17:18], v[9:10], v[19:20]
	v_div_fixup_f64 v[11:12], v[31:32], v[11:12], 1.0
	v_fma_f64 v[31:32], v[19:20], v[9:10], -v[17:18]
	v_mul_f64 v[9:10], v[33:34], v[11:12]
	v_mul_f64 v[11:12], v[31:32], v[11:12]
.LBB213_51:                             ;   in Loop: Header=BB213_47 Depth=1
	s_andn2_b64 vcc, exec, s[8:9]
	s_cbranch_vccnz .LBB213_53
; %bb.52:                               ;   in Loop: Header=BB213_47 Depth=1
	v_div_scale_f64 v[9:10], s[8:9], v[21:22], v[21:22], v[23:24]
	v_rcp_f64_e32 v[11:12], v[9:10]
	v_fma_f64 v[31:32], -v[9:10], v[11:12], 1.0
	v_fma_f64 v[11:12], v[11:12], v[31:32], v[11:12]
	v_div_scale_f64 v[31:32], vcc, v[23:24], v[21:22], v[23:24]
	v_fma_f64 v[33:34], -v[9:10], v[11:12], 1.0
	v_fma_f64 v[11:12], v[11:12], v[33:34], v[11:12]
	v_mul_f64 v[33:34], v[31:32], v[11:12]
	v_fma_f64 v[9:10], -v[9:10], v[33:34], v[31:32]
	v_div_fmas_f64 v[9:10], v[9:10], v[11:12], v[33:34]
	v_div_fixup_f64 v[9:10], v[9:10], v[21:22], v[23:24]
	v_fma_f64 v[11:12], v[23:24], v[9:10], v[21:22]
	v_div_scale_f64 v[21:22], s[8:9], v[11:12], v[11:12], 1.0
	v_rcp_f64_e32 v[23:24], v[21:22]
	v_fma_f64 v[31:32], -v[21:22], v[23:24], 1.0
	v_fma_f64 v[23:24], v[23:24], v[31:32], v[23:24]
	v_div_scale_f64 v[31:32], vcc, 1.0, v[11:12], 1.0
	v_fma_f64 v[33:34], -v[21:22], v[23:24], 1.0
	v_fma_f64 v[23:24], v[23:24], v[33:34], v[23:24]
	v_mul_f64 v[33:34], v[31:32], v[23:24]
	v_fma_f64 v[21:22], -v[21:22], v[33:34], v[31:32]
	v_div_fmas_f64 v[21:22], v[21:22], v[23:24], v[33:34]
	v_fma_f64 v[23:24], v[19:20], v[9:10], v[17:18]
	v_fma_f64 v[17:18], -v[17:18], v[9:10], v[19:20]
	v_div_fixup_f64 v[11:12], v[21:22], v[11:12], 1.0
	v_mul_f64 v[9:10], v[23:24], v[11:12]
	v_mul_f64 v[11:12], v[17:18], v[11:12]
.LBB213_53:                             ;   in Loop: Header=BB213_47 Depth=1
	s_add_i32 s8, s15, -16
	v_mov_b32_e32 v17, s8
	ds_read_b128 v[21:24], v17
	s_add_i32 s16, s15, 0xffffff30
	v_mov_b32_e32 v17, s16
	ds_read_b128 v[17:20], v17
	s_mov_b64 s[8:9], -1
	s_waitcnt lgkmcnt(1)
	v_mul_f64 v[31:32], v[11:12], v[23:24]
	v_mul_f64 v[23:24], v[9:10], v[23:24]
	ds_write_b128 v30, v[9:12]
	s_waitcnt lgkmcnt(1)
	v_cmp_ngt_f64_e64 s[22:23], |v[17:18]|, |v[19:20]|
	v_fma_f64 v[31:32], v[9:10], v[21:22], -v[31:32]
	v_fma_f64 v[23:24], v[11:12], v[21:22], v[23:24]
	s_and_b64 vcc, exec, s[22:23]
	v_add_f64 v[21:22], v[13:14], -v[31:32]
	v_add_f64 v[23:24], v[15:16], -v[23:24]
                                        ; implicit-def: $vgpr15_vgpr16
	s_cbranch_vccz .LBB213_55
; %bb.54:                               ;   in Loop: Header=BB213_47 Depth=1
	v_div_scale_f64 v[13:14], s[8:9], v[19:20], v[19:20], v[17:18]
	v_rcp_f64_e32 v[15:16], v[13:14]
	v_fma_f64 v[30:31], -v[13:14], v[15:16], 1.0
	v_fma_f64 v[15:16], v[15:16], v[30:31], v[15:16]
	v_div_scale_f64 v[30:31], vcc, v[17:18], v[19:20], v[17:18]
	v_fma_f64 v[32:33], -v[13:14], v[15:16], 1.0
	v_fma_f64 v[15:16], v[15:16], v[32:33], v[15:16]
	v_mul_f64 v[32:33], v[30:31], v[15:16]
	v_fma_f64 v[13:14], -v[13:14], v[32:33], v[30:31]
	v_div_fmas_f64 v[13:14], v[13:14], v[15:16], v[32:33]
	v_div_fixup_f64 v[13:14], v[13:14], v[19:20], v[17:18]
	v_fma_f64 v[15:16], v[17:18], v[13:14], v[19:20]
	v_div_scale_f64 v[30:31], s[8:9], v[15:16], v[15:16], 1.0
	s_mov_b64 s[8:9], 0
	v_rcp_f64_e32 v[32:33], v[30:31]
	v_fma_f64 v[34:35], -v[30:31], v[32:33], 1.0
	v_fma_f64 v[32:33], v[32:33], v[34:35], v[32:33]
	v_div_scale_f64 v[34:35], vcc, 1.0, v[15:16], 1.0
	v_fma_f64 v[36:37], -v[30:31], v[32:33], 1.0
	v_fma_f64 v[32:33], v[32:33], v[36:37], v[32:33]
	v_mul_f64 v[36:37], v[34:35], v[32:33]
	v_fma_f64 v[30:31], -v[30:31], v[36:37], v[34:35]
	v_div_fmas_f64 v[30:31], v[30:31], v[32:33], v[36:37]
	v_fma_f64 v[32:33], v[13:14], v[21:22], v[23:24]
	v_div_fixup_f64 v[15:16], v[30:31], v[15:16], 1.0
	v_fma_f64 v[30:31], v[13:14], v[23:24], -v[21:22]
	v_mul_f64 v[13:14], v[32:33], v[15:16]
	v_mul_f64 v[15:16], v[30:31], v[15:16]
.LBB213_55:                             ;   in Loop: Header=BB213_47 Depth=1
	s_andn2_b64 vcc, exec, s[8:9]
	s_cbranch_vccnz .LBB213_57
; %bb.56:                               ;   in Loop: Header=BB213_47 Depth=1
	v_div_scale_f64 v[13:14], s[8:9], v[17:18], v[17:18], v[19:20]
	v_rcp_f64_e32 v[15:16], v[13:14]
	v_fma_f64 v[30:31], -v[13:14], v[15:16], 1.0
	v_fma_f64 v[15:16], v[15:16], v[30:31], v[15:16]
	v_div_scale_f64 v[30:31], vcc, v[19:20], v[17:18], v[19:20]
	v_fma_f64 v[32:33], -v[13:14], v[15:16], 1.0
	v_fma_f64 v[15:16], v[15:16], v[32:33], v[15:16]
	v_mul_f64 v[32:33], v[30:31], v[15:16]
	v_fma_f64 v[13:14], -v[13:14], v[32:33], v[30:31]
	v_div_fmas_f64 v[13:14], v[13:14], v[15:16], v[32:33]
	v_div_fixup_f64 v[13:14], v[13:14], v[17:18], v[19:20]
	v_fma_f64 v[15:16], v[19:20], v[13:14], v[17:18]
	v_div_scale_f64 v[17:18], s[8:9], v[15:16], v[15:16], 1.0
	v_rcp_f64_e32 v[19:20], v[17:18]
	v_fma_f64 v[30:31], -v[17:18], v[19:20], 1.0
	v_fma_f64 v[19:20], v[19:20], v[30:31], v[19:20]
	v_div_scale_f64 v[30:31], vcc, 1.0, v[15:16], 1.0
	v_fma_f64 v[32:33], -v[17:18], v[19:20], 1.0
	v_fma_f64 v[19:20], v[19:20], v[32:33], v[19:20]
	v_mul_f64 v[32:33], v[30:31], v[19:20]
	v_fma_f64 v[17:18], -v[17:18], v[32:33], v[30:31]
	v_div_fmas_f64 v[17:18], v[17:18], v[19:20], v[32:33]
	v_fma_f64 v[19:20], v[13:14], v[23:24], v[21:22]
	v_div_fixup_f64 v[15:16], v[17:18], v[15:16], 1.0
	v_fma_f64 v[17:18], -v[13:14], v[21:22], v[23:24]
	v_mul_f64 v[13:14], v[19:20], v[15:16]
	v_mul_f64 v[15:16], v[17:18], v[15:16]
.LBB213_57:                             ;   in Loop: Header=BB213_47 Depth=1
	s_sub_i32 s17, s15, 32
	v_mov_b32_e32 v17, s17
	s_add_i32 s8, s11, -1
	ds_read_b128 v[17:20], v17
	s_add_i32 s9, s11, -2
	s_lshl_b32 s8, s8, 4
	s_sub_i32 s22, s16, s8
	s_lshl_b32 s16, s9, 4
	s_add_i32 s8, s22, s16
	v_mov_b32_e32 v21, s8
	ds_read_b128 v[21:24], v21
	s_waitcnt lgkmcnt(1)
	v_mul_f64 v[30:31], v[11:12], v[19:20]
	v_mul_f64 v[19:20], v[9:10], v[19:20]
	s_add_i32 s17, s15, 0xfffffe60
	s_mov_b64 s[8:9], -1
	s_waitcnt lgkmcnt(0)
	v_mul_f64 v[32:33], v[15:16], v[23:24]
	v_mul_f64 v[23:24], v[13:14], v[23:24]
	ds_write_b128 v29, v[13:16]
	v_fma_f64 v[30:31], v[9:10], v[17:18], -v[30:31]
	v_fma_f64 v[34:35], v[11:12], v[17:18], v[19:20]
	v_mov_b32_e32 v17, s17
	ds_read_b128 v[17:20], v17
	v_fma_f64 v[32:33], v[13:14], v[21:22], -v[32:33]
	v_fma_f64 v[23:24], v[15:16], v[21:22], v[23:24]
	v_add_f64 v[5:6], v[5:6], -v[30:31]
	v_add_f64 v[7:8], v[7:8], -v[34:35]
	s_waitcnt lgkmcnt(0)
	v_cmp_ngt_f64_e64 s[26:27], |v[17:18]|, |v[19:20]|
	v_add_f64 v[21:22], v[5:6], -v[32:33]
	v_add_f64 v[23:24], v[7:8], -v[23:24]
	s_and_b64 vcc, exec, s[26:27]
                                        ; implicit-def: $vgpr7_vgpr8
	s_cbranch_vccz .LBB213_59
; %bb.58:                               ;   in Loop: Header=BB213_47 Depth=1
	v_div_scale_f64 v[5:6], s[8:9], v[19:20], v[19:20], v[17:18]
	v_rcp_f64_e32 v[7:8], v[5:6]
	v_fma_f64 v[29:30], -v[5:6], v[7:8], 1.0
	v_fma_f64 v[7:8], v[7:8], v[29:30], v[7:8]
	v_div_scale_f64 v[29:30], vcc, v[17:18], v[19:20], v[17:18]
	v_fma_f64 v[31:32], -v[5:6], v[7:8], 1.0
	v_fma_f64 v[7:8], v[7:8], v[31:32], v[7:8]
	v_mul_f64 v[31:32], v[29:30], v[7:8]
	v_fma_f64 v[5:6], -v[5:6], v[31:32], v[29:30]
	v_div_fmas_f64 v[5:6], v[5:6], v[7:8], v[31:32]
	v_div_fixup_f64 v[5:6], v[5:6], v[19:20], v[17:18]
	v_fma_f64 v[7:8], v[17:18], v[5:6], v[19:20]
	v_div_scale_f64 v[29:30], s[8:9], v[7:8], v[7:8], 1.0
	s_mov_b64 s[8:9], 0
	v_rcp_f64_e32 v[31:32], v[29:30]
	v_fma_f64 v[33:34], -v[29:30], v[31:32], 1.0
	v_fma_f64 v[31:32], v[31:32], v[33:34], v[31:32]
	v_div_scale_f64 v[33:34], vcc, 1.0, v[7:8], 1.0
	v_fma_f64 v[35:36], -v[29:30], v[31:32], 1.0
	v_fma_f64 v[31:32], v[31:32], v[35:36], v[31:32]
	v_mul_f64 v[35:36], v[33:34], v[31:32]
	v_fma_f64 v[29:30], -v[29:30], v[35:36], v[33:34]
	v_div_fmas_f64 v[29:30], v[29:30], v[31:32], v[35:36]
	v_fma_f64 v[31:32], v[5:6], v[21:22], v[23:24]
	v_div_fixup_f64 v[7:8], v[29:30], v[7:8], 1.0
	v_fma_f64 v[29:30], v[5:6], v[23:24], -v[21:22]
	v_mul_f64 v[5:6], v[31:32], v[7:8]
	v_mul_f64 v[7:8], v[29:30], v[7:8]
.LBB213_59:                             ;   in Loop: Header=BB213_47 Depth=1
	s_andn2_b64 vcc, exec, s[8:9]
	s_cbranch_vccnz .LBB213_61
; %bb.60:                               ;   in Loop: Header=BB213_47 Depth=1
	v_div_scale_f64 v[5:6], s[8:9], v[17:18], v[17:18], v[19:20]
	v_rcp_f64_e32 v[7:8], v[5:6]
	v_fma_f64 v[29:30], -v[5:6], v[7:8], 1.0
	v_fma_f64 v[7:8], v[7:8], v[29:30], v[7:8]
	v_div_scale_f64 v[29:30], vcc, v[19:20], v[17:18], v[19:20]
	v_fma_f64 v[31:32], -v[5:6], v[7:8], 1.0
	v_fma_f64 v[7:8], v[7:8], v[31:32], v[7:8]
	v_mul_f64 v[31:32], v[29:30], v[7:8]
	v_fma_f64 v[5:6], -v[5:6], v[31:32], v[29:30]
	v_div_fmas_f64 v[5:6], v[5:6], v[7:8], v[31:32]
	v_div_fixup_f64 v[5:6], v[5:6], v[17:18], v[19:20]
	v_fma_f64 v[7:8], v[19:20], v[5:6], v[17:18]
	v_div_scale_f64 v[17:18], s[8:9], v[7:8], v[7:8], 1.0
	v_rcp_f64_e32 v[19:20], v[17:18]
	v_fma_f64 v[29:30], -v[17:18], v[19:20], 1.0
	v_fma_f64 v[19:20], v[19:20], v[29:30], v[19:20]
	v_div_scale_f64 v[29:30], vcc, 1.0, v[7:8], 1.0
	v_fma_f64 v[31:32], -v[17:18], v[19:20], 1.0
	v_fma_f64 v[19:20], v[19:20], v[31:32], v[19:20]
	v_mul_f64 v[31:32], v[29:30], v[19:20]
	v_fma_f64 v[17:18], -v[17:18], v[31:32], v[29:30]
	v_div_fmas_f64 v[17:18], v[17:18], v[19:20], v[31:32]
	v_fma_f64 v[19:20], v[5:6], v[23:24], v[21:22]
	v_div_fixup_f64 v[7:8], v[17:18], v[7:8], 1.0
	v_fma_f64 v[17:18], -v[5:6], v[21:22], v[23:24]
	v_mul_f64 v[5:6], v[19:20], v[7:8]
	v_mul_f64 v[7:8], v[17:18], v[7:8]
.LBB213_61:                             ;   in Loop: Header=BB213_47 Depth=1
	s_sub_i32 s8, s15, 48
	v_mov_b32_e32 v17, s8
	ds_read_b128 v[17:20], v17
	s_lshl_b32 s8, s14, 4
	s_add_i32 s9, s22, s8
	v_mov_b32_e32 v21, s9
	s_sub_i32 s9, s17, s16
	s_add_i32 s8, s9, s8
	v_mov_b32_e32 v29, s8
	ds_read_b128 v[29:32], v29
	s_waitcnt lgkmcnt(1)
	v_mul_f64 v[33:34], v[11:12], v[19:20]
	v_mul_f64 v[19:20], v[9:10], v[19:20]
	ds_read_b128 v[21:24], v21
	s_add_i32 s14, s17, 0xffffff30
	s_mov_b64 s[8:9], -1
	ds_write_b128 v28, v[5:8]
	v_fma_f64 v[33:34], v[9:10], v[17:18], -v[33:34]
	v_mov_b32_e32 v9, s14
	v_fma_f64 v[17:18], v[11:12], v[17:18], v[19:20]
	ds_read_b128 v[9:12], v9
	s_waitcnt lgkmcnt(2)
	v_mul_f64 v[35:36], v[15:16], v[23:24]
	v_mul_f64 v[23:24], v[13:14], v[23:24]
	;; [unrolled: 1-line block ×4, first 2 shown]
	v_add_f64 v[1:2], v[1:2], -v[33:34]
	s_waitcnt lgkmcnt(0)
	v_cmp_ngt_f64_e64 s[14:15], |v[9:10]|, |v[11:12]|
	v_add_f64 v[3:4], v[3:4], -v[17:18]
	v_fma_f64 v[13:14], v[13:14], v[21:22], -v[35:36]
	v_fma_f64 v[15:16], v[15:16], v[21:22], v[23:24]
	v_fma_f64 v[17:18], v[5:6], v[29:30], -v[19:20]
	v_fma_f64 v[19:20], v[7:8], v[29:30], v[31:32]
	s_and_b64 vcc, exec, s[14:15]
	v_add_f64 v[1:2], v[1:2], -v[13:14]
	v_add_f64 v[3:4], v[3:4], -v[15:16]
	;; [unrolled: 1-line block ×4, first 2 shown]
                                        ; implicit-def: $vgpr3_vgpr4
	s_cbranch_vccz .LBB213_63
; %bb.62:                               ;   in Loop: Header=BB213_47 Depth=1
	v_div_scale_f64 v[1:2], s[8:9], v[11:12], v[11:12], v[9:10]
	v_rcp_f64_e32 v[3:4], v[1:2]
	v_fma_f64 v[5:6], -v[1:2], v[3:4], 1.0
	v_fma_f64 v[3:4], v[3:4], v[5:6], v[3:4]
	v_div_scale_f64 v[5:6], vcc, v[9:10], v[11:12], v[9:10]
	v_fma_f64 v[7:8], -v[1:2], v[3:4], 1.0
	v_fma_f64 v[3:4], v[3:4], v[7:8], v[3:4]
	v_mul_f64 v[7:8], v[5:6], v[3:4]
	v_fma_f64 v[1:2], -v[1:2], v[7:8], v[5:6]
	v_div_fmas_f64 v[1:2], v[1:2], v[3:4], v[7:8]
	v_div_fixup_f64 v[1:2], v[1:2], v[11:12], v[9:10]
	v_fma_f64 v[3:4], v[9:10], v[1:2], v[11:12]
	v_div_scale_f64 v[5:6], s[8:9], v[3:4], v[3:4], 1.0
	s_mov_b64 s[8:9], 0
	v_rcp_f64_e32 v[7:8], v[5:6]
	v_fma_f64 v[17:18], -v[5:6], v[7:8], 1.0
	v_fma_f64 v[7:8], v[7:8], v[17:18], v[7:8]
	v_div_scale_f64 v[17:18], vcc, 1.0, v[3:4], 1.0
	v_fma_f64 v[19:20], -v[5:6], v[7:8], 1.0
	v_fma_f64 v[7:8], v[7:8], v[19:20], v[7:8]
	v_mul_f64 v[19:20], v[17:18], v[7:8]
	v_fma_f64 v[5:6], -v[5:6], v[19:20], v[17:18]
	v_div_fmas_f64 v[5:6], v[5:6], v[7:8], v[19:20]
	v_fma_f64 v[7:8], v[1:2], v[13:14], v[15:16]
	v_div_fixup_f64 v[3:4], v[5:6], v[3:4], 1.0
	v_fma_f64 v[5:6], v[1:2], v[15:16], -v[13:14]
	v_mul_f64 v[1:2], v[7:8], v[3:4]
	v_mul_f64 v[3:4], v[5:6], v[3:4]
.LBB213_63:                             ;   in Loop: Header=BB213_47 Depth=1
	s_andn2_b64 vcc, exec, s[8:9]
	s_cbranch_vccnz .LBB213_65
; %bb.64:                               ;   in Loop: Header=BB213_47 Depth=1
	v_div_scale_f64 v[1:2], s[8:9], v[9:10], v[9:10], v[11:12]
	v_rcp_f64_e32 v[3:4], v[1:2]
	v_fma_f64 v[5:6], -v[1:2], v[3:4], 1.0
	v_fma_f64 v[3:4], v[3:4], v[5:6], v[3:4]
	v_div_scale_f64 v[5:6], vcc, v[11:12], v[9:10], v[11:12]
	v_fma_f64 v[7:8], -v[1:2], v[3:4], 1.0
	v_fma_f64 v[3:4], v[3:4], v[7:8], v[3:4]
	v_mul_f64 v[7:8], v[5:6], v[3:4]
	v_fma_f64 v[1:2], -v[1:2], v[7:8], v[5:6]
	v_div_fmas_f64 v[1:2], v[1:2], v[3:4], v[7:8]
	v_div_fixup_f64 v[1:2], v[1:2], v[9:10], v[11:12]
	v_fma_f64 v[3:4], v[11:12], v[1:2], v[9:10]
	v_div_scale_f64 v[5:6], s[8:9], v[3:4], v[3:4], 1.0
	v_rcp_f64_e32 v[7:8], v[5:6]
	v_fma_f64 v[9:10], -v[5:6], v[7:8], 1.0
	v_fma_f64 v[7:8], v[7:8], v[9:10], v[7:8]
	v_div_scale_f64 v[9:10], vcc, 1.0, v[3:4], 1.0
	v_fma_f64 v[11:12], -v[5:6], v[7:8], 1.0
	v_fma_f64 v[7:8], v[7:8], v[11:12], v[7:8]
	v_mul_f64 v[11:12], v[9:10], v[7:8]
	v_fma_f64 v[5:6], -v[5:6], v[11:12], v[9:10]
	v_div_fmas_f64 v[5:6], v[5:6], v[7:8], v[11:12]
	v_fma_f64 v[7:8], v[1:2], v[15:16], v[13:14]
	v_div_fixup_f64 v[3:4], v[5:6], v[3:4], 1.0
	v_fma_f64 v[5:6], -v[1:2], v[13:14], v[15:16]
	v_mul_f64 v[1:2], v[7:8], v[3:4]
	v_mul_f64 v[3:4], v[5:6], v[3:4]
.LBB213_65:                             ;   in Loop: Header=BB213_47 Depth=1
	s_add_i32 s14, s11, -4
	s_sub_i32 s10, s10, 64
	s_cmp_lt_i32 s11, 7
	ds_write_b128 v27, v[1:4]
	s_cbranch_scc1 .LBB213_67
; %bb.66:                               ;   in Loop: Header=BB213_47 Depth=1
	s_mov_b32 s11, s14
	s_branch .LBB213_47
.LBB213_67:
	s_cmp_lt_i32 s14, 0
	s_cbranch_scc1 .LBB213_76
; %bb.68:
	s_mul_i32 s8, s25, 0xc0
	s_lshl_b32 s9, s14, 4
	s_add_i32 s9, s8, s9
	v_lshl_add_u32 v1, v0, 4, s8
	s_add_i32 s10, s9, 0xffffff40
	v_add_u32_e32 v13, 0x840, v1
	s_branch .LBB213_70
.LBB213_69:                             ;   in Loop: Header=BB213_70 Depth=1
	v_sub_co_u32_e64 v1, s[8:9], s14, 1
	v_readfirstlane_b32 s14, v1
	s_add_i32 s10, s10, -16
	s_and_b64 vcc, exec, s[8:9]
	ds_write_b128 v14, v[9:12]
	s_cbranch_vccnz .LBB213_76
.LBB213_70:                             ; =>This Loop Header: Depth=1
                                        ;     Child Loop BB213_71 Depth 2
	s_mul_i32 s8, s14, 0xc0
	v_add_u32_e32 v14, s8, v25
	ds_read_b128 v[1:4], v14
	s_cmp_le_i32 s13, s14
	v_mov_b32_e32 v5, v13
	s_mov_b32 s9, s10
	s_mov_b32 s11, s13
	s_cbranch_scc1 .LBB213_72
.LBB213_71:                             ;   Parent Loop BB213_70 Depth=1
                                        ; =>  This Inner Loop Header: Depth=2
	v_mov_b32_e32 v10, s9
	ds_read_b128 v[6:9], v5
	ds_read_b128 v[15:18], v10
	s_add_i32 s11, s11, -1
	s_addk_i32 s9, 0xff40
	s_cmp_le_u32 s11, s14
	v_add_u32_e32 v5, 0xffffff40, v5
	s_waitcnt lgkmcnt(0)
	v_mul_f64 v[10:11], v[17:18], v[8:9]
	v_mul_f64 v[8:9], v[15:16], v[8:9]
	v_fma_f64 v[10:11], v[15:16], v[6:7], -v[10:11]
	v_fma_f64 v[6:7], v[17:18], v[6:7], v[8:9]
	v_add_f64 v[1:2], v[1:2], -v[10:11]
	v_add_f64 v[3:4], v[3:4], -v[6:7]
	s_cbranch_scc0 .LBB213_71
.LBB213_72:                             ;   in Loop: Header=BB213_70 Depth=1
	s_lshl_b32 s9, s14, 4
	s_add_i32 s8, s9, s8
	v_mov_b32_e32 v5, s8
	ds_read_b128 v[5:8], v5
	s_mov_b64 s[8:9], -1
                                        ; implicit-def: $vgpr9_vgpr10
	s_waitcnt lgkmcnt(0)
	v_cmp_ngt_f64_e64 s[16:17], |v[5:6]|, |v[7:8]|
	s_and_b64 vcc, exec, s[16:17]
	s_cbranch_vccz .LBB213_74
; %bb.73:                               ;   in Loop: Header=BB213_70 Depth=1
	v_div_scale_f64 v[9:10], s[8:9], v[7:8], v[7:8], v[5:6]
	v_rcp_f64_e32 v[11:12], v[9:10]
	v_fma_f64 v[15:16], -v[9:10], v[11:12], 1.0
	v_fma_f64 v[11:12], v[11:12], v[15:16], v[11:12]
	v_div_scale_f64 v[15:16], vcc, v[5:6], v[7:8], v[5:6]
	v_fma_f64 v[17:18], -v[9:10], v[11:12], 1.0
	v_fma_f64 v[11:12], v[11:12], v[17:18], v[11:12]
	v_mul_f64 v[17:18], v[15:16], v[11:12]
	v_fma_f64 v[9:10], -v[9:10], v[17:18], v[15:16]
	v_div_fmas_f64 v[9:10], v[9:10], v[11:12], v[17:18]
	v_div_fixup_f64 v[9:10], v[9:10], v[7:8], v[5:6]
	v_fma_f64 v[11:12], v[5:6], v[9:10], v[7:8]
	v_div_scale_f64 v[15:16], s[8:9], v[11:12], v[11:12], 1.0
	s_mov_b64 s[8:9], 0
	v_rcp_f64_e32 v[17:18], v[15:16]
	v_fma_f64 v[19:20], -v[15:16], v[17:18], 1.0
	v_fma_f64 v[17:18], v[17:18], v[19:20], v[17:18]
	v_div_scale_f64 v[19:20], vcc, 1.0, v[11:12], 1.0
	v_fma_f64 v[21:22], -v[15:16], v[17:18], 1.0
	v_fma_f64 v[17:18], v[17:18], v[21:22], v[17:18]
	v_mul_f64 v[21:22], v[19:20], v[17:18]
	v_fma_f64 v[15:16], -v[15:16], v[21:22], v[19:20]
	v_div_fmas_f64 v[15:16], v[15:16], v[17:18], v[21:22]
	v_fma_f64 v[17:18], v[1:2], v[9:10], v[3:4]
	v_div_fixup_f64 v[11:12], v[15:16], v[11:12], 1.0
	v_fma_f64 v[15:16], v[3:4], v[9:10], -v[1:2]
	v_mul_f64 v[9:10], v[17:18], v[11:12]
	v_mul_f64 v[11:12], v[15:16], v[11:12]
.LBB213_74:                             ;   in Loop: Header=BB213_70 Depth=1
	s_andn2_b64 vcc, exec, s[8:9]
	s_cbranch_vccnz .LBB213_69
; %bb.75:                               ;   in Loop: Header=BB213_70 Depth=1
	v_div_scale_f64 v[9:10], s[8:9], v[5:6], v[5:6], v[7:8]
	v_rcp_f64_e32 v[11:12], v[9:10]
	v_fma_f64 v[15:16], -v[9:10], v[11:12], 1.0
	v_fma_f64 v[11:12], v[11:12], v[15:16], v[11:12]
	v_div_scale_f64 v[15:16], vcc, v[7:8], v[5:6], v[7:8]
	v_fma_f64 v[17:18], -v[9:10], v[11:12], 1.0
	v_fma_f64 v[11:12], v[11:12], v[17:18], v[11:12]
	v_mul_f64 v[17:18], v[15:16], v[11:12]
	v_fma_f64 v[9:10], -v[9:10], v[17:18], v[15:16]
	v_div_fmas_f64 v[9:10], v[9:10], v[11:12], v[17:18]
	v_div_fixup_f64 v[9:10], v[9:10], v[5:6], v[7:8]
	v_fma_f64 v[5:6], v[7:8], v[9:10], v[5:6]
	v_div_scale_f64 v[7:8], s[8:9], v[5:6], v[5:6], 1.0
	v_rcp_f64_e32 v[11:12], v[7:8]
	v_fma_f64 v[15:16], -v[7:8], v[11:12], 1.0
	v_fma_f64 v[11:12], v[11:12], v[15:16], v[11:12]
	v_div_scale_f64 v[15:16], vcc, 1.0, v[5:6], 1.0
	v_fma_f64 v[17:18], -v[7:8], v[11:12], 1.0
	v_fma_f64 v[11:12], v[11:12], v[17:18], v[11:12]
	v_mul_f64 v[17:18], v[15:16], v[11:12]
	v_fma_f64 v[7:8], -v[7:8], v[17:18], v[15:16]
	v_div_fmas_f64 v[7:8], v[7:8], v[11:12], v[17:18]
	v_fma_f64 v[11:12], v[3:4], v[9:10], v[1:2]
	v_fma_f64 v[1:2], -v[1:2], v[9:10], v[3:4]
	v_div_fixup_f64 v[5:6], v[7:8], v[5:6], 1.0
	v_mul_f64 v[9:10], v[11:12], v[5:6]
	v_mul_f64 v[11:12], v[1:2], v[5:6]
	s_branch .LBB213_69
.LBB213_76:
	s_mov_b64 s[10:11], 0
.LBB213_77:
	s_andn2_b64 vcc, exec, s[10:11]
	s_cbranch_vccnz .LBB213_109
; %bb.78:
	s_andn2_b64 vcc, exec, s[6:7]
	s_mul_i32 s8, s25, 0xc0
	s_mov_b32 s11, s13
	s_cbranch_vccnz .LBB213_100
; %bb.79:
	v_lshl_add_u32 v1, v0, 4, s8
	s_mul_i32 s6, s25, 0xd0
	v_add_u32_e32 v26, 0x840, v1
	s_add_i32 s9, s6, 0xfffffcf0
	s_mov_b32 s10, s13
.LBB213_80:                             ; =>This Loop Header: Depth=1
                                        ;     Child Loop BB213_81 Depth 2
	s_mul_i32 s11, s10, 12
	v_lshl_add_u32 v30, s11, 4, v25
	v_add_u32_e32 v28, 0xfffffe80, v30
	v_add_u32_e32 v29, 0xffffff40, v30
	ds_read_b128 v[17:20], v30
	ds_read_b128 v[13:16], v29
	v_add_u32_e32 v27, 0xfffffdc0, v30
	ds_read_b128 v[5:8], v28
	ds_read_b128 v[1:4], v27
	s_cmp_le_i32 s13, s10
	s_mov_b32 s6, s9
	v_mov_b32_e32 v9, v26
	s_mov_b32 s7, s13
	s_cbranch_scc1 .LBB213_82
.LBB213_81:                             ;   Parent Loop BB213_80 Depth=1
                                        ; =>  This Inner Loop Header: Depth=2
	v_mov_b32_e32 v10, s6
	ds_read_b128 v[21:24], v9
	ds_read_b128 v[31:34], v10 offset:576
	ds_read_b128 v[35:38], v10 offset:384
	;; [unrolled: 1-line block ×3, first 2 shown]
	ds_read_b128 v[43:46], v10
	s_add_i32 s7, s7, -1
	s_add_i32 s6, s6, -16
	s_cmp_le_i32 s7, s10
	s_waitcnt lgkmcnt(3)
	v_mul_f64 v[10:11], v[23:24], v[33:34]
	v_mul_f64 v[33:34], v[21:22], v[33:34]
	s_waitcnt lgkmcnt(2)
	v_mul_f64 v[47:48], v[23:24], v[37:38]
	v_mul_f64 v[37:38], v[21:22], v[37:38]
	;; [unrolled: 3-line block ×4, first 2 shown]
	v_fma_f64 v[10:11], v[21:22], v[31:32], -v[10:11]
	v_fma_f64 v[31:32], v[23:24], v[31:32], v[33:34]
	v_fma_f64 v[33:34], v[21:22], v[35:36], -v[47:48]
	v_fma_f64 v[35:36], v[23:24], v[35:36], v[37:38]
	;; [unrolled: 2-line block ×4, first 2 shown]
	v_add_f64 v[17:18], v[17:18], -v[10:11]
	v_add_f64 v[19:20], v[19:20], -v[31:32]
	;; [unrolled: 1-line block ×8, first 2 shown]
	v_add_u32_e32 v9, 0xffffff40, v9
	s_cbranch_scc0 .LBB213_81
.LBB213_82:                             ;   in Loop: Header=BB213_80 Depth=1
	s_mul_i32 s6, s10, 0xd0
	v_mov_b32_e32 v9, s6
	ds_read_b128 v[21:24], v9
	s_mov_b64 s[6:7], -1
                                        ; implicit-def: $vgpr11_vgpr12
	s_waitcnt lgkmcnt(0)
	v_cmp_ngt_f64_e64 s[14:15], |v[21:22]|, |v[23:24]|
	s_and_b64 vcc, exec, s[14:15]
	s_cbranch_vccz .LBB213_84
; %bb.83:                               ;   in Loop: Header=BB213_80 Depth=1
	v_div_scale_f64 v[9:10], s[6:7], v[23:24], v[23:24], v[21:22]
	v_rcp_f64_e32 v[11:12], v[9:10]
	v_fma_f64 v[31:32], -v[9:10], v[11:12], 1.0
	v_fma_f64 v[11:12], v[11:12], v[31:32], v[11:12]
	v_div_scale_f64 v[31:32], vcc, v[21:22], v[23:24], v[21:22]
	v_fma_f64 v[33:34], -v[9:10], v[11:12], 1.0
	v_fma_f64 v[11:12], v[11:12], v[33:34], v[11:12]
	v_mul_f64 v[33:34], v[31:32], v[11:12]
	v_fma_f64 v[9:10], -v[9:10], v[33:34], v[31:32]
	v_div_fmas_f64 v[9:10], v[9:10], v[11:12], v[33:34]
	v_div_fixup_f64 v[9:10], v[9:10], v[23:24], v[21:22]
	v_fma_f64 v[11:12], v[21:22], v[9:10], v[23:24]
	v_div_scale_f64 v[31:32], s[6:7], v[11:12], v[11:12], 1.0
	s_mov_b64 s[6:7], 0
	v_rcp_f64_e32 v[33:34], v[31:32]
	v_fma_f64 v[35:36], -v[31:32], v[33:34], 1.0
	v_fma_f64 v[33:34], v[33:34], v[35:36], v[33:34]
	v_div_scale_f64 v[35:36], vcc, 1.0, v[11:12], 1.0
	v_fma_f64 v[37:38], -v[31:32], v[33:34], 1.0
	v_fma_f64 v[33:34], v[33:34], v[37:38], v[33:34]
	v_mul_f64 v[37:38], v[35:36], v[33:34]
	v_fma_f64 v[31:32], -v[31:32], v[37:38], v[35:36]
	v_div_fmas_f64 v[31:32], v[31:32], v[33:34], v[37:38]
	v_fma_f64 v[33:34], v[17:18], v[9:10], v[19:20]
	v_div_fixup_f64 v[11:12], v[31:32], v[11:12], 1.0
	v_fma_f64 v[31:32], v[19:20], v[9:10], -v[17:18]
	v_mul_f64 v[9:10], v[33:34], v[11:12]
	v_mul_f64 v[11:12], v[31:32], v[11:12]
.LBB213_84:                             ;   in Loop: Header=BB213_80 Depth=1
	s_andn2_b64 vcc, exec, s[6:7]
	s_cbranch_vccnz .LBB213_86
; %bb.85:                               ;   in Loop: Header=BB213_80 Depth=1
	v_div_scale_f64 v[9:10], s[6:7], v[21:22], v[21:22], v[23:24]
	v_rcp_f64_e32 v[11:12], v[9:10]
	v_fma_f64 v[31:32], -v[9:10], v[11:12], 1.0
	v_fma_f64 v[11:12], v[11:12], v[31:32], v[11:12]
	v_div_scale_f64 v[31:32], vcc, v[23:24], v[21:22], v[23:24]
	v_fma_f64 v[33:34], -v[9:10], v[11:12], 1.0
	v_fma_f64 v[11:12], v[11:12], v[33:34], v[11:12]
	v_mul_f64 v[33:34], v[31:32], v[11:12]
	v_fma_f64 v[9:10], -v[9:10], v[33:34], v[31:32]
	v_div_fmas_f64 v[9:10], v[9:10], v[11:12], v[33:34]
	v_div_fixup_f64 v[9:10], v[9:10], v[21:22], v[23:24]
	v_fma_f64 v[11:12], v[23:24], v[9:10], v[21:22]
	v_div_scale_f64 v[21:22], s[6:7], v[11:12], v[11:12], 1.0
	v_rcp_f64_e32 v[23:24], v[21:22]
	v_fma_f64 v[31:32], -v[21:22], v[23:24], 1.0
	v_fma_f64 v[23:24], v[23:24], v[31:32], v[23:24]
	v_div_scale_f64 v[31:32], vcc, 1.0, v[11:12], 1.0
	v_fma_f64 v[33:34], -v[21:22], v[23:24], 1.0
	v_fma_f64 v[23:24], v[23:24], v[33:34], v[23:24]
	v_mul_f64 v[33:34], v[31:32], v[23:24]
	v_fma_f64 v[21:22], -v[21:22], v[33:34], v[31:32]
	v_div_fmas_f64 v[21:22], v[21:22], v[23:24], v[33:34]
	v_fma_f64 v[23:24], v[19:20], v[9:10], v[17:18]
	v_fma_f64 v[17:18], -v[17:18], v[9:10], v[19:20]
	v_div_fixup_f64 v[11:12], v[21:22], v[11:12], 1.0
	v_mul_f64 v[9:10], v[23:24], v[11:12]
	v_mul_f64 v[11:12], v[17:18], v[11:12]
.LBB213_86:                             ;   in Loop: Header=BB213_80 Depth=1
	s_lshl_b32 s11, s11, 4
	s_addk_i32 s11, 0xff40
	s_lshl_b32 s14, s10, 4
	s_add_i32 s6, s11, s14
	v_mov_b32_e32 v17, s6
	ds_read_b128 v[21:24], v17
	s_add_i32 s6, s6, -16
	v_mov_b32_e32 v17, s6
	ds_read_b128 v[17:20], v17
	s_mov_b64 s[6:7], -1
	s_waitcnt lgkmcnt(1)
	v_mul_f64 v[31:32], v[11:12], v[23:24]
	v_mul_f64 v[23:24], v[9:10], v[23:24]
	ds_write_b128 v30, v[9:12]
	s_waitcnt lgkmcnt(1)
	v_cmp_ngt_f64_e64 s[16:17], |v[17:18]|, |v[19:20]|
	v_fma_f64 v[31:32], v[9:10], v[21:22], -v[31:32]
	v_fma_f64 v[23:24], v[11:12], v[21:22], v[23:24]
	s_and_b64 vcc, exec, s[16:17]
	v_add_f64 v[21:22], v[13:14], -v[31:32]
	v_add_f64 v[23:24], v[15:16], -v[23:24]
                                        ; implicit-def: $vgpr15_vgpr16
	s_cbranch_vccz .LBB213_88
; %bb.87:                               ;   in Loop: Header=BB213_80 Depth=1
	v_div_scale_f64 v[13:14], s[6:7], v[19:20], v[19:20], v[17:18]
	v_rcp_f64_e32 v[15:16], v[13:14]
	v_fma_f64 v[30:31], -v[13:14], v[15:16], 1.0
	v_fma_f64 v[15:16], v[15:16], v[30:31], v[15:16]
	v_div_scale_f64 v[30:31], vcc, v[17:18], v[19:20], v[17:18]
	v_fma_f64 v[32:33], -v[13:14], v[15:16], 1.0
	v_fma_f64 v[15:16], v[15:16], v[32:33], v[15:16]
	v_mul_f64 v[32:33], v[30:31], v[15:16]
	v_fma_f64 v[13:14], -v[13:14], v[32:33], v[30:31]
	v_div_fmas_f64 v[13:14], v[13:14], v[15:16], v[32:33]
	v_div_fixup_f64 v[13:14], v[13:14], v[19:20], v[17:18]
	v_fma_f64 v[15:16], v[17:18], v[13:14], v[19:20]
	v_div_scale_f64 v[30:31], s[6:7], v[15:16], v[15:16], 1.0
	s_mov_b64 s[6:7], 0
	v_rcp_f64_e32 v[32:33], v[30:31]
	v_fma_f64 v[34:35], -v[30:31], v[32:33], 1.0
	v_fma_f64 v[32:33], v[32:33], v[34:35], v[32:33]
	v_div_scale_f64 v[34:35], vcc, 1.0, v[15:16], 1.0
	v_fma_f64 v[36:37], -v[30:31], v[32:33], 1.0
	v_fma_f64 v[32:33], v[32:33], v[36:37], v[32:33]
	v_mul_f64 v[36:37], v[34:35], v[32:33]
	v_fma_f64 v[30:31], -v[30:31], v[36:37], v[34:35]
	v_div_fmas_f64 v[30:31], v[30:31], v[32:33], v[36:37]
	v_fma_f64 v[32:33], v[13:14], v[21:22], v[23:24]
	v_div_fixup_f64 v[15:16], v[30:31], v[15:16], 1.0
	v_fma_f64 v[30:31], v[13:14], v[23:24], -v[21:22]
	v_mul_f64 v[13:14], v[32:33], v[15:16]
	v_mul_f64 v[15:16], v[30:31], v[15:16]
.LBB213_88:                             ;   in Loop: Header=BB213_80 Depth=1
	s_andn2_b64 vcc, exec, s[6:7]
	s_cbranch_vccnz .LBB213_90
; %bb.89:                               ;   in Loop: Header=BB213_80 Depth=1
	v_div_scale_f64 v[13:14], s[6:7], v[17:18], v[17:18], v[19:20]
	v_rcp_f64_e32 v[15:16], v[13:14]
	v_fma_f64 v[30:31], -v[13:14], v[15:16], 1.0
	v_fma_f64 v[15:16], v[15:16], v[30:31], v[15:16]
	v_div_scale_f64 v[30:31], vcc, v[19:20], v[17:18], v[19:20]
	v_fma_f64 v[32:33], -v[13:14], v[15:16], 1.0
	v_fma_f64 v[15:16], v[15:16], v[32:33], v[15:16]
	v_mul_f64 v[32:33], v[30:31], v[15:16]
	v_fma_f64 v[13:14], -v[13:14], v[32:33], v[30:31]
	v_div_fmas_f64 v[13:14], v[13:14], v[15:16], v[32:33]
	v_div_fixup_f64 v[13:14], v[13:14], v[17:18], v[19:20]
	v_fma_f64 v[15:16], v[19:20], v[13:14], v[17:18]
	v_div_scale_f64 v[17:18], s[6:7], v[15:16], v[15:16], 1.0
	v_rcp_f64_e32 v[19:20], v[17:18]
	v_fma_f64 v[30:31], -v[17:18], v[19:20], 1.0
	v_fma_f64 v[19:20], v[19:20], v[30:31], v[19:20]
	v_div_scale_f64 v[30:31], vcc, 1.0, v[15:16], 1.0
	v_fma_f64 v[32:33], -v[17:18], v[19:20], 1.0
	v_fma_f64 v[19:20], v[19:20], v[32:33], v[19:20]
	v_mul_f64 v[32:33], v[30:31], v[19:20]
	v_fma_f64 v[17:18], -v[17:18], v[32:33], v[30:31]
	v_div_fmas_f64 v[17:18], v[17:18], v[19:20], v[32:33]
	v_fma_f64 v[19:20], v[13:14], v[23:24], v[21:22]
	v_div_fixup_f64 v[15:16], v[17:18], v[15:16], 1.0
	v_fma_f64 v[17:18], -v[13:14], v[21:22], v[23:24]
	v_mul_f64 v[13:14], v[19:20], v[15:16]
	v_mul_f64 v[15:16], v[17:18], v[15:16]
.LBB213_90:                             ;   in Loop: Header=BB213_80 Depth=1
	s_addk_i32 s11, 0xff40
	s_add_i32 s11, s11, s14
	v_mov_b32_e32 v17, s11
	ds_read_b128 v[17:20], v17
	s_add_i32 s6, s11, -16
	v_mov_b32_e32 v21, s6
	ds_read_b128 v[21:24], v21
	s_sub_i32 s6, s11, 32
	s_waitcnt lgkmcnt(1)
	v_mul_f64 v[30:31], v[11:12], v[19:20]
	v_mul_f64 v[19:20], v[9:10], v[19:20]
	ds_write_b128 v29, v[13:16]
	s_waitcnt lgkmcnt(1)
	v_mul_f64 v[32:33], v[15:16], v[23:24]
	v_mul_f64 v[23:24], v[13:14], v[23:24]
	v_fma_f64 v[30:31], v[9:10], v[17:18], -v[30:31]
	v_fma_f64 v[34:35], v[11:12], v[17:18], v[19:20]
	v_mov_b32_e32 v17, s6
	v_fma_f64 v[32:33], v[13:14], v[21:22], -v[32:33]
	v_fma_f64 v[23:24], v[15:16], v[21:22], v[23:24]
	ds_read_b128 v[17:20], v17
	s_mov_b64 s[6:7], -1
	v_add_f64 v[5:6], v[5:6], -v[30:31]
	v_add_f64 v[7:8], v[7:8], -v[34:35]
	s_waitcnt lgkmcnt(0)
	v_cmp_ngt_f64_e64 s[14:15], |v[17:18]|, |v[19:20]|
	v_add_f64 v[21:22], v[5:6], -v[32:33]
	v_add_f64 v[23:24], v[7:8], -v[23:24]
	s_and_b64 vcc, exec, s[14:15]
                                        ; implicit-def: $vgpr7_vgpr8
	s_cbranch_vccz .LBB213_92
; %bb.91:                               ;   in Loop: Header=BB213_80 Depth=1
	v_div_scale_f64 v[5:6], s[6:7], v[19:20], v[19:20], v[17:18]
	v_rcp_f64_e32 v[7:8], v[5:6]
	v_fma_f64 v[29:30], -v[5:6], v[7:8], 1.0
	v_fma_f64 v[7:8], v[7:8], v[29:30], v[7:8]
	v_div_scale_f64 v[29:30], vcc, v[17:18], v[19:20], v[17:18]
	v_fma_f64 v[31:32], -v[5:6], v[7:8], 1.0
	v_fma_f64 v[7:8], v[7:8], v[31:32], v[7:8]
	v_mul_f64 v[31:32], v[29:30], v[7:8]
	v_fma_f64 v[5:6], -v[5:6], v[31:32], v[29:30]
	v_div_fmas_f64 v[5:6], v[5:6], v[7:8], v[31:32]
	v_div_fixup_f64 v[5:6], v[5:6], v[19:20], v[17:18]
	v_fma_f64 v[7:8], v[17:18], v[5:6], v[19:20]
	v_div_scale_f64 v[29:30], s[6:7], v[7:8], v[7:8], 1.0
	s_mov_b64 s[6:7], 0
	v_rcp_f64_e32 v[31:32], v[29:30]
	v_fma_f64 v[33:34], -v[29:30], v[31:32], 1.0
	v_fma_f64 v[31:32], v[31:32], v[33:34], v[31:32]
	v_div_scale_f64 v[33:34], vcc, 1.0, v[7:8], 1.0
	v_fma_f64 v[35:36], -v[29:30], v[31:32], 1.0
	v_fma_f64 v[31:32], v[31:32], v[35:36], v[31:32]
	v_mul_f64 v[35:36], v[33:34], v[31:32]
	v_fma_f64 v[29:30], -v[29:30], v[35:36], v[33:34]
	v_div_fmas_f64 v[29:30], v[29:30], v[31:32], v[35:36]
	v_fma_f64 v[31:32], v[5:6], v[21:22], v[23:24]
	v_div_fixup_f64 v[7:8], v[29:30], v[7:8], 1.0
	v_fma_f64 v[29:30], v[5:6], v[23:24], -v[21:22]
	v_mul_f64 v[5:6], v[31:32], v[7:8]
	v_mul_f64 v[7:8], v[29:30], v[7:8]
.LBB213_92:                             ;   in Loop: Header=BB213_80 Depth=1
	s_andn2_b64 vcc, exec, s[6:7]
	s_cbranch_vccnz .LBB213_94
; %bb.93:                               ;   in Loop: Header=BB213_80 Depth=1
	v_div_scale_f64 v[5:6], s[6:7], v[17:18], v[17:18], v[19:20]
	v_rcp_f64_e32 v[7:8], v[5:6]
	v_fma_f64 v[29:30], -v[5:6], v[7:8], 1.0
	v_fma_f64 v[7:8], v[7:8], v[29:30], v[7:8]
	v_div_scale_f64 v[29:30], vcc, v[19:20], v[17:18], v[19:20]
	v_fma_f64 v[31:32], -v[5:6], v[7:8], 1.0
	v_fma_f64 v[7:8], v[7:8], v[31:32], v[7:8]
	v_mul_f64 v[31:32], v[29:30], v[7:8]
	v_fma_f64 v[5:6], -v[5:6], v[31:32], v[29:30]
	v_div_fmas_f64 v[5:6], v[5:6], v[7:8], v[31:32]
	v_div_fixup_f64 v[5:6], v[5:6], v[17:18], v[19:20]
	v_fma_f64 v[7:8], v[19:20], v[5:6], v[17:18]
	v_div_scale_f64 v[17:18], s[6:7], v[7:8], v[7:8], 1.0
	v_rcp_f64_e32 v[19:20], v[17:18]
	v_fma_f64 v[29:30], -v[17:18], v[19:20], 1.0
	v_fma_f64 v[19:20], v[19:20], v[29:30], v[19:20]
	v_div_scale_f64 v[29:30], vcc, 1.0, v[7:8], 1.0
	v_fma_f64 v[31:32], -v[17:18], v[19:20], 1.0
	v_fma_f64 v[19:20], v[19:20], v[31:32], v[19:20]
	v_mul_f64 v[31:32], v[29:30], v[19:20]
	v_fma_f64 v[17:18], -v[17:18], v[31:32], v[29:30]
	v_div_fmas_f64 v[17:18], v[17:18], v[19:20], v[31:32]
	v_fma_f64 v[19:20], v[5:6], v[23:24], v[21:22]
	v_div_fixup_f64 v[7:8], v[17:18], v[7:8], 1.0
	v_fma_f64 v[17:18], -v[5:6], v[21:22], v[23:24]
	v_mul_f64 v[5:6], v[19:20], v[7:8]
	v_mul_f64 v[7:8], v[17:18], v[7:8]
.LBB213_94:                             ;   in Loop: Header=BB213_80 Depth=1
	s_add_i32 s6, s11, 0xffffff40
	v_mov_b32_e32 v17, s6
	ds_read_b128 v[17:20], v17
	s_add_i32 s6, s11, 0xffffff30
	v_mov_b32_e32 v21, s6
	s_add_i32 s6, s11, 0xffffff20
	v_mov_b32_e32 v29, s6
	ds_read_b128 v[29:32], v29
	s_waitcnt lgkmcnt(1)
	v_mul_f64 v[33:34], v[11:12], v[19:20]
	v_mul_f64 v[19:20], v[9:10], v[19:20]
	ds_read_b128 v[21:24], v21
	s_add_i32 s7, s11, 0xffffff10
	ds_write_b128 v28, v[5:8]
	v_fma_f64 v[33:34], v[9:10], v[17:18], -v[33:34]
	v_mov_b32_e32 v9, s7
	v_fma_f64 v[17:18], v[11:12], v[17:18], v[19:20]
	ds_read_b128 v[9:12], v9
	s_waitcnt lgkmcnt(2)
	v_mul_f64 v[35:36], v[15:16], v[23:24]
	v_mul_f64 v[23:24], v[13:14], v[23:24]
	;; [unrolled: 1-line block ×4, first 2 shown]
	v_add_f64 v[1:2], v[1:2], -v[33:34]
	s_waitcnt lgkmcnt(0)
	v_cmp_ngt_f64_e64 s[14:15], |v[9:10]|, |v[11:12]|
	v_add_f64 v[3:4], v[3:4], -v[17:18]
	s_mov_b64 s[6:7], -1
	v_fma_f64 v[13:14], v[13:14], v[21:22], -v[35:36]
	v_fma_f64 v[15:16], v[15:16], v[21:22], v[23:24]
	v_fma_f64 v[17:18], v[5:6], v[29:30], -v[19:20]
	v_fma_f64 v[19:20], v[7:8], v[29:30], v[31:32]
	s_and_b64 vcc, exec, s[14:15]
	v_add_f64 v[1:2], v[1:2], -v[13:14]
	v_add_f64 v[3:4], v[3:4], -v[15:16]
	;; [unrolled: 1-line block ×4, first 2 shown]
                                        ; implicit-def: $vgpr3_vgpr4
	s_cbranch_vccz .LBB213_96
; %bb.95:                               ;   in Loop: Header=BB213_80 Depth=1
	v_div_scale_f64 v[1:2], s[6:7], v[11:12], v[11:12], v[9:10]
	v_rcp_f64_e32 v[3:4], v[1:2]
	v_fma_f64 v[5:6], -v[1:2], v[3:4], 1.0
	v_fma_f64 v[3:4], v[3:4], v[5:6], v[3:4]
	v_div_scale_f64 v[5:6], vcc, v[9:10], v[11:12], v[9:10]
	v_fma_f64 v[7:8], -v[1:2], v[3:4], 1.0
	v_fma_f64 v[3:4], v[3:4], v[7:8], v[3:4]
	v_mul_f64 v[7:8], v[5:6], v[3:4]
	v_fma_f64 v[1:2], -v[1:2], v[7:8], v[5:6]
	v_div_fmas_f64 v[1:2], v[1:2], v[3:4], v[7:8]
	v_div_fixup_f64 v[1:2], v[1:2], v[11:12], v[9:10]
	v_fma_f64 v[3:4], v[9:10], v[1:2], v[11:12]
	v_div_scale_f64 v[5:6], s[6:7], v[3:4], v[3:4], 1.0
	s_mov_b64 s[6:7], 0
	v_rcp_f64_e32 v[7:8], v[5:6]
	v_fma_f64 v[17:18], -v[5:6], v[7:8], 1.0
	v_fma_f64 v[7:8], v[7:8], v[17:18], v[7:8]
	v_div_scale_f64 v[17:18], vcc, 1.0, v[3:4], 1.0
	v_fma_f64 v[19:20], -v[5:6], v[7:8], 1.0
	v_fma_f64 v[7:8], v[7:8], v[19:20], v[7:8]
	v_mul_f64 v[19:20], v[17:18], v[7:8]
	v_fma_f64 v[5:6], -v[5:6], v[19:20], v[17:18]
	v_div_fmas_f64 v[5:6], v[5:6], v[7:8], v[19:20]
	v_fma_f64 v[7:8], v[1:2], v[13:14], v[15:16]
	v_div_fixup_f64 v[3:4], v[5:6], v[3:4], 1.0
	v_fma_f64 v[5:6], v[1:2], v[15:16], -v[13:14]
	v_mul_f64 v[1:2], v[7:8], v[3:4]
	v_mul_f64 v[3:4], v[5:6], v[3:4]
.LBB213_96:                             ;   in Loop: Header=BB213_80 Depth=1
	s_andn2_b64 vcc, exec, s[6:7]
	s_cbranch_vccnz .LBB213_98
; %bb.97:                               ;   in Loop: Header=BB213_80 Depth=1
	v_div_scale_f64 v[1:2], s[6:7], v[9:10], v[9:10], v[11:12]
	v_rcp_f64_e32 v[3:4], v[1:2]
	v_fma_f64 v[5:6], -v[1:2], v[3:4], 1.0
	v_fma_f64 v[3:4], v[3:4], v[5:6], v[3:4]
	v_div_scale_f64 v[5:6], vcc, v[11:12], v[9:10], v[11:12]
	v_fma_f64 v[7:8], -v[1:2], v[3:4], 1.0
	v_fma_f64 v[3:4], v[3:4], v[7:8], v[3:4]
	v_mul_f64 v[7:8], v[5:6], v[3:4]
	v_fma_f64 v[1:2], -v[1:2], v[7:8], v[5:6]
	v_div_fmas_f64 v[1:2], v[1:2], v[3:4], v[7:8]
	v_div_fixup_f64 v[1:2], v[1:2], v[9:10], v[11:12]
	v_fma_f64 v[3:4], v[11:12], v[1:2], v[9:10]
	v_div_scale_f64 v[5:6], s[6:7], v[3:4], v[3:4], 1.0
	v_rcp_f64_e32 v[7:8], v[5:6]
	v_fma_f64 v[9:10], -v[5:6], v[7:8], 1.0
	v_fma_f64 v[7:8], v[7:8], v[9:10], v[7:8]
	v_div_scale_f64 v[9:10], vcc, 1.0, v[3:4], 1.0
	v_fma_f64 v[11:12], -v[5:6], v[7:8], 1.0
	v_fma_f64 v[7:8], v[7:8], v[11:12], v[7:8]
	v_mul_f64 v[11:12], v[9:10], v[7:8]
	v_fma_f64 v[5:6], -v[5:6], v[11:12], v[9:10]
	v_div_fmas_f64 v[5:6], v[5:6], v[7:8], v[11:12]
	v_fma_f64 v[7:8], v[1:2], v[15:16], v[13:14]
	v_div_fixup_f64 v[3:4], v[5:6], v[3:4], 1.0
	v_fma_f64 v[5:6], -v[1:2], v[13:14], v[15:16]
	v_mul_f64 v[1:2], v[7:8], v[3:4]
	v_mul_f64 v[3:4], v[5:6], v[3:4]
.LBB213_98:                             ;   in Loop: Header=BB213_80 Depth=1
	s_add_i32 s11, s10, -4
	s_addk_i32 s9, 0xfd00
	s_cmp_lt_i32 s10, 7
	ds_write_b128 v27, v[1:4]
	s_cbranch_scc1 .LBB213_100
; %bb.99:                               ;   in Loop: Header=BB213_80 Depth=1
	s_mov_b32 s10, s11
	s_branch .LBB213_80
.LBB213_100:
	s_cmp_lt_i32 s11, 0
	s_cbranch_scc1 .LBB213_109
; %bb.101:
	s_mul_i32 s6, s11, 0xc0
	s_lshl_b32 s7, s25, 4
	v_lshl_add_u32 v1, v0, 4, s8
	s_add_i32 s6, s6, s7
	v_add_u32_e32 v13, 0x840, v1
	s_add_i32 s8, s6, -16
	s_branch .LBB213_103
.LBB213_102:                            ;   in Loop: Header=BB213_103 Depth=1
	v_sub_co_u32_e64 v1, s[6:7], s11, 1
	v_readfirstlane_b32 s11, v1
	s_addk_i32 s8, 0xff40
	s_and_b64 vcc, exec, s[6:7]
	ds_write_b128 v14, v[9:12]
	s_cbranch_vccnz .LBB213_109
.LBB213_103:                            ; =>This Loop Header: Depth=1
                                        ;     Child Loop BB213_104 Depth 2
	s_mul_i32 s6, s11, 0xc0
	v_add_u32_e32 v14, s6, v25
	ds_read_b128 v[1:4], v14
	s_cmp_le_i32 s13, s11
	s_mov_b32 s6, s8
	v_mov_b32_e32 v5, v13
	s_mov_b32 s7, s13
	s_cbranch_scc1 .LBB213_105
.LBB213_104:                            ;   Parent Loop BB213_103 Depth=1
                                        ; =>  This Inner Loop Header: Depth=2
	v_mov_b32_e32 v10, s6
	ds_read_b128 v[6:9], v5
	ds_read_b128 v[15:18], v10
	s_add_i32 s7, s7, -1
	s_add_i32 s6, s6, -16
	s_cmp_le_u32 s7, s11
	v_add_u32_e32 v5, 0xffffff40, v5
	s_waitcnt lgkmcnt(0)
	v_mul_f64 v[10:11], v[17:18], v[8:9]
	v_mul_f64 v[8:9], v[15:16], v[8:9]
	v_fma_f64 v[10:11], v[15:16], v[6:7], -v[10:11]
	v_fma_f64 v[6:7], v[17:18], v[6:7], v[8:9]
	v_add_f64 v[1:2], v[1:2], -v[10:11]
	v_add_f64 v[3:4], v[3:4], -v[6:7]
	s_cbranch_scc0 .LBB213_104
.LBB213_105:                            ;   in Loop: Header=BB213_103 Depth=1
	s_mul_i32 s6, s11, 0xd0
	v_mov_b32_e32 v5, s6
	ds_read_b128 v[5:8], v5
	s_mov_b64 s[6:7], -1
                                        ; implicit-def: $vgpr9_vgpr10
	s_waitcnt lgkmcnt(0)
	v_cmp_ngt_f64_e64 s[14:15], |v[5:6]|, |v[7:8]|
	s_and_b64 vcc, exec, s[14:15]
	s_cbranch_vccz .LBB213_107
; %bb.106:                              ;   in Loop: Header=BB213_103 Depth=1
	v_div_scale_f64 v[9:10], s[6:7], v[7:8], v[7:8], v[5:6]
	v_rcp_f64_e32 v[11:12], v[9:10]
	v_fma_f64 v[15:16], -v[9:10], v[11:12], 1.0
	v_fma_f64 v[11:12], v[11:12], v[15:16], v[11:12]
	v_div_scale_f64 v[15:16], vcc, v[5:6], v[7:8], v[5:6]
	v_fma_f64 v[17:18], -v[9:10], v[11:12], 1.0
	v_fma_f64 v[11:12], v[11:12], v[17:18], v[11:12]
	v_mul_f64 v[17:18], v[15:16], v[11:12]
	v_fma_f64 v[9:10], -v[9:10], v[17:18], v[15:16]
	v_div_fmas_f64 v[9:10], v[9:10], v[11:12], v[17:18]
	v_div_fixup_f64 v[9:10], v[9:10], v[7:8], v[5:6]
	v_fma_f64 v[11:12], v[5:6], v[9:10], v[7:8]
	v_div_scale_f64 v[15:16], s[6:7], v[11:12], v[11:12], 1.0
	s_mov_b64 s[6:7], 0
	v_rcp_f64_e32 v[17:18], v[15:16]
	v_fma_f64 v[19:20], -v[15:16], v[17:18], 1.0
	v_fma_f64 v[17:18], v[17:18], v[19:20], v[17:18]
	v_div_scale_f64 v[19:20], vcc, 1.0, v[11:12], 1.0
	v_fma_f64 v[21:22], -v[15:16], v[17:18], 1.0
	v_fma_f64 v[17:18], v[17:18], v[21:22], v[17:18]
	v_mul_f64 v[21:22], v[19:20], v[17:18]
	v_fma_f64 v[15:16], -v[15:16], v[21:22], v[19:20]
	v_div_fmas_f64 v[15:16], v[15:16], v[17:18], v[21:22]
	v_fma_f64 v[17:18], v[1:2], v[9:10], v[3:4]
	v_div_fixup_f64 v[11:12], v[15:16], v[11:12], 1.0
	v_fma_f64 v[15:16], v[3:4], v[9:10], -v[1:2]
	v_mul_f64 v[9:10], v[17:18], v[11:12]
	v_mul_f64 v[11:12], v[15:16], v[11:12]
.LBB213_107:                            ;   in Loop: Header=BB213_103 Depth=1
	s_andn2_b64 vcc, exec, s[6:7]
	s_cbranch_vccnz .LBB213_102
; %bb.108:                              ;   in Loop: Header=BB213_103 Depth=1
	v_div_scale_f64 v[9:10], s[6:7], v[5:6], v[5:6], v[7:8]
	v_rcp_f64_e32 v[11:12], v[9:10]
	v_fma_f64 v[15:16], -v[9:10], v[11:12], 1.0
	v_fma_f64 v[11:12], v[11:12], v[15:16], v[11:12]
	v_div_scale_f64 v[15:16], vcc, v[7:8], v[5:6], v[7:8]
	v_fma_f64 v[17:18], -v[9:10], v[11:12], 1.0
	v_fma_f64 v[11:12], v[11:12], v[17:18], v[11:12]
	v_mul_f64 v[17:18], v[15:16], v[11:12]
	v_fma_f64 v[9:10], -v[9:10], v[17:18], v[15:16]
	v_div_fmas_f64 v[9:10], v[9:10], v[11:12], v[17:18]
	v_div_fixup_f64 v[9:10], v[9:10], v[5:6], v[7:8]
	v_fma_f64 v[5:6], v[7:8], v[9:10], v[5:6]
	v_div_scale_f64 v[7:8], s[6:7], v[5:6], v[5:6], 1.0
	v_rcp_f64_e32 v[11:12], v[7:8]
	v_fma_f64 v[15:16], -v[7:8], v[11:12], 1.0
	v_fma_f64 v[11:12], v[11:12], v[15:16], v[11:12]
	v_div_scale_f64 v[15:16], vcc, 1.0, v[5:6], 1.0
	v_fma_f64 v[17:18], -v[7:8], v[11:12], 1.0
	v_fma_f64 v[11:12], v[11:12], v[17:18], v[11:12]
	v_mul_f64 v[17:18], v[15:16], v[11:12]
	v_fma_f64 v[7:8], -v[7:8], v[17:18], v[15:16]
	v_div_fmas_f64 v[7:8], v[7:8], v[11:12], v[17:18]
	v_fma_f64 v[11:12], v[3:4], v[9:10], v[1:2]
	v_fma_f64 v[1:2], -v[1:2], v[9:10], v[3:4]
	v_div_fixup_f64 v[5:6], v[7:8], v[5:6], 1.0
	v_mul_f64 v[9:10], v[11:12], v[5:6]
	v_mul_f64 v[11:12], v[1:2], v[5:6]
	s_branch .LBB213_102
.LBB213_109:
	s_mov_b64 s[10:11], 0
.LBB213_110:
	s_andn2_b64 vcc, exec, s[10:11]
	s_cbranch_vccnz .LBB213_142
; %bb.111:
	v_mov_b32_e32 v1, 0x900
	v_lshl_or_b32 v25, v0, 4, v1
	s_cmp_lt_i32 s24, 4
	s_mov_b32 s10, 0
	s_cbranch_scc1 .LBB213_133
; %bb.112:
	s_mov_b32 s8, 0
	s_mov_b32 s9, 0
.LBB213_113:                            ; =>This Loop Header: Depth=1
                                        ;     Child Loop BB213_114 Depth 2
	s_mul_i32 s10, s9, 12
	v_lshl_add_u32 v26, s10, 4, v25
	ds_read_b128 v[17:20], v26
	ds_read_b128 v[13:16], v26 offset:192
	ds_read_b128 v[5:8], v26 offset:384
	;; [unrolled: 1-line block ×3, first 2 shown]
	s_cmp_eq_u32 s9, 0
	s_mov_b32 s6, s8
	v_mov_b32_e32 v9, v25
	s_mov_b32 s7, s9
	s_cbranch_scc1 .LBB213_115
.LBB213_114:                            ;   Parent Loop BB213_113 Depth=1
                                        ; =>  This Inner Loop Header: Depth=2
	v_mov_b32_e32 v10, s6
	ds_read_b128 v[21:24], v9
	ds_read_b128 v[27:30], v10
	ds_read_b128 v[31:34], v10 offset:192
	ds_read_b128 v[35:38], v10 offset:384
	;; [unrolled: 1-line block ×3, first 2 shown]
	s_add_i32 s7, s7, -1
	s_add_i32 s6, s6, 16
	s_cmp_eq_u32 s7, 0
	s_waitcnt lgkmcnt(3)
	v_mul_f64 v[10:11], v[23:24], v[29:30]
	v_mul_f64 v[29:30], v[21:22], v[29:30]
	s_waitcnt lgkmcnt(2)
	v_mul_f64 v[43:44], v[23:24], v[33:34]
	v_mul_f64 v[33:34], v[21:22], v[33:34]
	;; [unrolled: 3-line block ×4, first 2 shown]
	v_fma_f64 v[10:11], v[21:22], v[27:28], -v[10:11]
	v_fma_f64 v[27:28], v[23:24], v[27:28], v[29:30]
	v_fma_f64 v[29:30], v[21:22], v[31:32], -v[43:44]
	v_fma_f64 v[31:32], v[23:24], v[31:32], v[33:34]
	;; [unrolled: 2-line block ×4, first 2 shown]
	v_add_f64 v[17:18], v[17:18], -v[10:11]
	v_add_f64 v[19:20], v[19:20], -v[27:28]
	;; [unrolled: 1-line block ×8, first 2 shown]
	v_add_u32_e32 v9, 0xc0, v9
	s_cbranch_scc0 .LBB213_114
.LBB213_115:                            ;   in Loop: Header=BB213_113 Depth=1
	s_mul_i32 s6, s9, 0xd0
	v_mov_b32_e32 v9, s6
	ds_read_b128 v[21:24], v9
	s_mov_b64 s[6:7], -1
                                        ; implicit-def: $vgpr11_vgpr12
	s_waitcnt lgkmcnt(0)
	v_cmp_ngt_f64_e64 s[14:15], |v[21:22]|, |v[23:24]|
	s_and_b64 vcc, exec, s[14:15]
	s_cbranch_vccz .LBB213_117
; %bb.116:                              ;   in Loop: Header=BB213_113 Depth=1
	v_div_scale_f64 v[9:10], s[6:7], v[23:24], v[23:24], v[21:22]
	v_rcp_f64_e32 v[11:12], v[9:10]
	v_fma_f64 v[27:28], -v[9:10], v[11:12], 1.0
	v_fma_f64 v[11:12], v[11:12], v[27:28], v[11:12]
	v_div_scale_f64 v[27:28], vcc, v[21:22], v[23:24], v[21:22]
	v_fma_f64 v[29:30], -v[9:10], v[11:12], 1.0
	v_fma_f64 v[11:12], v[11:12], v[29:30], v[11:12]
	v_mul_f64 v[29:30], v[27:28], v[11:12]
	v_fma_f64 v[9:10], -v[9:10], v[29:30], v[27:28]
	v_div_fmas_f64 v[9:10], v[9:10], v[11:12], v[29:30]
	v_div_fixup_f64 v[9:10], v[9:10], v[23:24], v[21:22]
	v_fma_f64 v[11:12], v[21:22], v[9:10], v[23:24]
	v_div_scale_f64 v[27:28], s[6:7], v[11:12], v[11:12], 1.0
	s_mov_b64 s[6:7], 0
	v_rcp_f64_e32 v[29:30], v[27:28]
	v_fma_f64 v[31:32], -v[27:28], v[29:30], 1.0
	v_fma_f64 v[29:30], v[29:30], v[31:32], v[29:30]
	v_div_scale_f64 v[31:32], vcc, 1.0, v[11:12], 1.0
	v_fma_f64 v[33:34], -v[27:28], v[29:30], 1.0
	v_fma_f64 v[29:30], v[29:30], v[33:34], v[29:30]
	v_mul_f64 v[33:34], v[31:32], v[29:30]
	v_fma_f64 v[27:28], -v[27:28], v[33:34], v[31:32]
	v_div_fmas_f64 v[27:28], v[27:28], v[29:30], v[33:34]
	v_fma_f64 v[29:30], v[17:18], v[9:10], v[19:20]
	v_div_fixup_f64 v[11:12], v[27:28], v[11:12], 1.0
	v_fma_f64 v[27:28], v[19:20], v[9:10], -v[17:18]
	v_mul_f64 v[9:10], v[29:30], v[11:12]
	v_mul_f64 v[11:12], v[27:28], v[11:12]
.LBB213_117:                            ;   in Loop: Header=BB213_113 Depth=1
	s_andn2_b64 vcc, exec, s[6:7]
	s_cbranch_vccnz .LBB213_119
; %bb.118:                              ;   in Loop: Header=BB213_113 Depth=1
	v_div_scale_f64 v[9:10], s[6:7], v[21:22], v[21:22], v[23:24]
	v_rcp_f64_e32 v[11:12], v[9:10]
	v_fma_f64 v[27:28], -v[9:10], v[11:12], 1.0
	v_fma_f64 v[11:12], v[11:12], v[27:28], v[11:12]
	v_div_scale_f64 v[27:28], vcc, v[23:24], v[21:22], v[23:24]
	v_fma_f64 v[29:30], -v[9:10], v[11:12], 1.0
	v_fma_f64 v[11:12], v[11:12], v[29:30], v[11:12]
	v_mul_f64 v[29:30], v[27:28], v[11:12]
	v_fma_f64 v[9:10], -v[9:10], v[29:30], v[27:28]
	v_div_fmas_f64 v[9:10], v[9:10], v[11:12], v[29:30]
	v_div_fixup_f64 v[9:10], v[9:10], v[21:22], v[23:24]
	v_fma_f64 v[11:12], v[23:24], v[9:10], v[21:22]
	v_div_scale_f64 v[21:22], s[6:7], v[11:12], v[11:12], 1.0
	v_rcp_f64_e32 v[23:24], v[21:22]
	v_fma_f64 v[27:28], -v[21:22], v[23:24], 1.0
	v_fma_f64 v[23:24], v[23:24], v[27:28], v[23:24]
	v_div_scale_f64 v[27:28], vcc, 1.0, v[11:12], 1.0
	v_fma_f64 v[29:30], -v[21:22], v[23:24], 1.0
	v_fma_f64 v[23:24], v[23:24], v[29:30], v[23:24]
	v_mul_f64 v[29:30], v[27:28], v[23:24]
	v_fma_f64 v[21:22], -v[21:22], v[29:30], v[27:28]
	v_div_fmas_f64 v[21:22], v[21:22], v[23:24], v[29:30]
	v_fma_f64 v[23:24], v[19:20], v[9:10], v[17:18]
	v_fma_f64 v[17:18], -v[17:18], v[9:10], v[19:20]
	v_div_fixup_f64 v[11:12], v[21:22], v[11:12], 1.0
	v_mul_f64 v[9:10], v[23:24], v[11:12]
	v_mul_f64 v[11:12], v[17:18], v[11:12]
.LBB213_119:                            ;   in Loop: Header=BB213_113 Depth=1
	s_lshl_b32 s10, s10, 4
	s_addk_i32 s10, 0xc0
	s_lshl_b32 s11, s9, 4
	s_add_i32 s6, s10, s11
	v_mov_b32_e32 v17, s6
	ds_read_b128 v[21:24], v17
	ds_read_b128 v[17:20], v17 offset:16
	s_mov_b64 s[6:7], -1
	ds_write_b128 v26, v[9:12]
	s_waitcnt lgkmcnt(2)
	v_mul_f64 v[27:28], v[11:12], v[23:24]
	v_mul_f64 v[23:24], v[9:10], v[23:24]
	s_waitcnt lgkmcnt(1)
	v_cmp_ngt_f64_e64 s[14:15], |v[17:18]|, |v[19:20]|
	v_fma_f64 v[27:28], v[9:10], v[21:22], -v[27:28]
	v_fma_f64 v[23:24], v[11:12], v[21:22], v[23:24]
	s_and_b64 vcc, exec, s[14:15]
	v_add_f64 v[21:22], v[13:14], -v[27:28]
	v_add_f64 v[23:24], v[15:16], -v[23:24]
                                        ; implicit-def: $vgpr15_vgpr16
	s_cbranch_vccz .LBB213_121
; %bb.120:                              ;   in Loop: Header=BB213_113 Depth=1
	v_div_scale_f64 v[13:14], s[6:7], v[19:20], v[19:20], v[17:18]
	v_rcp_f64_e32 v[15:16], v[13:14]
	v_fma_f64 v[27:28], -v[13:14], v[15:16], 1.0
	v_fma_f64 v[15:16], v[15:16], v[27:28], v[15:16]
	v_div_scale_f64 v[27:28], vcc, v[17:18], v[19:20], v[17:18]
	v_fma_f64 v[29:30], -v[13:14], v[15:16], 1.0
	v_fma_f64 v[15:16], v[15:16], v[29:30], v[15:16]
	v_mul_f64 v[29:30], v[27:28], v[15:16]
	v_fma_f64 v[13:14], -v[13:14], v[29:30], v[27:28]
	v_div_fmas_f64 v[13:14], v[13:14], v[15:16], v[29:30]
	v_div_fixup_f64 v[13:14], v[13:14], v[19:20], v[17:18]
	v_fma_f64 v[15:16], v[17:18], v[13:14], v[19:20]
	v_div_scale_f64 v[27:28], s[6:7], v[15:16], v[15:16], 1.0
	s_mov_b64 s[6:7], 0
	v_rcp_f64_e32 v[29:30], v[27:28]
	v_fma_f64 v[31:32], -v[27:28], v[29:30], 1.0
	v_fma_f64 v[29:30], v[29:30], v[31:32], v[29:30]
	v_div_scale_f64 v[31:32], vcc, 1.0, v[15:16], 1.0
	v_fma_f64 v[33:34], -v[27:28], v[29:30], 1.0
	v_fma_f64 v[29:30], v[29:30], v[33:34], v[29:30]
	v_mul_f64 v[33:34], v[31:32], v[29:30]
	v_fma_f64 v[27:28], -v[27:28], v[33:34], v[31:32]
	v_div_fmas_f64 v[27:28], v[27:28], v[29:30], v[33:34]
	v_fma_f64 v[29:30], v[13:14], v[21:22], v[23:24]
	v_div_fixup_f64 v[15:16], v[27:28], v[15:16], 1.0
	v_fma_f64 v[27:28], v[13:14], v[23:24], -v[21:22]
	v_mul_f64 v[13:14], v[29:30], v[15:16]
	v_mul_f64 v[15:16], v[27:28], v[15:16]
.LBB213_121:                            ;   in Loop: Header=BB213_113 Depth=1
	s_andn2_b64 vcc, exec, s[6:7]
	s_cbranch_vccnz .LBB213_123
; %bb.122:                              ;   in Loop: Header=BB213_113 Depth=1
	v_div_scale_f64 v[13:14], s[6:7], v[17:18], v[17:18], v[19:20]
	v_rcp_f64_e32 v[15:16], v[13:14]
	v_fma_f64 v[27:28], -v[13:14], v[15:16], 1.0
	v_fma_f64 v[15:16], v[15:16], v[27:28], v[15:16]
	v_div_scale_f64 v[27:28], vcc, v[19:20], v[17:18], v[19:20]
	v_fma_f64 v[29:30], -v[13:14], v[15:16], 1.0
	v_fma_f64 v[15:16], v[15:16], v[29:30], v[15:16]
	v_mul_f64 v[29:30], v[27:28], v[15:16]
	v_fma_f64 v[13:14], -v[13:14], v[29:30], v[27:28]
	v_div_fmas_f64 v[13:14], v[13:14], v[15:16], v[29:30]
	v_div_fixup_f64 v[13:14], v[13:14], v[17:18], v[19:20]
	v_fma_f64 v[15:16], v[19:20], v[13:14], v[17:18]
	v_div_scale_f64 v[17:18], s[6:7], v[15:16], v[15:16], 1.0
	v_rcp_f64_e32 v[19:20], v[17:18]
	v_fma_f64 v[27:28], -v[17:18], v[19:20], 1.0
	v_fma_f64 v[19:20], v[19:20], v[27:28], v[19:20]
	v_div_scale_f64 v[27:28], vcc, 1.0, v[15:16], 1.0
	v_fma_f64 v[29:30], -v[17:18], v[19:20], 1.0
	v_fma_f64 v[19:20], v[19:20], v[29:30], v[19:20]
	v_mul_f64 v[29:30], v[27:28], v[19:20]
	v_fma_f64 v[17:18], -v[17:18], v[29:30], v[27:28]
	v_div_fmas_f64 v[17:18], v[17:18], v[19:20], v[29:30]
	v_fma_f64 v[19:20], v[13:14], v[23:24], v[21:22]
	v_div_fixup_f64 v[15:16], v[17:18], v[15:16], 1.0
	v_fma_f64 v[17:18], -v[13:14], v[21:22], v[23:24]
	v_mul_f64 v[13:14], v[19:20], v[15:16]
	v_mul_f64 v[15:16], v[17:18], v[15:16]
.LBB213_123:                            ;   in Loop: Header=BB213_113 Depth=1
	s_addk_i32 s10, 0xc0
	s_add_i32 s10, s10, s11
	v_mov_b32_e32 v33, s10
	ds_read_b128 v[17:20], v33
	ds_read_b128 v[21:24], v33 offset:16
	s_mov_b64 s[6:7], -1
	ds_write_b128 v26, v[13:16] offset:192
	s_waitcnt lgkmcnt(2)
	v_mul_f64 v[27:28], v[11:12], v[19:20]
	v_mul_f64 v[19:20], v[9:10], v[19:20]
	s_waitcnt lgkmcnt(1)
	v_mul_f64 v[29:30], v[15:16], v[23:24]
	v_mul_f64 v[23:24], v[13:14], v[23:24]
	v_fma_f64 v[27:28], v[9:10], v[17:18], -v[27:28]
	v_fma_f64 v[31:32], v[11:12], v[17:18], v[19:20]
	v_fma_f64 v[29:30], v[13:14], v[21:22], -v[29:30]
	v_fma_f64 v[21:22], v[15:16], v[21:22], v[23:24]
	ds_read_b128 v[17:20], v33 offset:32
	v_add_f64 v[5:6], v[5:6], -v[27:28]
	v_add_f64 v[7:8], v[7:8], -v[31:32]
	s_waitcnt lgkmcnt(0)
	v_cmp_ngt_f64_e64 s[14:15], |v[17:18]|, |v[19:20]|
	v_add_f64 v[5:6], v[5:6], -v[29:30]
	v_add_f64 v[7:8], v[7:8], -v[21:22]
	s_and_b64 vcc, exec, s[14:15]
                                        ; implicit-def: $vgpr23_vgpr24
	s_cbranch_vccz .LBB213_125
; %bb.124:                              ;   in Loop: Header=BB213_113 Depth=1
	v_div_scale_f64 v[21:22], s[6:7], v[19:20], v[19:20], v[17:18]
	v_rcp_f64_e32 v[23:24], v[21:22]
	v_fma_f64 v[27:28], -v[21:22], v[23:24], 1.0
	v_fma_f64 v[23:24], v[23:24], v[27:28], v[23:24]
	v_div_scale_f64 v[27:28], vcc, v[17:18], v[19:20], v[17:18]
	v_fma_f64 v[29:30], -v[21:22], v[23:24], 1.0
	v_fma_f64 v[23:24], v[23:24], v[29:30], v[23:24]
	v_mul_f64 v[29:30], v[27:28], v[23:24]
	v_fma_f64 v[21:22], -v[21:22], v[29:30], v[27:28]
	v_div_fmas_f64 v[21:22], v[21:22], v[23:24], v[29:30]
	v_div_fixup_f64 v[21:22], v[21:22], v[19:20], v[17:18]
	v_fma_f64 v[23:24], v[17:18], v[21:22], v[19:20]
	v_div_scale_f64 v[27:28], s[6:7], v[23:24], v[23:24], 1.0
	s_mov_b64 s[6:7], 0
	v_rcp_f64_e32 v[29:30], v[27:28]
	v_fma_f64 v[31:32], -v[27:28], v[29:30], 1.0
	v_fma_f64 v[29:30], v[29:30], v[31:32], v[29:30]
	v_div_scale_f64 v[31:32], vcc, 1.0, v[23:24], 1.0
	v_fma_f64 v[33:34], -v[27:28], v[29:30], 1.0
	v_fma_f64 v[29:30], v[29:30], v[33:34], v[29:30]
	v_mul_f64 v[33:34], v[31:32], v[29:30]
	v_fma_f64 v[27:28], -v[27:28], v[33:34], v[31:32]
	v_div_fmas_f64 v[27:28], v[27:28], v[29:30], v[33:34]
	v_fma_f64 v[29:30], v[21:22], v[5:6], v[7:8]
	v_div_fixup_f64 v[23:24], v[27:28], v[23:24], 1.0
	v_fma_f64 v[27:28], v[21:22], v[7:8], -v[5:6]
	v_mul_f64 v[21:22], v[29:30], v[23:24]
	v_mul_f64 v[23:24], v[27:28], v[23:24]
.LBB213_125:                            ;   in Loop: Header=BB213_113 Depth=1
	s_andn2_b64 vcc, exec, s[6:7]
	s_cbranch_vccnz .LBB213_127
; %bb.126:                              ;   in Loop: Header=BB213_113 Depth=1
	v_div_scale_f64 v[21:22], s[6:7], v[17:18], v[17:18], v[19:20]
	v_rcp_f64_e32 v[23:24], v[21:22]
	v_fma_f64 v[27:28], -v[21:22], v[23:24], 1.0
	v_fma_f64 v[23:24], v[23:24], v[27:28], v[23:24]
	v_div_scale_f64 v[27:28], vcc, v[19:20], v[17:18], v[19:20]
	v_fma_f64 v[29:30], -v[21:22], v[23:24], 1.0
	v_fma_f64 v[23:24], v[23:24], v[29:30], v[23:24]
	v_mul_f64 v[29:30], v[27:28], v[23:24]
	v_fma_f64 v[21:22], -v[21:22], v[29:30], v[27:28]
	v_div_fmas_f64 v[21:22], v[21:22], v[23:24], v[29:30]
	v_div_fixup_f64 v[21:22], v[21:22], v[17:18], v[19:20]
	v_fma_f64 v[17:18], v[19:20], v[21:22], v[17:18]
	v_div_scale_f64 v[19:20], s[6:7], v[17:18], v[17:18], 1.0
	v_rcp_f64_e32 v[23:24], v[19:20]
	v_fma_f64 v[27:28], -v[19:20], v[23:24], 1.0
	v_fma_f64 v[23:24], v[23:24], v[27:28], v[23:24]
	v_div_scale_f64 v[27:28], vcc, 1.0, v[17:18], 1.0
	v_fma_f64 v[29:30], -v[19:20], v[23:24], 1.0
	v_fma_f64 v[23:24], v[23:24], v[29:30], v[23:24]
	v_mul_f64 v[29:30], v[27:28], v[23:24]
	v_fma_f64 v[19:20], -v[19:20], v[29:30], v[27:28]
	v_div_fmas_f64 v[19:20], v[19:20], v[23:24], v[29:30]
	v_fma_f64 v[23:24], v[21:22], v[7:8], v[5:6]
	v_fma_f64 v[5:6], -v[21:22], v[5:6], v[7:8]
	v_div_fixup_f64 v[17:18], v[19:20], v[17:18], 1.0
	v_mul_f64 v[21:22], v[23:24], v[17:18]
	v_mul_f64 v[23:24], v[5:6], v[17:18]
.LBB213_127:                            ;   in Loop: Header=BB213_113 Depth=1
	v_mov_b32_e32 v35, s10
	ds_read_b128 v[5:8], v35 offset:192
	ds_read_b128 v[17:20], v35 offset:208
	;; [unrolled: 1-line block ×3, first 2 shown]
	s_mov_b64 s[6:7], -1
	ds_write_b128 v26, v[21:24] offset:384
	s_waitcnt lgkmcnt(3)
	v_mul_f64 v[31:32], v[11:12], v[7:8]
	v_mul_f64 v[7:8], v[9:10], v[7:8]
	s_waitcnt lgkmcnt(2)
	v_mul_f64 v[33:34], v[15:16], v[19:20]
	v_mul_f64 v[19:20], v[13:14], v[19:20]
	v_fma_f64 v[9:10], v[9:10], v[5:6], -v[31:32]
	v_fma_f64 v[11:12], v[11:12], v[5:6], v[7:8]
	ds_read_b128 v[5:8], v35 offset:240
	s_waitcnt lgkmcnt(2)
	v_mul_f64 v[31:32], v[23:24], v[29:30]
	v_mul_f64 v[29:30], v[21:22], v[29:30]
	v_fma_f64 v[13:14], v[13:14], v[17:18], -v[33:34]
	v_fma_f64 v[15:16], v[15:16], v[17:18], v[19:20]
	s_waitcnt lgkmcnt(0)
	v_cmp_ngt_f64_e64 s[10:11], |v[5:6]|, |v[7:8]|
	v_add_f64 v[1:2], v[1:2], -v[9:10]
	v_add_f64 v[3:4], v[3:4], -v[11:12]
	v_fma_f64 v[9:10], v[21:22], v[27:28], -v[31:32]
	v_fma_f64 v[11:12], v[23:24], v[27:28], v[29:30]
	s_and_b64 vcc, exec, s[10:11]
	v_add_f64 v[1:2], v[1:2], -v[13:14]
	v_add_f64 v[3:4], v[3:4], -v[15:16]
	;; [unrolled: 1-line block ×4, first 2 shown]
                                        ; implicit-def: $vgpr3_vgpr4
	s_cbranch_vccz .LBB213_129
; %bb.128:                              ;   in Loop: Header=BB213_113 Depth=1
	v_div_scale_f64 v[1:2], s[6:7], v[7:8], v[7:8], v[5:6]
	v_rcp_f64_e32 v[3:4], v[1:2]
	v_fma_f64 v[13:14], -v[1:2], v[3:4], 1.0
	v_fma_f64 v[3:4], v[3:4], v[13:14], v[3:4]
	v_div_scale_f64 v[13:14], vcc, v[5:6], v[7:8], v[5:6]
	v_fma_f64 v[15:16], -v[1:2], v[3:4], 1.0
	v_fma_f64 v[3:4], v[3:4], v[15:16], v[3:4]
	v_mul_f64 v[15:16], v[13:14], v[3:4]
	v_fma_f64 v[1:2], -v[1:2], v[15:16], v[13:14]
	v_div_fmas_f64 v[1:2], v[1:2], v[3:4], v[15:16]
	v_div_fixup_f64 v[1:2], v[1:2], v[7:8], v[5:6]
	v_fma_f64 v[3:4], v[5:6], v[1:2], v[7:8]
	v_div_scale_f64 v[13:14], s[6:7], v[3:4], v[3:4], 1.0
	s_mov_b64 s[6:7], 0
	v_rcp_f64_e32 v[15:16], v[13:14]
	v_fma_f64 v[17:18], -v[13:14], v[15:16], 1.0
	v_fma_f64 v[15:16], v[15:16], v[17:18], v[15:16]
	v_div_scale_f64 v[17:18], vcc, 1.0, v[3:4], 1.0
	v_fma_f64 v[19:20], -v[13:14], v[15:16], 1.0
	v_fma_f64 v[15:16], v[15:16], v[19:20], v[15:16]
	v_mul_f64 v[19:20], v[17:18], v[15:16]
	v_fma_f64 v[13:14], -v[13:14], v[19:20], v[17:18]
	v_div_fmas_f64 v[13:14], v[13:14], v[15:16], v[19:20]
	v_fma_f64 v[15:16], v[1:2], v[9:10], v[11:12]
	v_div_fixup_f64 v[3:4], v[13:14], v[3:4], 1.0
	v_fma_f64 v[13:14], v[1:2], v[11:12], -v[9:10]
	v_mul_f64 v[1:2], v[15:16], v[3:4]
	v_mul_f64 v[3:4], v[13:14], v[3:4]
.LBB213_129:                            ;   in Loop: Header=BB213_113 Depth=1
	s_andn2_b64 vcc, exec, s[6:7]
	s_cbranch_vccnz .LBB213_131
; %bb.130:                              ;   in Loop: Header=BB213_113 Depth=1
	v_div_scale_f64 v[1:2], s[6:7], v[5:6], v[5:6], v[7:8]
	v_rcp_f64_e32 v[3:4], v[1:2]
	v_fma_f64 v[13:14], -v[1:2], v[3:4], 1.0
	v_fma_f64 v[3:4], v[3:4], v[13:14], v[3:4]
	v_div_scale_f64 v[13:14], vcc, v[7:8], v[5:6], v[7:8]
	v_fma_f64 v[15:16], -v[1:2], v[3:4], 1.0
	v_fma_f64 v[3:4], v[3:4], v[15:16], v[3:4]
	v_mul_f64 v[15:16], v[13:14], v[3:4]
	v_fma_f64 v[1:2], -v[1:2], v[15:16], v[13:14]
	v_div_fmas_f64 v[1:2], v[1:2], v[3:4], v[15:16]
	v_div_fixup_f64 v[1:2], v[1:2], v[5:6], v[7:8]
	v_fma_f64 v[3:4], v[7:8], v[1:2], v[5:6]
	v_div_scale_f64 v[5:6], s[6:7], v[3:4], v[3:4], 1.0
	v_rcp_f64_e32 v[7:8], v[5:6]
	v_fma_f64 v[13:14], -v[5:6], v[7:8], 1.0
	v_fma_f64 v[7:8], v[7:8], v[13:14], v[7:8]
	v_div_scale_f64 v[13:14], vcc, 1.0, v[3:4], 1.0
	v_fma_f64 v[15:16], -v[5:6], v[7:8], 1.0
	v_fma_f64 v[7:8], v[7:8], v[15:16], v[7:8]
	v_mul_f64 v[15:16], v[13:14], v[7:8]
	v_fma_f64 v[5:6], -v[5:6], v[15:16], v[13:14]
	v_div_fmas_f64 v[5:6], v[5:6], v[7:8], v[15:16]
	v_fma_f64 v[7:8], v[1:2], v[11:12], v[9:10]
	v_div_fixup_f64 v[3:4], v[5:6], v[3:4], 1.0
	v_fma_f64 v[5:6], -v[1:2], v[9:10], v[11:12]
	v_mul_f64 v[1:2], v[7:8], v[3:4]
	v_mul_f64 v[3:4], v[5:6], v[3:4]
.LBB213_131:                            ;   in Loop: Header=BB213_113 Depth=1
	s_add_i32 s10, s9, 4
	s_add_i32 s6, s9, 7
	s_addk_i32 s8, 0x300
	s_cmp_ge_i32 s6, s25
	ds_write_b128 v26, v[1:4] offset:576
	s_cbranch_scc1 .LBB213_133
; %bb.132:                              ;   in Loop: Header=BB213_113 Depth=1
	s_mov_b32 s9, s10
	s_branch .LBB213_113
.LBB213_133:
	s_cmp_ge_i32 s10, s25
	s_cbranch_scc1 .LBB213_142
; %bb.134:
	v_mov_b32_e32 v1, 0x900
	v_lshl_or_b32 v13, v0, 4, v1
	s_mul_i32 s8, s10, 0xc0
	s_branch .LBB213_136
.LBB213_135:                            ;   in Loop: Header=BB213_136 Depth=1
	s_add_i32 s10, s10, 1
	s_addk_i32 s8, 0xc0
	s_cmp_ge_i32 s10, s25
	ds_write_b128 v14, v[9:12]
	s_cbranch_scc1 .LBB213_142
.LBB213_136:                            ; =>This Loop Header: Depth=1
                                        ;     Child Loop BB213_137 Depth 2
	s_mul_i32 s6, s10, 0xc0
	v_add_u32_e32 v14, s6, v25
	ds_read_b128 v[1:4], v14
	s_cmp_eq_u32 s10, 0
	s_mov_b32 s6, s8
	v_mov_b32_e32 v5, v13
	s_mov_b32 s7, s10
	s_cbranch_scc1 .LBB213_138
.LBB213_137:                            ;   Parent Loop BB213_136 Depth=1
                                        ; =>  This Inner Loop Header: Depth=2
	v_mov_b32_e32 v10, s6
	ds_read_b128 v[6:9], v5
	ds_read_b128 v[15:18], v10
	s_add_i32 s7, s7, -1
	s_add_i32 s6, s6, 16
	s_cmp_eq_u32 s7, 0
	v_add_u32_e32 v5, 0xc0, v5
	s_waitcnt lgkmcnt(0)
	v_mul_f64 v[10:11], v[17:18], v[8:9]
	v_mul_f64 v[8:9], v[15:16], v[8:9]
	v_fma_f64 v[10:11], v[15:16], v[6:7], -v[10:11]
	v_fma_f64 v[6:7], v[17:18], v[6:7], v[8:9]
	v_add_f64 v[1:2], v[1:2], -v[10:11]
	v_add_f64 v[3:4], v[3:4], -v[6:7]
	s_cbranch_scc0 .LBB213_137
.LBB213_138:                            ;   in Loop: Header=BB213_136 Depth=1
	s_mul_i32 s6, s10, 0xd0
	v_mov_b32_e32 v5, s6
	ds_read_b128 v[5:8], v5
	s_mov_b64 s[6:7], -1
                                        ; implicit-def: $vgpr9_vgpr10
	s_waitcnt lgkmcnt(0)
	v_cmp_ngt_f64_e64 s[14:15], |v[5:6]|, |v[7:8]|
	s_and_b64 vcc, exec, s[14:15]
	s_cbranch_vccz .LBB213_140
; %bb.139:                              ;   in Loop: Header=BB213_136 Depth=1
	v_div_scale_f64 v[9:10], s[6:7], v[7:8], v[7:8], v[5:6]
	v_rcp_f64_e32 v[11:12], v[9:10]
	v_fma_f64 v[15:16], -v[9:10], v[11:12], 1.0
	v_fma_f64 v[11:12], v[11:12], v[15:16], v[11:12]
	v_div_scale_f64 v[15:16], vcc, v[5:6], v[7:8], v[5:6]
	v_fma_f64 v[17:18], -v[9:10], v[11:12], 1.0
	v_fma_f64 v[11:12], v[11:12], v[17:18], v[11:12]
	v_mul_f64 v[17:18], v[15:16], v[11:12]
	v_fma_f64 v[9:10], -v[9:10], v[17:18], v[15:16]
	v_div_fmas_f64 v[9:10], v[9:10], v[11:12], v[17:18]
	v_div_fixup_f64 v[9:10], v[9:10], v[7:8], v[5:6]
	v_fma_f64 v[11:12], v[5:6], v[9:10], v[7:8]
	v_div_scale_f64 v[15:16], s[6:7], v[11:12], v[11:12], 1.0
	s_mov_b64 s[6:7], 0
	v_rcp_f64_e32 v[17:18], v[15:16]
	v_fma_f64 v[19:20], -v[15:16], v[17:18], 1.0
	v_fma_f64 v[17:18], v[17:18], v[19:20], v[17:18]
	v_div_scale_f64 v[19:20], vcc, 1.0, v[11:12], 1.0
	v_fma_f64 v[21:22], -v[15:16], v[17:18], 1.0
	v_fma_f64 v[17:18], v[17:18], v[21:22], v[17:18]
	v_mul_f64 v[21:22], v[19:20], v[17:18]
	v_fma_f64 v[15:16], -v[15:16], v[21:22], v[19:20]
	v_div_fmas_f64 v[15:16], v[15:16], v[17:18], v[21:22]
	v_fma_f64 v[17:18], v[1:2], v[9:10], v[3:4]
	v_div_fixup_f64 v[11:12], v[15:16], v[11:12], 1.0
	v_fma_f64 v[15:16], v[3:4], v[9:10], -v[1:2]
	v_mul_f64 v[9:10], v[17:18], v[11:12]
	v_mul_f64 v[11:12], v[15:16], v[11:12]
.LBB213_140:                            ;   in Loop: Header=BB213_136 Depth=1
	s_andn2_b64 vcc, exec, s[6:7]
	s_cbranch_vccnz .LBB213_135
; %bb.141:                              ;   in Loop: Header=BB213_136 Depth=1
	v_div_scale_f64 v[9:10], s[6:7], v[5:6], v[5:6], v[7:8]
	v_rcp_f64_e32 v[11:12], v[9:10]
	v_fma_f64 v[15:16], -v[9:10], v[11:12], 1.0
	v_fma_f64 v[11:12], v[11:12], v[15:16], v[11:12]
	v_div_scale_f64 v[15:16], vcc, v[7:8], v[5:6], v[7:8]
	v_fma_f64 v[17:18], -v[9:10], v[11:12], 1.0
	v_fma_f64 v[11:12], v[11:12], v[17:18], v[11:12]
	v_mul_f64 v[17:18], v[15:16], v[11:12]
	v_fma_f64 v[9:10], -v[9:10], v[17:18], v[15:16]
	v_div_fmas_f64 v[9:10], v[9:10], v[11:12], v[17:18]
	v_div_fixup_f64 v[9:10], v[9:10], v[5:6], v[7:8]
	v_fma_f64 v[5:6], v[7:8], v[9:10], v[5:6]
	v_div_scale_f64 v[7:8], s[6:7], v[5:6], v[5:6], 1.0
	v_rcp_f64_e32 v[11:12], v[7:8]
	v_fma_f64 v[15:16], -v[7:8], v[11:12], 1.0
	v_fma_f64 v[11:12], v[11:12], v[15:16], v[11:12]
	v_div_scale_f64 v[15:16], vcc, 1.0, v[5:6], 1.0
	v_fma_f64 v[17:18], -v[7:8], v[11:12], 1.0
	v_fma_f64 v[11:12], v[11:12], v[17:18], v[11:12]
	v_mul_f64 v[17:18], v[15:16], v[11:12]
	v_fma_f64 v[7:8], -v[7:8], v[17:18], v[15:16]
	v_div_fmas_f64 v[7:8], v[7:8], v[11:12], v[17:18]
	v_fma_f64 v[11:12], v[3:4], v[9:10], v[1:2]
	v_fma_f64 v[1:2], -v[1:2], v[9:10], v[3:4]
	v_div_fixup_f64 v[5:6], v[7:8], v[5:6], 1.0
	v_mul_f64 v[9:10], v[11:12], v[5:6]
	v_mul_f64 v[11:12], v[1:2], v[5:6]
	s_branch .LBB213_135
.LBB213_142:
	s_and_saveexec_b64 s[6:7], s[0:1]
	s_cbranch_execz .LBB213_146
; %bb.143:
	s_cmp_lt_i32 s24, 1
	s_cbranch_scc1 .LBB213_146
; %bb.144:
	s_lshl_b64 s[0:1], s[4:5], 4
	s_add_u32 s2, s2, s0
	s_addc_u32 s3, s3, s1
	s_lshl_b64 s[0:1], s[20:21], 4
	s_add_u32 s0, s2, s0
	s_addc_u32 s1, s3, s1
	s_add_u32 s0, s0, s19
	s_addc_u32 s1, s1, s18
	s_ashr_i32 s13, s12, 31
	v_lshlrev_b32_e32 v2, 4, v0
	v_mov_b32_e32 v1, s1
	v_add_co_u32_e32 v0, vcc, s0, v2
	s_lshl_b64 s[0:1], s[12:13], 4
	v_addc_co_u32_e32 v1, vcc, 0, v1, vcc
	v_or_b32_e32 v2, 0x900, v2
	v_mov_b32_e32 v3, s1
.LBB213_145:                            ; =>This Inner Loop Header: Depth=1
	ds_read2_b64 v[4:7], v2 offset1:1
	s_add_i32 s24, s24, -1
	v_add_u32_e32 v2, 0xc0, v2
	s_cmp_lg_u32 s24, 0
	s_waitcnt lgkmcnt(0)
	global_store_dwordx4 v[0:1], v[4:7], off
	v_add_co_u32_e32 v0, vcc, s0, v0
	v_addc_co_u32_e32 v1, vcc, v1, v3, vcc
	s_cbranch_scc1 .LBB213_145
.LBB213_146:
	s_endpgm
	.section	.rodata,"a",@progbits
	.p2align	6, 0x0
	.amdhsa_kernel _ZL31rocblas_trsm_small_right_deviceI19rocblas_complex_numIdES1_PKS1_PS1_Li12EEv13rocblas_fill_18rocblas_operation_17rocblas_diagonal_iiT0_T1_lilT2_lili
		.amdhsa_group_segment_fixed_size 4608
		.amdhsa_private_segment_fixed_size 0
		.amdhsa_kernarg_size 368
		.amdhsa_user_sgpr_count 6
		.amdhsa_user_sgpr_private_segment_buffer 1
		.amdhsa_user_sgpr_dispatch_ptr 0
		.amdhsa_user_sgpr_queue_ptr 0
		.amdhsa_user_sgpr_kernarg_segment_ptr 1
		.amdhsa_user_sgpr_dispatch_id 0
		.amdhsa_user_sgpr_flat_scratch_init 0
		.amdhsa_user_sgpr_private_segment_size 0
		.amdhsa_uses_dynamic_stack 0
		.amdhsa_system_sgpr_private_segment_wavefront_offset 0
		.amdhsa_system_sgpr_workgroup_id_x 1
		.amdhsa_system_sgpr_workgroup_id_y 0
		.amdhsa_system_sgpr_workgroup_id_z 1
		.amdhsa_system_sgpr_workgroup_info 0
		.amdhsa_system_vgpr_workitem_id 0
		.amdhsa_next_free_vgpr 53
		.amdhsa_next_free_sgpr 98
		.amdhsa_reserve_vcc 1
		.amdhsa_reserve_flat_scratch 0
		.amdhsa_float_round_mode_32 0
		.amdhsa_float_round_mode_16_64 0
		.amdhsa_float_denorm_mode_32 3
		.amdhsa_float_denorm_mode_16_64 3
		.amdhsa_dx10_clamp 1
		.amdhsa_ieee_mode 1
		.amdhsa_fp16_overflow 0
		.amdhsa_exception_fp_ieee_invalid_op 0
		.amdhsa_exception_fp_denorm_src 0
		.amdhsa_exception_fp_ieee_div_zero 0
		.amdhsa_exception_fp_ieee_overflow 0
		.amdhsa_exception_fp_ieee_underflow 0
		.amdhsa_exception_fp_ieee_inexact 0
		.amdhsa_exception_int_div_zero 0
	.end_amdhsa_kernel
	.section	.text._ZL31rocblas_trsm_small_right_deviceI19rocblas_complex_numIdES1_PKS1_PS1_Li12EEv13rocblas_fill_18rocblas_operation_17rocblas_diagonal_iiT0_T1_lilT2_lili,"axG",@progbits,_ZL31rocblas_trsm_small_right_deviceI19rocblas_complex_numIdES1_PKS1_PS1_Li12EEv13rocblas_fill_18rocblas_operation_17rocblas_diagonal_iiT0_T1_lilT2_lili,comdat
.Lfunc_end213:
	.size	_ZL31rocblas_trsm_small_right_deviceI19rocblas_complex_numIdES1_PKS1_PS1_Li12EEv13rocblas_fill_18rocblas_operation_17rocblas_diagonal_iiT0_T1_lilT2_lili, .Lfunc_end213-_ZL31rocblas_trsm_small_right_deviceI19rocblas_complex_numIdES1_PKS1_PS1_Li12EEv13rocblas_fill_18rocblas_operation_17rocblas_diagonal_iiT0_T1_lilT2_lili
                                        ; -- End function
	.set _ZL31rocblas_trsm_small_right_deviceI19rocblas_complex_numIdES1_PKS1_PS1_Li12EEv13rocblas_fill_18rocblas_operation_17rocblas_diagonal_iiT0_T1_lilT2_lili.num_vgpr, 53
	.set _ZL31rocblas_trsm_small_right_deviceI19rocblas_complex_numIdES1_PKS1_PS1_Li12EEv13rocblas_fill_18rocblas_operation_17rocblas_diagonal_iiT0_T1_lilT2_lili.num_agpr, 0
	.set _ZL31rocblas_trsm_small_right_deviceI19rocblas_complex_numIdES1_PKS1_PS1_Li12EEv13rocblas_fill_18rocblas_operation_17rocblas_diagonal_iiT0_T1_lilT2_lili.numbered_sgpr, 29
	.set _ZL31rocblas_trsm_small_right_deviceI19rocblas_complex_numIdES1_PKS1_PS1_Li12EEv13rocblas_fill_18rocblas_operation_17rocblas_diagonal_iiT0_T1_lilT2_lili.num_named_barrier, 0
	.set _ZL31rocblas_trsm_small_right_deviceI19rocblas_complex_numIdES1_PKS1_PS1_Li12EEv13rocblas_fill_18rocblas_operation_17rocblas_diagonal_iiT0_T1_lilT2_lili.private_seg_size, 0
	.set _ZL31rocblas_trsm_small_right_deviceI19rocblas_complex_numIdES1_PKS1_PS1_Li12EEv13rocblas_fill_18rocblas_operation_17rocblas_diagonal_iiT0_T1_lilT2_lili.uses_vcc, 1
	.set _ZL31rocblas_trsm_small_right_deviceI19rocblas_complex_numIdES1_PKS1_PS1_Li12EEv13rocblas_fill_18rocblas_operation_17rocblas_diagonal_iiT0_T1_lilT2_lili.uses_flat_scratch, 0
	.set _ZL31rocblas_trsm_small_right_deviceI19rocblas_complex_numIdES1_PKS1_PS1_Li12EEv13rocblas_fill_18rocblas_operation_17rocblas_diagonal_iiT0_T1_lilT2_lili.has_dyn_sized_stack, 0
	.set _ZL31rocblas_trsm_small_right_deviceI19rocblas_complex_numIdES1_PKS1_PS1_Li12EEv13rocblas_fill_18rocblas_operation_17rocblas_diagonal_iiT0_T1_lilT2_lili.has_recursion, 0
	.set _ZL31rocblas_trsm_small_right_deviceI19rocblas_complex_numIdES1_PKS1_PS1_Li12EEv13rocblas_fill_18rocblas_operation_17rocblas_diagonal_iiT0_T1_lilT2_lili.has_indirect_call, 0
	.section	.AMDGPU.csdata,"",@progbits
; Kernel info:
; codeLenInByte = 14564
; TotalNumSgprs: 33
; NumVgprs: 53
; ScratchSize: 0
; MemoryBound: 0
; FloatMode: 240
; IeeeMode: 1
; LDSByteSize: 4608 bytes/workgroup (compile time only)
; SGPRBlocks: 12
; VGPRBlocks: 13
; NumSGPRsForWavesPerEU: 102
; NumVGPRsForWavesPerEU: 53
; Occupancy: 4
; WaveLimiterHint : 0
; COMPUTE_PGM_RSRC2:SCRATCH_EN: 0
; COMPUTE_PGM_RSRC2:USER_SGPR: 6
; COMPUTE_PGM_RSRC2:TRAP_HANDLER: 0
; COMPUTE_PGM_RSRC2:TGID_X_EN: 1
; COMPUTE_PGM_RSRC2:TGID_Y_EN: 0
; COMPUTE_PGM_RSRC2:TGID_Z_EN: 1
; COMPUTE_PGM_RSRC2:TIDIG_COMP_CNT: 0
	.section	.text._ZL38rocblas_trsm_small_left_device_sharedBILi16ELi16ELb0E19rocblas_complex_numIdES1_PKS1_PS1_Ev13rocblas_fill_18rocblas_operation_17rocblas_diagonal_iiT3_T4_lilT5_lili,"axG",@progbits,_ZL38rocblas_trsm_small_left_device_sharedBILi16ELi16ELb0E19rocblas_complex_numIdES1_PKS1_PS1_Ev13rocblas_fill_18rocblas_operation_17rocblas_diagonal_iiT3_T4_lilT5_lili,comdat
	.globl	_ZL38rocblas_trsm_small_left_device_sharedBILi16ELi16ELb0E19rocblas_complex_numIdES1_PKS1_PS1_Ev13rocblas_fill_18rocblas_operation_17rocblas_diagonal_iiT3_T4_lilT5_lili ; -- Begin function _ZL38rocblas_trsm_small_left_device_sharedBILi16ELi16ELb0E19rocblas_complex_numIdES1_PKS1_PS1_Ev13rocblas_fill_18rocblas_operation_17rocblas_diagonal_iiT3_T4_lilT5_lili
	.p2align	8
	.type	_ZL38rocblas_trsm_small_left_device_sharedBILi16ELi16ELb0E19rocblas_complex_numIdES1_PKS1_PS1_Ev13rocblas_fill_18rocblas_operation_17rocblas_diagonal_iiT3_T4_lilT5_lili,@function
_ZL38rocblas_trsm_small_left_device_sharedBILi16ELi16ELb0E19rocblas_complex_numIdES1_PKS1_PS1_Ev13rocblas_fill_18rocblas_operation_17rocblas_diagonal_iiT3_T4_lilT5_lili: ; @_ZL38rocblas_trsm_small_left_device_sharedBILi16ELi16ELb0E19rocblas_complex_numIdES1_PKS1_PS1_Ev13rocblas_fill_18rocblas_operation_17rocblas_diagonal_iiT3_T4_lilT5_lili
; %bb.0:
	s_add_u32 s0, s0, s8
	s_load_dwordx4 s[20:23], s[4:5], 0x4
	s_load_dwordx8 s[12:19], s[4:5], 0x18
	s_load_dwordx4 s[8:11], s[4:5], 0x40
	s_load_dwordx2 s[24:25], s[4:5], 0x50
	s_load_dword s29, s[4:5], 0x70
	s_addc_u32 s1, s1, 0
	s_waitcnt lgkmcnt(0)
	s_min_i32 s28, s22, 16
	v_cmp_gt_i32_e32 vcc, s28, v0
	s_and_saveexec_b64 s[26:27], vcc
	s_cbranch_execz .LBB214_11
; %bb.1:
	s_load_dword s30, s[4:5], 0x38
	s_mul_i32 s9, s9, s7
	s_mul_hi_u32 s33, s8, s7
	s_mul_i32 s8, s8, s7
	v_lshlrev_b32_e32 v3, 4, v0
	s_waitcnt lgkmcnt(0)
	s_ashr_i32 s31, s30, 31
	s_cmpk_eq_i32 s20, 0x71
	s_cselect_b64 vcc, -1, 0
	s_add_i32 s9, s33, s9
	s_lshl_b64 s[8:9], s[8:9], 4
	s_lshl_b64 s[18:19], s[18:19], 4
	s_add_u32 s8, s8, s18
	s_addc_u32 s9, s9, s19
	s_add_u32 s8, s16, s8
	s_addc_u32 s9, s17, s9
	v_mov_b32_e32 v1, s9
	v_add_co_u32_e64 v2, s[8:9], s8, v3
	v_addc_co_u32_e64 v4, s[8:9], 0, v1, s[8:9]
	v_add_co_u32_e64 v1, s[8:9], 8, v2
	s_lshl_b64 s[16:17], s[30:31], 4
	v_addc_co_u32_e64 v2, s[8:9], 0, v4, s[8:9]
	v_mov_b32_e32 v4, s17
	v_mov_b32_e32 v5, v3
	s_mov_b32 s17, s28
.LBB214_2:                              ; =>This Inner Loop Header: Depth=1
	global_load_dwordx4 v[6:9], v[1:2], off offset:-8
	s_add_i32 s17, s17, -1
	v_add_co_u32_e64 v1, s[8:9], s16, v1
	v_addc_co_u32_e64 v2, s[8:9], v2, v4, s[8:9]
	s_cmp_eq_u32 s17, 0
	s_waitcnt vmcnt(0)
	v_xor_b32_e32 v10, 0x80000000, v9
	v_cndmask_b32_e32 v9, v9, v10, vcc
	ds_write_b128 v5, v[6:9]
	v_add_u32_e32 v5, 0x100, v5
	s_cbranch_scc0 .LBB214_2
; %bb.3:
	v_lshlrev_b32_e32 v1, 8, v0
	s_cmpk_lg_i32 s21, 0x84
	v_add_u32_e32 v9, v3, v1
	s_cbranch_scc0 .LBB214_9
; %bb.4:
	ds_read_b128 v[1:4], v9
                                        ; implicit-def: $vgpr7_vgpr8
	s_waitcnt lgkmcnt(0)
	v_cmp_ngt_f64_e64 s[8:9], |v[1:2]|, |v[3:4]|
	s_and_saveexec_b64 s[16:17], s[8:9]
	s_xor_b64 s[8:9], exec, s[16:17]
	s_cbranch_execz .LBB214_6
; %bb.5:
	v_div_scale_f64 v[5:6], s[16:17], v[3:4], v[3:4], v[1:2]
	v_rcp_f64_e32 v[7:8], v[5:6]
	v_fma_f64 v[10:11], -v[5:6], v[7:8], 1.0
	v_fma_f64 v[7:8], v[7:8], v[10:11], v[7:8]
	v_div_scale_f64 v[10:11], vcc, v[1:2], v[3:4], v[1:2]
	v_fma_f64 v[12:13], -v[5:6], v[7:8], 1.0
	v_fma_f64 v[7:8], v[7:8], v[12:13], v[7:8]
	v_mul_f64 v[12:13], v[10:11], v[7:8]
	v_fma_f64 v[5:6], -v[5:6], v[12:13], v[10:11]
	v_div_fmas_f64 v[5:6], v[5:6], v[7:8], v[12:13]
	v_div_fixup_f64 v[5:6], v[5:6], v[3:4], v[1:2]
	v_fma_f64 v[1:2], v[1:2], v[5:6], v[3:4]
	v_div_scale_f64 v[3:4], s[16:17], v[1:2], v[1:2], 1.0
	v_rcp_f64_e32 v[7:8], v[3:4]
	v_fma_f64 v[10:11], -v[3:4], v[7:8], 1.0
	v_fma_f64 v[7:8], v[7:8], v[10:11], v[7:8]
	v_div_scale_f64 v[10:11], vcc, 1.0, v[1:2], 1.0
	v_fma_f64 v[12:13], -v[3:4], v[7:8], 1.0
	v_fma_f64 v[7:8], v[7:8], v[12:13], v[7:8]
	v_mul_f64 v[12:13], v[10:11], v[7:8]
	v_fma_f64 v[3:4], -v[3:4], v[12:13], v[10:11]
	v_div_fmas_f64 v[3:4], v[3:4], v[7:8], v[12:13]
	v_add_f64 v[7:8], v[5:6], 0
	v_div_fixup_f64 v[1:2], v[3:4], v[1:2], 1.0
	v_fma_f64 v[3:4], v[5:6], 0, -1.0
	v_mul_f64 v[5:6], v[7:8], v[1:2]
	v_mul_f64 v[7:8], v[3:4], v[1:2]
                                        ; implicit-def: $vgpr1_vgpr2
.LBB214_6:
	s_andn2_saveexec_b64 s[8:9], s[8:9]
	s_cbranch_execz .LBB214_8
; %bb.7:
	v_div_scale_f64 v[5:6], s[16:17], v[1:2], v[1:2], v[3:4]
	v_rcp_f64_e32 v[7:8], v[5:6]
	v_fma_f64 v[10:11], -v[5:6], v[7:8], 1.0
	v_fma_f64 v[7:8], v[7:8], v[10:11], v[7:8]
	v_div_scale_f64 v[10:11], vcc, v[3:4], v[1:2], v[3:4]
	v_fma_f64 v[12:13], -v[5:6], v[7:8], 1.0
	v_fma_f64 v[7:8], v[7:8], v[12:13], v[7:8]
	v_mul_f64 v[12:13], v[10:11], v[7:8]
	v_fma_f64 v[5:6], -v[5:6], v[12:13], v[10:11]
	v_div_fmas_f64 v[5:6], v[5:6], v[7:8], v[12:13]
	v_div_fixup_f64 v[5:6], v[5:6], v[1:2], v[3:4]
	v_fma_f64 v[1:2], v[3:4], v[5:6], v[1:2]
	v_div_scale_f64 v[3:4], s[16:17], v[1:2], v[1:2], 1.0
	v_rcp_f64_e32 v[7:8], v[3:4]
	v_fma_f64 v[10:11], -v[3:4], v[7:8], 1.0
	v_fma_f64 v[7:8], v[7:8], v[10:11], v[7:8]
	v_div_scale_f64 v[10:11], vcc, 1.0, v[1:2], 1.0
	v_fma_f64 v[12:13], -v[3:4], v[7:8], 1.0
	v_fma_f64 v[7:8], v[7:8], v[12:13], v[7:8]
	v_mul_f64 v[12:13], v[10:11], v[7:8]
	v_fma_f64 v[3:4], -v[3:4], v[12:13], v[10:11]
	v_div_fmas_f64 v[3:4], v[3:4], v[7:8], v[12:13]
	v_fma_f64 v[7:8], v[5:6], 0, 1.0
	v_div_fixup_f64 v[1:2], v[3:4], v[1:2], 1.0
	v_add_f64 v[3:4], -v[5:6], 0
	v_mul_f64 v[5:6], v[7:8], v[1:2]
	v_mul_f64 v[7:8], v[3:4], v[1:2]
.LBB214_8:
	s_or_b64 exec, exec, s[8:9]
	s_branch .LBB214_10
.LBB214_9:
	v_mov_b32_e32 v7, 0
	v_mov_b32_e32 v5, 0
	;; [unrolled: 1-line block ×4, first 2 shown]
.LBB214_10:
	ds_write_b128 v9, v[5:8]
.LBB214_11:
	s_or_b64 exec, exec, s[26:27]
	s_load_dword s21, s[4:5], 0x58
	s_load_dwordx2 s[8:9], s[4:5], 0x60
	s_add_i32 s29, s29, -1
	s_waitcnt lgkmcnt(0)
	s_ashr_i32 s26, s21, 31
	s_mul_i32 s4, s9, s7
	s_mul_hi_u32 s5, s8, s7
	s_mul_i32 s16, s8, s7
	s_lshl_b32 s8, s6, 4
	s_add_i32 s17, s5, s4
	s_sub_i32 s4, s23, s8
	s_cmp_ge_u32 s6, s29
	s_cselect_b32 s4, s4, 16
	s_ashr_i32 s9, s8, 31
	s_cmp_gt_i32 s22, 0
	v_cmp_gt_i32_e64 s[4:5], s4, v0
	s_cselect_b64 s[6:7], -1, 0
	s_and_b64 s[22:23], s[4:5], s[6:7]
	s_and_saveexec_b64 s[18:19], s[22:23]
	s_cbranch_execz .LBB214_14
; %bb.12:
	v_lshlrev_b32_e32 v3, 4, v0
	s_lshl_b64 s[30:31], s[8:9], 4
	s_lshl_b64 s[22:23], s[16:17], 4
	v_mov_b32_e32 v1, s31
	v_add_co_u32_e32 v4, vcc, s30, v3
	s_lshl_b64 s[30:31], s[24:25], 4
	s_add_u32 s9, s10, s30
	s_addc_u32 s27, s11, s31
	s_add_u32 s22, s9, s22
	v_addc_co_u32_e32 v5, vcc, 0, v1, vcc
	s_addc_u32 s23, s27, s23
	v_mov_b32_e32 v1, s22
	v_mov_b32_e32 v2, s23
	v_mad_u64_u32 v[1:2], s[22:23], v4, s21, v[1:2]
	v_mul_lo_u32 v4, v4, s26
	v_mul_lo_u32 v5, v5, s21
	v_add_co_u32_e32 v1, vcc, 8, v1
	v_or_b32_e32 v3, 0x1000, v3
	v_add3_u32 v2, v5, v2, v4
	v_addc_co_u32_e32 v2, vcc, 0, v2, vcc
	s_mov_b32 s9, s28
.LBB214_13:                             ; =>This Inner Loop Header: Depth=1
	global_load_dwordx4 v[4:7], v[1:2], off offset:-8
	s_add_i32 s9, s9, -1
	v_add_co_u32_e32 v1, vcc, 16, v1
	v_addc_co_u32_e32 v2, vcc, 0, v2, vcc
	s_cmp_lg_u32 s9, 0
	s_waitcnt vmcnt(0)
	v_mul_f64 v[8:9], s[14:15], v[6:7]
	v_mul_f64 v[10:11], s[12:13], v[6:7]
	v_fma_f64 v[6:7], s[12:13], v[4:5], -v[8:9]
	v_fma_f64 v[8:9], s[14:15], v[4:5], v[10:11]
	ds_write_b128 v3, v[6:9]
	v_add_u32_e32 v3, 0x100, v3
	s_cbranch_scc1 .LBB214_13
.LBB214_14:
	s_or_b64 exec, exec, s[18:19]
	v_mov_b32_e32 v1, 0x1000
	s_cmpk_eq_i32 s20, 0x6f
	v_lshl_or_b32 v5, v0, 4, v1
	s_mov_b64 s[12:13], -1
	s_waitcnt lgkmcnt(0)
	; wave barrier
	s_cbranch_scc1 .LBB214_36
; %bb.15:
	s_mov_b32 s13, 0
	s_mov_b32 s12, s13
	s_mov_b32 s9, s13
	s_branch .LBB214_17
.LBB214_16:                             ;   in Loop: Header=BB214_17 Depth=1
	s_cmp_ge_i32 s9, s28
	s_cselect_b64 s[14:15], -1, 0
	s_add_i32 s12, s12, 1
	s_cmp_eq_u32 s12, 3
	s_cselect_b64 s[18:19], -1, 0
	s_or_b64 s[14:15], s[14:15], s[18:19]
	s_andn2_b64 vcc, exec, s[14:15]
	s_cbranch_vccz .LBB214_35
.LBB214_17:                             ; =>This Loop Header: Depth=1
                                        ;     Child Loop BB214_20 Depth 2
                                        ;       Child Loop BB214_21 Depth 3
                                        ;       Child Loop BB214_24 Depth 3
                                        ;         Child Loop BB214_25 Depth 4
                                        ;       Child Loop BB214_29 Depth 3
                                        ;         Child Loop BB214_31 Depth 4
	s_lshl_b64 s[14:15], s[12:13], 2
	s_getpc_b64 s[18:19]
	s_add_u32 s18, s18, __const._ZL38rocblas_trsm_small_left_device_sharedBILi16ELi16ELb0E19rocblas_complex_numIdES1_PKS1_PS1_Ev13rocblas_fill_18rocblas_operation_17rocblas_diagonal_iiT3_T4_lilT5_lili.step_sizes@rel32@lo+4
	s_addc_u32 s19, s19, __const._ZL38rocblas_trsm_small_left_device_sharedBILi16ELi16ELb0E19rocblas_complex_numIdES1_PKS1_PS1_Ev13rocblas_fill_18rocblas_operation_17rocblas_diagonal_iiT3_T4_lilT5_lili.step_sizes@rel32@hi+12
	s_add_u32 s14, s18, s14
	s_addc_u32 s15, s19, s15
	s_load_dword s18, s[14:15], 0x0
	s_waitcnt lgkmcnt(0)
	s_add_i32 s19, s18, -1
	s_add_i32 s14, s19, s9
	s_cmp_ge_i32 s14, s28
	s_cbranch_scc1 .LBB214_16
; %bb.18:                               ;   in Loop: Header=BB214_17 Depth=1
	s_lshl_b32 s22, s9, 8
	s_max_i32 s20, s18, 1
	v_add_u32_e32 v6, s22, v5
	s_lshl_b32 s23, s18, 8
	s_mul_i32 s26, s9, 0x110
	s_mul_i32 s27, s18, 0x110
	s_branch .LBB214_20
.LBB214_19:                             ;   in Loop: Header=BB214_20 Depth=2
	s_add_i32 s9, s9, s18
	s_add_i32 s14, s19, s9
	;; [unrolled: 1-line block ×4, first 2 shown]
	s_cmp_ge_i32 s14, s28
	v_add_u32_e32 v6, s23, v6
	s_cbranch_scc1 .LBB214_16
.LBB214_20:                             ;   Parent Loop BB214_17 Depth=1
                                        ; =>  This Loop Header: Depth=2
                                        ;       Child Loop BB214_21 Depth 3
                                        ;       Child Loop BB214_24 Depth 3
                                        ;         Child Loop BB214_25 Depth 4
                                        ;       Child Loop BB214_29 Depth 3
                                        ;         Child Loop BB214_31 Depth 4
	s_mov_b32 s14, 0
	v_mov_b32_e32 v1, v6
	s_mov_b32 s15, s20
.LBB214_21:                             ;   Parent Loop BB214_17 Depth=1
                                        ;     Parent Loop BB214_20 Depth=2
                                        ; =>    This Inner Loop Header: Depth=3
	ds_read_b128 v[7:10], v1
	v_mov_b32_e32 v2, s14
	s_add_i32 s15, s15, -1
	s_add_i32 s14, s14, 16
	v_add_u32_e32 v1, 0x100, v1
	s_cmp_eq_u32 s15, 0
	s_waitcnt lgkmcnt(0)
	buffer_store_dword v10, v2, s[0:3], 0 offen offset:12
	buffer_store_dword v9, v2, s[0:3], 0 offen offset:8
	;; [unrolled: 1-line block ×3, first 2 shown]
	buffer_store_dword v7, v2, s[0:3], 0 offen
	s_cbranch_scc0 .LBB214_21
; %bb.22:                               ;   in Loop: Header=BB214_20 Depth=2
	s_cmp_lt_i32 s9, 1
	s_cbranch_scc1 .LBB214_27
; %bb.23:                               ;   in Loop: Header=BB214_20 Depth=2
	s_mov_b32 s14, 0
	s_mov_b32 s15, s22
.LBB214_24:                             ;   Parent Loop BB214_17 Depth=1
                                        ;     Parent Loop BB214_20 Depth=2
                                        ; =>    This Loop Header: Depth=3
                                        ;         Child Loop BB214_25 Depth 4
	v_lshl_add_u32 v1, s14, 8, v5
	ds_read_b128 v[1:4], v1
	s_mov_b32 s29, 0
	s_mov_b32 s30, s15
	;; [unrolled: 1-line block ×3, first 2 shown]
.LBB214_25:                             ;   Parent Loop BB214_17 Depth=1
                                        ;     Parent Loop BB214_20 Depth=2
                                        ;       Parent Loop BB214_24 Depth=3
                                        ; =>      This Inner Loop Header: Depth=4
	v_mov_b32_e32 v17, s29
	buffer_load_dword v11, v17, s[0:3], 0 offen
	buffer_load_dword v12, v17, s[0:3], 0 offen offset:4
	buffer_load_dword v13, v17, s[0:3], 0 offen offset:8
	;; [unrolled: 1-line block ×3, first 2 shown]
	v_mov_b32_e32 v7, s30
	ds_read_b128 v[7:10], v7
	s_add_i32 s31, s31, -1
	s_addk_i32 s30, 0x100
	s_add_i32 s29, s29, 16
	s_cmp_eq_u32 s31, 0
	s_waitcnt lgkmcnt(0)
	v_mul_f64 v[15:16], v[3:4], v[9:10]
	v_mul_f64 v[9:10], v[1:2], v[9:10]
	v_fma_f64 v[15:16], v[1:2], v[7:8], -v[15:16]
	v_fma_f64 v[7:8], v[3:4], v[7:8], v[9:10]
	s_waitcnt vmcnt(2)
	v_add_f64 v[9:10], v[11:12], -v[15:16]
	s_waitcnt vmcnt(0)
	v_add_f64 v[7:8], v[13:14], -v[7:8]
	buffer_store_dword v9, v17, s[0:3], 0 offen
	buffer_store_dword v10, v17, s[0:3], 0 offen offset:4
	buffer_store_dword v7, v17, s[0:3], 0 offen offset:8
	;; [unrolled: 1-line block ×3, first 2 shown]
	s_cbranch_scc0 .LBB214_25
; %bb.26:                               ;   in Loop: Header=BB214_24 Depth=3
	s_add_i32 s14, s14, 1
	s_add_i32 s15, s15, 16
	s_cmp_eq_u32 s14, s9
	s_cbranch_scc0 .LBB214_24
.LBB214_27:                             ;   in Loop: Header=BB214_20 Depth=2
	s_lshl_b32 s29, s9, 8
	s_mov_b32 s30, 0
	s_mov_b32 s31, s26
	s_branch .LBB214_29
.LBB214_28:                             ;   in Loop: Header=BB214_29 Depth=3
	s_mul_i32 s14, s34, 0x110
	v_mov_b32_e32 v7, s14
	ds_read_b128 v[7:10], v7
	s_lshl_b32 s14, s30, 4
	s_add_i32 s30, s30, 1
	s_addk_i32 s31, 0x100
	s_cmp_eq_u32 s30, s20
	s_waitcnt vmcnt(0) lgkmcnt(0)
	v_mul_f64 v[11:12], v[9:10], v[3:4]
	v_mul_f64 v[3:4], v[7:8], v[3:4]
	v_fma_f64 v[7:8], v[7:8], v[1:2], -v[11:12]
	v_fma_f64 v[9:10], v[9:10], v[1:2], v[3:4]
	v_add_u32_e32 v1, s33, v5
	v_mov_b32_e32 v2, s14
	buffer_store_dword v8, v2, s[0:3], 0 offen offset:4
	buffer_store_dword v7, v2, s[0:3], 0 offen
	buffer_store_dword v10, v2, s[0:3], 0 offen offset:12
	buffer_store_dword v9, v2, s[0:3], 0 offen offset:8
	ds_write_b128 v1, v[7:10]
	s_cbranch_scc1 .LBB214_19
.LBB214_29:                             ;   Parent Loop BB214_17 Depth=1
                                        ;     Parent Loop BB214_20 Depth=2
                                        ; =>    This Loop Header: Depth=3
                                        ;         Child Loop BB214_31 Depth 4
	s_cmp_lg_u32 s30, 0
	s_cbranch_scc0 .LBB214_33
; %bb.30:                               ;   in Loop: Header=BB214_29 Depth=3
	s_lshl_b32 s14, s30, 4
	v_mov_b32_e32 v7, s14
	buffer_load_dword v1, v7, s[0:3], 0 offen
	buffer_load_dword v2, v7, s[0:3], 0 offen offset:4
	buffer_load_dword v3, v7, s[0:3], 0 offen offset:8
	;; [unrolled: 1-line block ×3, first 2 shown]
	s_add_i32 s34, s30, s9
	s_lshl_b32 s33, s34, 8
	s_mov_b32 s14, 0
	s_mov_b32 s15, s31
	;; [unrolled: 1-line block ×3, first 2 shown]
.LBB214_31:                             ;   Parent Loop BB214_17 Depth=1
                                        ;     Parent Loop BB214_20 Depth=2
                                        ;       Parent Loop BB214_29 Depth=3
                                        ; =>      This Inner Loop Header: Depth=4
	v_mov_b32_e32 v8, s14
	buffer_load_dword v12, v8, s[0:3], 0 offen offset:8
	buffer_load_dword v13, v8, s[0:3], 0 offen offset:12
	buffer_load_dword v14, v8, s[0:3], 0 offen
	buffer_load_dword v15, v8, s[0:3], 0 offen offset:4
	v_mov_b32_e32 v8, s15
	ds_read_b128 v[8:11], v8
	s_add_i32 s35, s35, -1
	s_add_i32 s14, s14, 16
	s_add_i32 s15, s15, 16
	s_cmp_eq_u32 s35, 0
	s_waitcnt vmcnt(2) lgkmcnt(0)
	v_mul_f64 v[16:17], v[10:11], v[12:13]
	v_mul_f64 v[12:13], v[8:9], v[12:13]
	s_waitcnt vmcnt(0)
	v_fma_f64 v[8:9], v[8:9], v[14:15], -v[16:17]
	v_fma_f64 v[10:11], v[10:11], v[14:15], v[12:13]
	v_add_f64 v[1:2], v[1:2], -v[8:9]
	v_add_f64 v[3:4], v[3:4], -v[10:11]
	buffer_store_dword v1, v7, s[0:3], 0 offen
	buffer_store_dword v2, v7, s[0:3], 0 offen offset:4
	buffer_store_dword v3, v7, s[0:3], 0 offen offset:8
	buffer_store_dword v4, v7, s[0:3], 0 offen offset:12
	s_cbranch_scc0 .LBB214_31
; %bb.32:                               ;   in Loop: Header=BB214_29 Depth=3
	s_branch .LBB214_28
.LBB214_33:                             ;   in Loop: Header=BB214_29 Depth=3
                                        ; implicit-def: $vgpr1_vgpr2
                                        ; implicit-def: $vgpr3_vgpr4
                                        ; implicit-def: $sgpr34
                                        ; implicit-def: $sgpr33
	s_cbranch_execz .LBB214_28
; %bb.34:                               ;   in Loop: Header=BB214_29 Depth=3
	buffer_load_dword v1, off, s[0:3], 0
	buffer_load_dword v2, off, s[0:3], 0 offset:4
	buffer_load_dword v3, off, s[0:3], 0 offset:8
	;; [unrolled: 1-line block ×3, first 2 shown]
	s_mov_b32 s33, s29
	s_mov_b32 s34, s9
	s_branch .LBB214_28
.LBB214_35:
	s_mov_b64 s[12:13], 0
.LBB214_36:
	s_and_b64 vcc, exec, s[12:13]
	s_cbranch_vccz .LBB214_56
; %bb.37:
	s_add_i32 s9, s28, -1
	v_mov_b32_e32 v1, 0x1000
	s_lshl_b32 s18, s28, 8
	s_mov_b32 s13, 0
	v_lshl_or_b32 v6, v0, 4, v1
	s_addk_i32 s18, 0xff00
	s_mov_b32 s12, s13
	s_mov_b32 s19, s9
	s_branch .LBB214_39
.LBB214_38:                             ;   in Loop: Header=BB214_39 Depth=1
	s_cmp_lt_i32 s19, 0
	s_cselect_b64 s[14:15], -1, 0
	s_add_i32 s12, s12, 1
	s_cmp_eq_u32 s12, 3
	s_cselect_b64 s[22:23], -1, 0
	s_or_b64 s[14:15], s[14:15], s[22:23]
	s_and_b64 vcc, exec, s[14:15]
	s_cbranch_vccnz .LBB214_56
.LBB214_39:                             ; =>This Loop Header: Depth=1
                                        ;     Child Loop BB214_42 Depth 2
                                        ;       Child Loop BB214_43 Depth 3
                                        ;       Child Loop BB214_45 Depth 3
                                        ;         Child Loop BB214_46 Depth 4
                                        ;       Child Loop BB214_50 Depth 3
                                        ;         Child Loop BB214_52 Depth 4
	s_lshl_b64 s[14:15], s[12:13], 2
	s_getpc_b64 s[22:23]
	s_add_u32 s22, s22, __const._ZL38rocblas_trsm_small_left_device_sharedBILi16ELi16ELb0E19rocblas_complex_numIdES1_PKS1_PS1_Ev13rocblas_fill_18rocblas_operation_17rocblas_diagonal_iiT3_T4_lilT5_lili.step_sizes@rel32@lo+4
	s_addc_u32 s23, s23, __const._ZL38rocblas_trsm_small_left_device_sharedBILi16ELi16ELb0E19rocblas_complex_numIdES1_PKS1_PS1_Ev13rocblas_fill_18rocblas_operation_17rocblas_diagonal_iiT3_T4_lilT5_lili.step_sizes@rel32@hi+12
	s_add_u32 s14, s22, s14
	s_addc_u32 s15, s23, s15
	s_load_dword s20, s[14:15], 0x0
	s_waitcnt lgkmcnt(0)
	s_add_i32 s22, s20, -1
	s_cmp_lt_i32 s19, s22
	s_cbranch_scc1 .LBB214_38
; %bb.40:                               ;   in Loop: Header=BB214_39 Depth=1
	s_lshl_b32 s14, s20, 8
	s_sub_i32 s26, 0, s14
	s_lshl_b32 s14, s19, 4
	s_add_i32 s27, s18, s14
	s_lshl_b32 s14, s20, 4
	s_max_i32 s23, s20, 1
	v_lshl_add_u32 v7, s19, 8, v6
	s_sub_i32 s29, 0, s14
	s_mul_i32 s30, s19, 0x110
	s_mul_i32 s31, s20, 0xfffffef0
	s_branch .LBB214_42
.LBB214_41:                             ;   in Loop: Header=BB214_42 Depth=2
	s_sub_i32 s19, s19, s20
	s_add_i32 s27, s27, s29
	s_add_i32 s30, s30, s31
	s_cmp_lt_i32 s19, s22
	v_add_u32_e32 v7, s26, v7
	s_cbranch_scc1 .LBB214_38
.LBB214_42:                             ;   Parent Loop BB214_39 Depth=1
                                        ; =>  This Loop Header: Depth=2
                                        ;       Child Loop BB214_43 Depth 3
                                        ;       Child Loop BB214_45 Depth 3
                                        ;         Child Loop BB214_46 Depth 4
                                        ;       Child Loop BB214_50 Depth 3
                                        ;         Child Loop BB214_52 Depth 4
	s_mov_b32 s14, 0
	v_mov_b32_e32 v1, v7
	s_mov_b32 s15, s23
.LBB214_43:                             ;   Parent Loop BB214_39 Depth=1
                                        ;     Parent Loop BB214_42 Depth=2
                                        ; =>    This Inner Loop Header: Depth=3
	ds_read_b128 v[8:11], v1
	v_mov_b32_e32 v2, s14
	s_add_i32 s15, s15, -1
	s_add_i32 s14, s14, 16
	v_add_u32_e32 v1, 0xffffff00, v1
	s_cmp_eq_u32 s15, 0
	s_waitcnt lgkmcnt(0)
	buffer_store_dword v11, v2, s[0:3], 0 offen offset:12
	buffer_store_dword v10, v2, s[0:3], 0 offen offset:8
	;; [unrolled: 1-line block ×3, first 2 shown]
	buffer_store_dword v8, v2, s[0:3], 0 offen
	s_cbranch_scc0 .LBB214_43
; %bb.44:                               ;   in Loop: Header=BB214_42 Depth=2
	s_cmp_le_i32 s9, s19
	s_mov_b32 s14, s27
	s_mov_b32 s15, s9
	s_cbranch_scc1 .LBB214_48
.LBB214_45:                             ;   Parent Loop BB214_39 Depth=1
                                        ;     Parent Loop BB214_42 Depth=2
                                        ; =>    This Loop Header: Depth=3
                                        ;         Child Loop BB214_46 Depth 4
	v_lshl_add_u32 v1, s15, 8, v5
	ds_read_b128 v[1:4], v1
	s_mov_b32 s33, 0
	s_mov_b32 s34, s14
	s_mov_b32 s35, s23
.LBB214_46:                             ;   Parent Loop BB214_39 Depth=1
                                        ;     Parent Loop BB214_42 Depth=2
                                        ;       Parent Loop BB214_45 Depth=3
                                        ; =>      This Inner Loop Header: Depth=4
	v_mov_b32_e32 v18, s33
	buffer_load_dword v12, v18, s[0:3], 0 offen
	buffer_load_dword v13, v18, s[0:3], 0 offen offset:4
	buffer_load_dword v14, v18, s[0:3], 0 offen offset:8
	;; [unrolled: 1-line block ×3, first 2 shown]
	v_mov_b32_e32 v8, s34
	ds_read_b128 v[8:11], v8
	s_add_i32 s35, s35, -1
	s_add_i32 s34, s34, -16
	s_add_i32 s33, s33, 16
	s_cmp_eq_u32 s35, 0
	s_waitcnt lgkmcnt(0)
	v_mul_f64 v[16:17], v[3:4], v[10:11]
	v_mul_f64 v[10:11], v[1:2], v[10:11]
	v_fma_f64 v[16:17], v[1:2], v[8:9], -v[16:17]
	v_fma_f64 v[8:9], v[3:4], v[8:9], v[10:11]
	s_waitcnt vmcnt(2)
	v_add_f64 v[10:11], v[12:13], -v[16:17]
	s_waitcnt vmcnt(0)
	v_add_f64 v[8:9], v[14:15], -v[8:9]
	buffer_store_dword v10, v18, s[0:3], 0 offen
	buffer_store_dword v11, v18, s[0:3], 0 offen offset:4
	buffer_store_dword v8, v18, s[0:3], 0 offen offset:8
	;; [unrolled: 1-line block ×3, first 2 shown]
	s_cbranch_scc0 .LBB214_46
; %bb.47:                               ;   in Loop: Header=BB214_45 Depth=3
	s_add_i32 s15, s15, -1
	s_addk_i32 s14, 0xff00
	s_cmp_le_i32 s15, s19
	s_cbranch_scc0 .LBB214_45
.LBB214_48:                             ;   in Loop: Header=BB214_42 Depth=2
	s_mov_b32 s33, 0
	s_mov_b32 s34, s30
	s_branch .LBB214_50
.LBB214_49:                             ;   in Loop: Header=BB214_50 Depth=3
	s_mul_i32 s14, s35, 0x110
	v_mov_b32_e32 v8, s14
	ds_read_b128 v[8:11], v8
	s_lshl_b32 s14, s33, 4
	s_add_i32 s33, s33, 1
	s_add_i32 s34, s34, -16
	s_cmp_eq_u32 s33, s23
	s_waitcnt vmcnt(0) lgkmcnt(0)
	v_mul_f64 v[12:13], v[10:11], v[3:4]
	v_mul_f64 v[3:4], v[8:9], v[3:4]
	v_fma_f64 v[8:9], v[8:9], v[1:2], -v[12:13]
	v_fma_f64 v[10:11], v[10:11], v[1:2], v[3:4]
	v_lshl_add_u32 v1, s35, 8, v5
	v_mov_b32_e32 v2, s14
	buffer_store_dword v9, v2, s[0:3], 0 offen offset:4
	buffer_store_dword v8, v2, s[0:3], 0 offen
	buffer_store_dword v11, v2, s[0:3], 0 offen offset:12
	buffer_store_dword v10, v2, s[0:3], 0 offen offset:8
	ds_write_b128 v1, v[8:11]
	s_cbranch_scc1 .LBB214_41
.LBB214_50:                             ;   Parent Loop BB214_39 Depth=1
                                        ;     Parent Loop BB214_42 Depth=2
                                        ; =>    This Loop Header: Depth=3
                                        ;         Child Loop BB214_52 Depth 4
	s_cmp_lg_u32 s33, 0
	s_cbranch_scc0 .LBB214_54
; %bb.51:                               ;   in Loop: Header=BB214_50 Depth=3
	s_lshl_b32 s14, s33, 4
	v_mov_b32_e32 v8, s14
	buffer_load_dword v1, v8, s[0:3], 0 offen
	buffer_load_dword v2, v8, s[0:3], 0 offen offset:4
	buffer_load_dword v3, v8, s[0:3], 0 offen offset:8
	;; [unrolled: 1-line block ×3, first 2 shown]
	s_sub_i32 s35, s19, s33
	s_mov_b32 s14, 0
	s_mov_b32 s15, s34
	s_mov_b32 s36, s33
.LBB214_52:                             ;   Parent Loop BB214_39 Depth=1
                                        ;     Parent Loop BB214_42 Depth=2
                                        ;       Parent Loop BB214_50 Depth=3
                                        ; =>      This Inner Loop Header: Depth=4
	v_mov_b32_e32 v9, s14
	buffer_load_dword v13, v9, s[0:3], 0 offen offset:8
	buffer_load_dword v14, v9, s[0:3], 0 offen offset:12
	buffer_load_dword v15, v9, s[0:3], 0 offen
	buffer_load_dword v16, v9, s[0:3], 0 offen offset:4
	v_mov_b32_e32 v9, s15
	ds_read_b128 v[9:12], v9
	s_add_i32 s36, s36, -1
	s_addk_i32 s15, 0xff00
	s_add_i32 s14, s14, 16
	s_cmp_eq_u32 s36, 0
	s_waitcnt vmcnt(2) lgkmcnt(0)
	v_mul_f64 v[17:18], v[11:12], v[13:14]
	v_mul_f64 v[13:14], v[9:10], v[13:14]
	s_waitcnt vmcnt(0)
	v_fma_f64 v[9:10], v[9:10], v[15:16], -v[17:18]
	v_fma_f64 v[11:12], v[11:12], v[15:16], v[13:14]
	v_add_f64 v[1:2], v[1:2], -v[9:10]
	v_add_f64 v[3:4], v[3:4], -v[11:12]
	buffer_store_dword v1, v8, s[0:3], 0 offen
	buffer_store_dword v2, v8, s[0:3], 0 offen offset:4
	buffer_store_dword v3, v8, s[0:3], 0 offen offset:8
	;; [unrolled: 1-line block ×3, first 2 shown]
	s_cbranch_scc0 .LBB214_52
; %bb.53:                               ;   in Loop: Header=BB214_50 Depth=3
	s_branch .LBB214_49
.LBB214_54:                             ;   in Loop: Header=BB214_50 Depth=3
                                        ; implicit-def: $vgpr1_vgpr2
                                        ; implicit-def: $vgpr3_vgpr4
                                        ; implicit-def: $sgpr35
	s_cbranch_execz .LBB214_49
; %bb.55:                               ;   in Loop: Header=BB214_50 Depth=3
	buffer_load_dword v1, off, s[0:3], 0
	buffer_load_dword v2, off, s[0:3], 0 offset:4
	buffer_load_dword v3, off, s[0:3], 0 offset:8
	;; [unrolled: 1-line block ×3, first 2 shown]
	s_mov_b32 s35, s19
	s_branch .LBB214_49
.LBB214_56:
	s_waitcnt lgkmcnt(0)
	; wave barrier
	s_and_saveexec_b64 s[12:13], s[4:5]
	s_cbranch_execz .LBB214_60
; %bb.57:
	s_andn2_b64 vcc, exec, s[6:7]
	s_cbranch_vccnz .LBB214_60
; %bb.58:
	s_lshl_b64 s[4:5], s[16:17], 4
	s_add_u32 s6, s10, s4
	s_addc_u32 s7, s11, s5
	s_lshl_b64 s[4:5], s[24:25], 4
	s_add_u32 s9, s6, s4
	s_addc_u32 s10, s7, s5
	v_mad_i64_i32 v[1:2], s[6:7], s21, v0, 0
	s_mul_hi_i32 s5, s21, s8
	s_mul_i32 s4, s21, s8
	s_lshl_b64 s[4:5], s[4:5], 4
	s_add_u32 s4, s9, s4
	v_lshlrev_b64 v[1:2], 4, v[1:2]
	s_addc_u32 s5, s10, s5
	v_mov_b32_e32 v3, s5
	v_add_co_u32_e32 v1, vcc, s4, v1
	v_addc_co_u32_e32 v2, vcc, v3, v2, vcc
	v_mov_b32_e32 v3, 0x1000
	v_lshl_or_b32 v0, v0, 4, v3
.LBB214_59:                             ; =>This Inner Loop Header: Depth=1
	ds_read2_b64 v[3:6], v0 offset1:1
	s_add_i32 s28, s28, -1
	v_add_u32_e32 v0, 0x100, v0
	s_cmp_lg_u32 s28, 0
	s_waitcnt lgkmcnt(0)
	global_store_dwordx4 v[1:2], v[3:6], off
	v_add_co_u32_e32 v1, vcc, 16, v1
	v_addc_co_u32_e32 v2, vcc, 0, v2, vcc
	s_cbranch_scc1 .LBB214_59
.LBB214_60:
	s_endpgm
	.section	.rodata,"a",@progbits
	.p2align	6, 0x0
	.amdhsa_kernel _ZL38rocblas_trsm_small_left_device_sharedBILi16ELi16ELb0E19rocblas_complex_numIdES1_PKS1_PS1_Ev13rocblas_fill_18rocblas_operation_17rocblas_diagonal_iiT3_T4_lilT5_lili
		.amdhsa_group_segment_fixed_size 8192
		.amdhsa_private_segment_fixed_size 272
		.amdhsa_kernarg_size 368
		.amdhsa_user_sgpr_count 6
		.amdhsa_user_sgpr_private_segment_buffer 1
		.amdhsa_user_sgpr_dispatch_ptr 0
		.amdhsa_user_sgpr_queue_ptr 0
		.amdhsa_user_sgpr_kernarg_segment_ptr 1
		.amdhsa_user_sgpr_dispatch_id 0
		.amdhsa_user_sgpr_flat_scratch_init 0
		.amdhsa_user_sgpr_private_segment_size 0
		.amdhsa_uses_dynamic_stack 0
		.amdhsa_system_sgpr_private_segment_wavefront_offset 1
		.amdhsa_system_sgpr_workgroup_id_x 1
		.amdhsa_system_sgpr_workgroup_id_y 0
		.amdhsa_system_sgpr_workgroup_id_z 1
		.amdhsa_system_sgpr_workgroup_info 0
		.amdhsa_system_vgpr_workitem_id 0
		.amdhsa_next_free_vgpr 85
		.amdhsa_next_free_sgpr 98
		.amdhsa_reserve_vcc 1
		.amdhsa_reserve_flat_scratch 0
		.amdhsa_float_round_mode_32 0
		.amdhsa_float_round_mode_16_64 0
		.amdhsa_float_denorm_mode_32 3
		.amdhsa_float_denorm_mode_16_64 3
		.amdhsa_dx10_clamp 1
		.amdhsa_ieee_mode 1
		.amdhsa_fp16_overflow 0
		.amdhsa_exception_fp_ieee_invalid_op 0
		.amdhsa_exception_fp_denorm_src 0
		.amdhsa_exception_fp_ieee_div_zero 0
		.amdhsa_exception_fp_ieee_overflow 0
		.amdhsa_exception_fp_ieee_underflow 0
		.amdhsa_exception_fp_ieee_inexact 0
		.amdhsa_exception_int_div_zero 0
	.end_amdhsa_kernel
	.section	.text._ZL38rocblas_trsm_small_left_device_sharedBILi16ELi16ELb0E19rocblas_complex_numIdES1_PKS1_PS1_Ev13rocblas_fill_18rocblas_operation_17rocblas_diagonal_iiT3_T4_lilT5_lili,"axG",@progbits,_ZL38rocblas_trsm_small_left_device_sharedBILi16ELi16ELb0E19rocblas_complex_numIdES1_PKS1_PS1_Ev13rocblas_fill_18rocblas_operation_17rocblas_diagonal_iiT3_T4_lilT5_lili,comdat
.Lfunc_end214:
	.size	_ZL38rocblas_trsm_small_left_device_sharedBILi16ELi16ELb0E19rocblas_complex_numIdES1_PKS1_PS1_Ev13rocblas_fill_18rocblas_operation_17rocblas_diagonal_iiT3_T4_lilT5_lili, .Lfunc_end214-_ZL38rocblas_trsm_small_left_device_sharedBILi16ELi16ELb0E19rocblas_complex_numIdES1_PKS1_PS1_Ev13rocblas_fill_18rocblas_operation_17rocblas_diagonal_iiT3_T4_lilT5_lili
                                        ; -- End function
	.set _ZL38rocblas_trsm_small_left_device_sharedBILi16ELi16ELb0E19rocblas_complex_numIdES1_PKS1_PS1_Ev13rocblas_fill_18rocblas_operation_17rocblas_diagonal_iiT3_T4_lilT5_lili.num_vgpr, 19
	.set _ZL38rocblas_trsm_small_left_device_sharedBILi16ELi16ELb0E19rocblas_complex_numIdES1_PKS1_PS1_Ev13rocblas_fill_18rocblas_operation_17rocblas_diagonal_iiT3_T4_lilT5_lili.num_agpr, 0
	.set _ZL38rocblas_trsm_small_left_device_sharedBILi16ELi16ELb0E19rocblas_complex_numIdES1_PKS1_PS1_Ev13rocblas_fill_18rocblas_operation_17rocblas_diagonal_iiT3_T4_lilT5_lili.numbered_sgpr, 37
	.set _ZL38rocblas_trsm_small_left_device_sharedBILi16ELi16ELb0E19rocblas_complex_numIdES1_PKS1_PS1_Ev13rocblas_fill_18rocblas_operation_17rocblas_diagonal_iiT3_T4_lilT5_lili.num_named_barrier, 0
	.set _ZL38rocblas_trsm_small_left_device_sharedBILi16ELi16ELb0E19rocblas_complex_numIdES1_PKS1_PS1_Ev13rocblas_fill_18rocblas_operation_17rocblas_diagonal_iiT3_T4_lilT5_lili.private_seg_size, 272
	.set _ZL38rocblas_trsm_small_left_device_sharedBILi16ELi16ELb0E19rocblas_complex_numIdES1_PKS1_PS1_Ev13rocblas_fill_18rocblas_operation_17rocblas_diagonal_iiT3_T4_lilT5_lili.uses_vcc, 1
	.set _ZL38rocblas_trsm_small_left_device_sharedBILi16ELi16ELb0E19rocblas_complex_numIdES1_PKS1_PS1_Ev13rocblas_fill_18rocblas_operation_17rocblas_diagonal_iiT3_T4_lilT5_lili.uses_flat_scratch, 0
	.set _ZL38rocblas_trsm_small_left_device_sharedBILi16ELi16ELb0E19rocblas_complex_numIdES1_PKS1_PS1_Ev13rocblas_fill_18rocblas_operation_17rocblas_diagonal_iiT3_T4_lilT5_lili.has_dyn_sized_stack, 0
	.set _ZL38rocblas_trsm_small_left_device_sharedBILi16ELi16ELb0E19rocblas_complex_numIdES1_PKS1_PS1_Ev13rocblas_fill_18rocblas_operation_17rocblas_diagonal_iiT3_T4_lilT5_lili.has_recursion, 0
	.set _ZL38rocblas_trsm_small_left_device_sharedBILi16ELi16ELb0E19rocblas_complex_numIdES1_PKS1_PS1_Ev13rocblas_fill_18rocblas_operation_17rocblas_diagonal_iiT3_T4_lilT5_lili.has_indirect_call, 0
	.section	.AMDGPU.csdata,"",@progbits
; Kernel info:
; codeLenInByte = 3068
; TotalNumSgprs: 41
; NumVgprs: 19
; ScratchSize: 272
; MemoryBound: 0
; FloatMode: 240
; IeeeMode: 1
; LDSByteSize: 8192 bytes/workgroup (compile time only)
; SGPRBlocks: 12
; VGPRBlocks: 21
; NumSGPRsForWavesPerEU: 102
; NumVGPRsForWavesPerEU: 85
; Occupancy: 2
; WaveLimiterHint : 0
; COMPUTE_PGM_RSRC2:SCRATCH_EN: 1
; COMPUTE_PGM_RSRC2:USER_SGPR: 6
; COMPUTE_PGM_RSRC2:TRAP_HANDLER: 0
; COMPUTE_PGM_RSRC2:TGID_X_EN: 1
; COMPUTE_PGM_RSRC2:TGID_Y_EN: 0
; COMPUTE_PGM_RSRC2:TGID_Z_EN: 1
; COMPUTE_PGM_RSRC2:TIDIG_COMP_CNT: 0
	.section	.text._ZL30rocblas_trsm_small_left_deviceILi16ELi16ELb0E19rocblas_complex_numIdES1_PKS1_PS1_Ev13rocblas_fill_18rocblas_operation_17rocblas_diagonal_iiT3_T4_lilT5_lili,"axG",@progbits,_ZL30rocblas_trsm_small_left_deviceILi16ELi16ELb0E19rocblas_complex_numIdES1_PKS1_PS1_Ev13rocblas_fill_18rocblas_operation_17rocblas_diagonal_iiT3_T4_lilT5_lili,comdat
	.globl	_ZL30rocblas_trsm_small_left_deviceILi16ELi16ELb0E19rocblas_complex_numIdES1_PKS1_PS1_Ev13rocblas_fill_18rocblas_operation_17rocblas_diagonal_iiT3_T4_lilT5_lili ; -- Begin function _ZL30rocblas_trsm_small_left_deviceILi16ELi16ELb0E19rocblas_complex_numIdES1_PKS1_PS1_Ev13rocblas_fill_18rocblas_operation_17rocblas_diagonal_iiT3_T4_lilT5_lili
	.p2align	8
	.type	_ZL30rocblas_trsm_small_left_deviceILi16ELi16ELb0E19rocblas_complex_numIdES1_PKS1_PS1_Ev13rocblas_fill_18rocblas_operation_17rocblas_diagonal_iiT3_T4_lilT5_lili,@function
_ZL30rocblas_trsm_small_left_deviceILi16ELi16ELb0E19rocblas_complex_numIdES1_PKS1_PS1_Ev13rocblas_fill_18rocblas_operation_17rocblas_diagonal_iiT3_T4_lilT5_lili: ; @_ZL30rocblas_trsm_small_left_deviceILi16ELi16ELb0E19rocblas_complex_numIdES1_PKS1_PS1_Ev13rocblas_fill_18rocblas_operation_17rocblas_diagonal_iiT3_T4_lilT5_lili
; %bb.0:
	s_add_u32 s0, s0, s8
	s_load_dwordx4 s[20:23], s[4:5], 0x4
	s_load_dwordx8 s[12:19], s[4:5], 0x18
	s_load_dwordx4 s[8:11], s[4:5], 0x40
	s_load_dwordx2 s[24:25], s[4:5], 0x50
	s_load_dword s29, s[4:5], 0x70
	s_addc_u32 s1, s1, 0
	s_waitcnt lgkmcnt(0)
	s_min_i32 s28, s22, 16
	v_cmp_gt_i32_e32 vcc, s28, v0
	s_and_saveexec_b64 s[26:27], vcc
	s_cbranch_execz .LBB215_11
; %bb.1:
	s_load_dword s30, s[4:5], 0x38
	s_mul_i32 s9, s9, s7
	s_mul_hi_u32 s22, s8, s7
	s_mul_i32 s8, s8, s7
	v_lshlrev_b32_e32 v3, 4, v0
	s_waitcnt lgkmcnt(0)
	s_ashr_i32 s31, s30, 31
	s_cmpk_eq_i32 s20, 0x71
	s_cselect_b64 vcc, -1, 0
	s_add_i32 s9, s22, s9
	s_lshl_b64 s[8:9], s[8:9], 4
	s_lshl_b64 s[18:19], s[18:19], 4
	s_add_u32 s8, s8, s18
	s_addc_u32 s9, s9, s19
	s_add_u32 s8, s16, s8
	s_addc_u32 s9, s17, s9
	v_mov_b32_e32 v1, s9
	v_add_co_u32_e64 v2, s[8:9], s8, v3
	v_addc_co_u32_e64 v4, s[8:9], 0, v1, s[8:9]
	v_add_co_u32_e64 v1, s[8:9], 8, v2
	s_lshl_b64 s[16:17], s[30:31], 4
	v_addc_co_u32_e64 v2, s[8:9], 0, v4, s[8:9]
	v_mov_b32_e32 v4, s17
	v_mov_b32_e32 v5, v3
	s_mov_b32 s17, s28
.LBB215_2:                              ; =>This Inner Loop Header: Depth=1
	global_load_dwordx4 v[6:9], v[1:2], off offset:-8
	s_add_i32 s17, s17, -1
	v_add_co_u32_e64 v1, s[8:9], s16, v1
	v_addc_co_u32_e64 v2, s[8:9], v2, v4, s[8:9]
	s_cmp_eq_u32 s17, 0
	s_waitcnt vmcnt(0)
	v_xor_b32_e32 v10, 0x80000000, v9
	v_cndmask_b32_e32 v9, v9, v10, vcc
	ds_write_b128 v5, v[6:9]
	v_add_u32_e32 v5, 0x100, v5
	s_cbranch_scc0 .LBB215_2
; %bb.3:
	v_lshlrev_b32_e32 v1, 8, v0
	s_cmpk_lg_i32 s21, 0x84
	v_add_u32_e32 v9, v3, v1
	s_cbranch_scc0 .LBB215_9
; %bb.4:
	ds_read_b128 v[1:4], v9
                                        ; implicit-def: $vgpr7_vgpr8
	s_waitcnt lgkmcnt(0)
	v_cmp_ngt_f64_e64 s[8:9], |v[1:2]|, |v[3:4]|
	s_and_saveexec_b64 s[16:17], s[8:9]
	s_xor_b64 s[8:9], exec, s[16:17]
	s_cbranch_execz .LBB215_6
; %bb.5:
	v_div_scale_f64 v[5:6], s[16:17], v[3:4], v[3:4], v[1:2]
	v_rcp_f64_e32 v[7:8], v[5:6]
	v_fma_f64 v[10:11], -v[5:6], v[7:8], 1.0
	v_fma_f64 v[7:8], v[7:8], v[10:11], v[7:8]
	v_div_scale_f64 v[10:11], vcc, v[1:2], v[3:4], v[1:2]
	v_fma_f64 v[12:13], -v[5:6], v[7:8], 1.0
	v_fma_f64 v[7:8], v[7:8], v[12:13], v[7:8]
	v_mul_f64 v[12:13], v[10:11], v[7:8]
	v_fma_f64 v[5:6], -v[5:6], v[12:13], v[10:11]
	v_div_fmas_f64 v[5:6], v[5:6], v[7:8], v[12:13]
	v_div_fixup_f64 v[5:6], v[5:6], v[3:4], v[1:2]
	v_fma_f64 v[1:2], v[1:2], v[5:6], v[3:4]
	v_div_scale_f64 v[3:4], s[16:17], v[1:2], v[1:2], 1.0
	v_rcp_f64_e32 v[7:8], v[3:4]
	v_fma_f64 v[10:11], -v[3:4], v[7:8], 1.0
	v_fma_f64 v[7:8], v[7:8], v[10:11], v[7:8]
	v_div_scale_f64 v[10:11], vcc, 1.0, v[1:2], 1.0
	v_fma_f64 v[12:13], -v[3:4], v[7:8], 1.0
	v_fma_f64 v[7:8], v[7:8], v[12:13], v[7:8]
	v_mul_f64 v[12:13], v[10:11], v[7:8]
	v_fma_f64 v[3:4], -v[3:4], v[12:13], v[10:11]
	v_div_fmas_f64 v[3:4], v[3:4], v[7:8], v[12:13]
	v_add_f64 v[7:8], v[5:6], 0
	v_div_fixup_f64 v[1:2], v[3:4], v[1:2], 1.0
	v_fma_f64 v[3:4], v[5:6], 0, -1.0
	v_mul_f64 v[5:6], v[7:8], v[1:2]
	v_mul_f64 v[7:8], v[3:4], v[1:2]
                                        ; implicit-def: $vgpr1_vgpr2
.LBB215_6:
	s_andn2_saveexec_b64 s[8:9], s[8:9]
	s_cbranch_execz .LBB215_8
; %bb.7:
	v_div_scale_f64 v[5:6], s[16:17], v[1:2], v[1:2], v[3:4]
	v_rcp_f64_e32 v[7:8], v[5:6]
	v_fma_f64 v[10:11], -v[5:6], v[7:8], 1.0
	v_fma_f64 v[7:8], v[7:8], v[10:11], v[7:8]
	v_div_scale_f64 v[10:11], vcc, v[3:4], v[1:2], v[3:4]
	v_fma_f64 v[12:13], -v[5:6], v[7:8], 1.0
	v_fma_f64 v[7:8], v[7:8], v[12:13], v[7:8]
	v_mul_f64 v[12:13], v[10:11], v[7:8]
	v_fma_f64 v[5:6], -v[5:6], v[12:13], v[10:11]
	v_div_fmas_f64 v[5:6], v[5:6], v[7:8], v[12:13]
	v_div_fixup_f64 v[5:6], v[5:6], v[1:2], v[3:4]
	v_fma_f64 v[1:2], v[3:4], v[5:6], v[1:2]
	v_div_scale_f64 v[3:4], s[16:17], v[1:2], v[1:2], 1.0
	v_rcp_f64_e32 v[7:8], v[3:4]
	v_fma_f64 v[10:11], -v[3:4], v[7:8], 1.0
	v_fma_f64 v[7:8], v[7:8], v[10:11], v[7:8]
	v_div_scale_f64 v[10:11], vcc, 1.0, v[1:2], 1.0
	v_fma_f64 v[12:13], -v[3:4], v[7:8], 1.0
	v_fma_f64 v[7:8], v[7:8], v[12:13], v[7:8]
	v_mul_f64 v[12:13], v[10:11], v[7:8]
	v_fma_f64 v[3:4], -v[3:4], v[12:13], v[10:11]
	v_div_fmas_f64 v[3:4], v[3:4], v[7:8], v[12:13]
	v_fma_f64 v[7:8], v[5:6], 0, 1.0
	v_div_fixup_f64 v[1:2], v[3:4], v[1:2], 1.0
	v_add_f64 v[3:4], -v[5:6], 0
	v_mul_f64 v[5:6], v[7:8], v[1:2]
	v_mul_f64 v[7:8], v[3:4], v[1:2]
.LBB215_8:
	s_or_b64 exec, exec, s[8:9]
	s_branch .LBB215_10
.LBB215_9:
	v_mov_b32_e32 v7, 0
	v_mov_b32_e32 v5, 0
	;; [unrolled: 1-line block ×4, first 2 shown]
.LBB215_10:
	ds_write_b128 v9, v[5:8]
.LBB215_11:
	s_or_b64 exec, exec, s[26:27]
	s_lshl_b32 s8, s6, 4
	s_add_i32 s29, s29, -1
	s_sub_i32 s9, s23, s8
	s_cmp_ge_u32 s6, s29
	s_cselect_b32 s6, s9, 16
	v_cmp_gt_i32_e32 vcc, s6, v0
	s_waitcnt lgkmcnt(0)
	; wave barrier
	s_and_saveexec_b64 s[16:17], vcc
	s_cbranch_execz .LBB215_54
; %bb.12:
	s_load_dwordx2 s[16:17], s[4:5], 0x60
	s_load_dword s6, s[4:5], 0x58
	v_add_u32_e32 v0, s8, v0
	s_waitcnt lgkmcnt(0)
	s_mul_i32 s5, s17, s7
	s_mul_hi_u32 s8, s16, s7
	s_mul_i32 s4, s16, s7
	s_add_i32 s5, s8, s5
	v_mad_i64_i32 v[0:1], s[6:7], s6, v0, 0
	s_lshl_b64 s[4:5], s[4:5], 4
	s_add_u32 s8, s10, s4
	s_addc_u32 s9, s11, s5
	s_lshl_b64 s[6:7], s[24:25], 4
	s_add_u32 s8, s8, s6
	v_lshlrev_b64 v[4:5], 4, v[0:1]
	s_addc_u32 s9, s9, s7
	v_mov_b32_e32 v0, s9
	v_add_co_u32_e32 v8, vcc, s8, v4
	v_addc_co_u32_e32 v9, vcc, v0, v5, vcc
	s_cmpk_eq_i32 s20, 0x6f
	s_mov_b64 s[8:9], -1
	s_cbranch_scc1 .LBB215_34
; %bb.13:
	s_add_u32 s8, s10, s6
	s_addc_u32 s9, s11, s7
	s_add_u32 s8, s8, s4
	s_addc_u32 s9, s9, s5
	v_mov_b32_e32 v0, s9
	v_add_co_u32_e32 v1, vcc, s8, v4
	v_addc_co_u32_e32 v0, vcc, v0, v5, vcc
	v_add_co_u32_e32 v10, vcc, 8, v1
	s_mov_b32 s9, 0
	v_addc_co_u32_e32 v11, vcc, 0, v0, vcc
	s_mov_b32 s16, s9
	s_mov_b32 s18, s9
	s_branch .LBB215_15
.LBB215_14:                             ;   in Loop: Header=BB215_15 Depth=1
	s_cmp_ge_i32 s18, s28
	s_cselect_b64 s[20:21], -1, 0
	s_add_i32 s16, s16, 1
	s_cmp_eq_u32 s16, 3
	s_cselect_b64 s[22:23], -1, 0
	s_or_b64 s[20:21], s[20:21], s[22:23]
	s_andn2_b64 vcc, exec, s[20:21]
	s_cbranch_vccz .LBB215_33
.LBB215_15:                             ; =>This Loop Header: Depth=1
                                        ;     Child Loop BB215_18 Depth 2
                                        ;       Child Loop BB215_19 Depth 3
                                        ;       Child Loop BB215_22 Depth 3
                                        ;         Child Loop BB215_23 Depth 4
                                        ;       Child Loop BB215_27 Depth 3
                                        ;         Child Loop BB215_29 Depth 4
	s_mov_b32 s17, s9
	s_lshl_b64 s[20:21], s[16:17], 2
	s_getpc_b64 s[22:23]
	s_add_u32 s22, s22, __const._ZL30rocblas_trsm_small_left_deviceILi16ELi16ELb0E19rocblas_complex_numIdES1_PKS1_PS1_Ev13rocblas_fill_18rocblas_operation_17rocblas_diagonal_iiT3_T4_lilT5_lili.step_sizes@rel32@lo+4
	s_addc_u32 s23, s23, __const._ZL30rocblas_trsm_small_left_deviceILi16ELi16ELb0E19rocblas_complex_numIdES1_PKS1_PS1_Ev13rocblas_fill_18rocblas_operation_17rocblas_diagonal_iiT3_T4_lilT5_lili.step_sizes@rel32@hi+12
	s_add_u32 s20, s22, s20
	s_addc_u32 s21, s23, s21
	s_load_dword s20, s[20:21], 0x0
	s_waitcnt lgkmcnt(0)
	s_add_i32 s17, s20, -1
	s_add_i32 s8, s17, s18
	s_cmp_ge_i32 s8, s28
	s_cbranch_scc1 .LBB215_14
; %bb.16:                               ;   in Loop: Header=BB215_15 Depth=1
	s_ashr_i32 s19, s18, 31
	s_lshl_b64 s[22:23], s[18:19], 4
	v_mov_b32_e32 v0, s23
	v_add_co_u32_e32 v6, vcc, s22, v10
	s_ashr_i32 s21, s20, 31
	s_max_i32 s29, s20, 1
	v_addc_co_u32_e32 v7, vcc, v11, v0, vcc
	s_lshl_b64 s[22:23], s[20:21], 4
	s_lshl_b32 s19, s18, 8
	s_lshl_b32 s21, s20, 8
	s_mul_i32 s30, s18, 0x110
	s_mul_i32 s31, s20, 0x110
	s_branch .LBB215_18
.LBB215_17:                             ;   in Loop: Header=BB215_18 Depth=2
	s_add_i32 s18, s18, s20
	s_add_i32 s8, s17, s18
	v_mov_b32_e32 v0, s23
	s_add_i32 s19, s19, s21
	s_add_i32 s30, s30, s31
	v_add_co_u32_e32 v6, vcc, s22, v6
	s_cmp_ge_i32 s8, s28
	v_addc_co_u32_e32 v7, vcc, v7, v0, vcc
	s_cbranch_scc1 .LBB215_14
.LBB215_18:                             ;   Parent Loop BB215_15 Depth=1
                                        ; =>  This Loop Header: Depth=2
                                        ;       Child Loop BB215_19 Depth 3
                                        ;       Child Loop BB215_22 Depth 3
                                        ;         Child Loop BB215_23 Depth 4
                                        ;       Child Loop BB215_27 Depth 3
                                        ;         Child Loop BB215_29 Depth 4
	v_mov_b32_e32 v0, v6
	s_mov_b32 s8, 0
	v_mov_b32_e32 v1, v7
	s_mov_b32 s24, s29
.LBB215_19:                             ;   Parent Loop BB215_15 Depth=1
                                        ;     Parent Loop BB215_18 Depth=2
                                        ; =>    This Inner Loop Header: Depth=3
	global_load_dwordx4 v[12:15], v[0:1], off offset:-8
	v_mov_b32_e32 v16, s8
	s_add_i32 s24, s24, -1
	v_add_co_u32_e32 v0, vcc, 16, v0
	s_add_i32 s8, s8, 16
	v_addc_co_u32_e32 v1, vcc, 0, v1, vcc
	s_cmp_eq_u32 s24, 0
	s_waitcnt vmcnt(0)
	v_mul_f64 v[2:3], s[14:15], v[14:15]
	v_mul_f64 v[14:15], s[12:13], v[14:15]
	v_fma_f64 v[2:3], s[12:13], v[12:13], -v[2:3]
	v_fma_f64 v[12:13], s[14:15], v[12:13], v[14:15]
	buffer_store_dword v3, v16, s[0:3], 0 offen offset:4
	buffer_store_dword v2, v16, s[0:3], 0 offen
	buffer_store_dword v13, v16, s[0:3], 0 offen offset:12
	buffer_store_dword v12, v16, s[0:3], 0 offen offset:8
	s_cbranch_scc0 .LBB215_19
; %bb.20:                               ;   in Loop: Header=BB215_18 Depth=2
	s_cmp_lt_i32 s18, 1
	s_cbranch_scc1 .LBB215_25
; %bb.21:                               ;   in Loop: Header=BB215_18 Depth=2
	s_mov_b32 s8, 0
	s_mov_b32 s24, s19
.LBB215_22:                             ;   Parent Loop BB215_15 Depth=1
                                        ;     Parent Loop BB215_18 Depth=2
                                        ; =>    This Loop Header: Depth=3
                                        ;         Child Loop BB215_23 Depth 4
	s_lshl_b64 s[26:27], s[8:9], 4
	v_mov_b32_e32 v1, s27
	v_add_co_u32_e32 v0, vcc, s26, v8
	v_addc_co_u32_e32 v1, vcc, v9, v1, vcc
	global_load_dwordx4 v[0:3], v[0:1], off
	s_mov_b32 s25, 0
	s_mov_b32 s26, s24
	;; [unrolled: 1-line block ×3, first 2 shown]
.LBB215_23:                             ;   Parent Loop BB215_15 Depth=1
                                        ;     Parent Loop BB215_18 Depth=2
                                        ;       Parent Loop BB215_22 Depth=3
                                        ; =>      This Inner Loop Header: Depth=4
	v_mov_b32_e32 v22, s25
	buffer_load_dword v16, v22, s[0:3], 0 offen
	buffer_load_dword v17, v22, s[0:3], 0 offen offset:4
	buffer_load_dword v18, v22, s[0:3], 0 offen offset:8
	;; [unrolled: 1-line block ×3, first 2 shown]
	v_mov_b32_e32 v12, s26
	ds_read_b128 v[12:15], v12
	s_add_i32 s27, s27, -1
	s_addk_i32 s26, 0x100
	s_add_i32 s25, s25, 16
	s_cmp_eq_u32 s27, 0
	s_waitcnt vmcnt(4) lgkmcnt(0)
	v_mul_f64 v[20:21], v[2:3], v[14:15]
	v_mul_f64 v[14:15], v[0:1], v[14:15]
	v_fma_f64 v[20:21], v[0:1], v[12:13], -v[20:21]
	v_fma_f64 v[12:13], v[2:3], v[12:13], v[14:15]
	s_waitcnt vmcnt(2)
	v_add_f64 v[14:15], v[16:17], -v[20:21]
	s_waitcnt vmcnt(0)
	v_add_f64 v[12:13], v[18:19], -v[12:13]
	buffer_store_dword v14, v22, s[0:3], 0 offen
	buffer_store_dword v15, v22, s[0:3], 0 offen offset:4
	buffer_store_dword v12, v22, s[0:3], 0 offen offset:8
	;; [unrolled: 1-line block ×3, first 2 shown]
	s_cbranch_scc0 .LBB215_23
; %bb.24:                               ;   in Loop: Header=BB215_22 Depth=3
	s_add_i32 s8, s8, 1
	s_add_i32 s24, s24, 16
	s_cmp_eq_u32 s8, s18
	s_cbranch_scc0 .LBB215_22
.LBB215_25:                             ;   in Loop: Header=BB215_18 Depth=2
	s_mov_b32 s8, 0
	s_mov_b32 s33, s30
	s_branch .LBB215_27
.LBB215_26:                             ;   in Loop: Header=BB215_27 Depth=3
	s_mul_i32 s25, s24, 0x110
	v_mov_b32_e32 v12, s25
	ds_read_b128 v[12:15], v12
	s_ashr_i32 s25, s24, 31
	s_lshl_b64 s[24:25], s[24:25], 4
	s_lshl_b32 s26, s8, 4
	s_add_i32 s8, s8, 1
	s_waitcnt vmcnt(0) lgkmcnt(0)
	v_mul_f64 v[16:17], v[14:15], v[2:3]
	v_mul_f64 v[2:3], v[12:13], v[2:3]
	s_addk_i32 s33, 0x100
	v_mov_b32_e32 v18, s26
	s_cmp_eq_u32 s8, s29
	v_fma_f64 v[12:13], v[12:13], v[0:1], -v[16:17]
	v_fma_f64 v[14:15], v[14:15], v[0:1], v[2:3]
	v_mov_b32_e32 v16, s25
	v_add_co_u32_e32 v0, vcc, s24, v8
	v_addc_co_u32_e32 v1, vcc, v9, v16, vcc
	buffer_store_dword v13, v18, s[0:3], 0 offen offset:4
	buffer_store_dword v12, v18, s[0:3], 0 offen
	buffer_store_dword v15, v18, s[0:3], 0 offen offset:12
	buffer_store_dword v14, v18, s[0:3], 0 offen offset:8
	global_store_dwordx4 v[0:1], v[12:15], off
	s_cbranch_scc1 .LBB215_17
.LBB215_27:                             ;   Parent Loop BB215_15 Depth=1
                                        ;     Parent Loop BB215_18 Depth=2
                                        ; =>    This Loop Header: Depth=3
                                        ;         Child Loop BB215_29 Depth 4
	s_cmp_lg_u32 s8, 0
	s_cbranch_scc0 .LBB215_31
; %bb.28:                               ;   in Loop: Header=BB215_27 Depth=3
	s_lshl_b32 s25, s8, 4
	v_mov_b32_e32 v12, s25
	buffer_load_dword v0, v12, s[0:3], 0 offen
	buffer_load_dword v1, v12, s[0:3], 0 offen offset:4
	buffer_load_dword v2, v12, s[0:3], 0 offen offset:8
	;; [unrolled: 1-line block ×3, first 2 shown]
	s_add_i32 s24, s8, s18
	s_mov_b32 s26, 0
	s_mov_b32 s27, s33
	;; [unrolled: 1-line block ×3, first 2 shown]
.LBB215_29:                             ;   Parent Loop BB215_15 Depth=1
                                        ;     Parent Loop BB215_18 Depth=2
                                        ;       Parent Loop BB215_27 Depth=3
                                        ; =>      This Inner Loop Header: Depth=4
	v_mov_b32_e32 v12, s26
	buffer_load_dword v16, v12, s[0:3], 0 offen offset:8
	buffer_load_dword v17, v12, s[0:3], 0 offen offset:12
	buffer_load_dword v18, v12, s[0:3], 0 offen
	buffer_load_dword v19, v12, s[0:3], 0 offen offset:4
	v_mov_b32_e32 v12, s27
	ds_read_b128 v[12:15], v12
	s_add_i32 s34, s34, -1
	s_add_i32 s26, s26, 16
	s_add_i32 s27, s27, 16
	s_cmp_eq_u32 s34, 0
	s_waitcnt vmcnt(2) lgkmcnt(0)
	v_mul_f64 v[20:21], v[14:15], v[16:17]
	v_mul_f64 v[16:17], v[12:13], v[16:17]
	s_waitcnt vmcnt(0)
	v_fma_f64 v[12:13], v[12:13], v[18:19], -v[20:21]
	v_fma_f64 v[14:15], v[14:15], v[18:19], v[16:17]
	v_mov_b32_e32 v16, s25
	v_add_f64 v[0:1], v[0:1], -v[12:13]
	v_add_f64 v[2:3], v[2:3], -v[14:15]
	buffer_store_dword v0, v16, s[0:3], 0 offen
	buffer_store_dword v1, v16, s[0:3], 0 offen offset:4
	buffer_store_dword v2, v16, s[0:3], 0 offen offset:8
	;; [unrolled: 1-line block ×3, first 2 shown]
	s_cbranch_scc0 .LBB215_29
; %bb.30:                               ;   in Loop: Header=BB215_27 Depth=3
	s_branch .LBB215_26
.LBB215_31:                             ;   in Loop: Header=BB215_27 Depth=3
                                        ; implicit-def: $vgpr0_vgpr1
                                        ; implicit-def: $vgpr2_vgpr3
                                        ; implicit-def: $sgpr24
	s_cbranch_execz .LBB215_26
; %bb.32:                               ;   in Loop: Header=BB215_27 Depth=3
	buffer_load_dword v0, off, s[0:3], 0
	buffer_load_dword v1, off, s[0:3], 0 offset:4
	buffer_load_dword v2, off, s[0:3], 0 offset:8
	;; [unrolled: 1-line block ×3, first 2 shown]
	s_mov_b32 s24, s18
	s_branch .LBB215_26
.LBB215_33:
	s_mov_b64 s[8:9], 0
.LBB215_34:
	s_and_b64 vcc, exec, s[8:9]
	s_cbranch_vccz .LBB215_54
; %bb.35:
	s_add_i32 s18, s28, -1
	s_add_u32 s6, s10, s6
	s_addc_u32 s7, s11, s7
	s_add_u32 s4, s6, s4
	s_addc_u32 s5, s7, s5
	v_mov_b32_e32 v0, s5
	v_add_co_u32_e32 v1, vcc, s4, v4
	v_addc_co_u32_e32 v0, vcc, v0, v5, vcc
	v_add_co_u32_e32 v4, vcc, 8, v1
	s_lshl_b32 s19, s28, 8
	s_mov_b32 s5, 0
	v_addc_co_u32_e32 v5, vcc, 0, v0, vcc
	s_addk_i32 s19, 0xff00
	s_mov_b32 s6, s18
	s_mov_b32 s4, s5
	s_branch .LBB215_37
.LBB215_36:                             ;   in Loop: Header=BB215_37 Depth=1
	s_cmp_lt_i32 s6, 0
	s_cselect_b64 s[8:9], -1, 0
	s_add_i32 s4, s4, 1
	s_cmp_eq_u32 s4, 3
	s_cselect_b64 s[10:11], -1, 0
	s_or_b64 s[8:9], s[8:9], s[10:11]
	s_and_b64 vcc, exec, s[8:9]
	s_cbranch_vccnz .LBB215_54
.LBB215_37:                             ; =>This Loop Header: Depth=1
                                        ;     Child Loop BB215_40 Depth 2
                                        ;       Child Loop BB215_41 Depth 3
                                        ;       Child Loop BB215_43 Depth 3
                                        ;         Child Loop BB215_44 Depth 4
                                        ;       Child Loop BB215_48 Depth 3
                                        ;         Child Loop BB215_50 Depth 4
	s_lshl_b64 s[8:9], s[4:5], 2
	s_getpc_b64 s[10:11]
	s_add_u32 s10, s10, __const._ZL30rocblas_trsm_small_left_deviceILi16ELi16ELb0E19rocblas_complex_numIdES1_PKS1_PS1_Ev13rocblas_fill_18rocblas_operation_17rocblas_diagonal_iiT3_T4_lilT5_lili.step_sizes@rel32@lo+4
	s_addc_u32 s11, s11, __const._ZL30rocblas_trsm_small_left_deviceILi16ELi16ELb0E19rocblas_complex_numIdES1_PKS1_PS1_Ev13rocblas_fill_18rocblas_operation_17rocblas_diagonal_iiT3_T4_lilT5_lili.step_sizes@rel32@hi+12
	s_add_u32 s8, s10, s8
	s_addc_u32 s9, s11, s9
	s_load_dword s20, s[8:9], 0x0
	s_waitcnt lgkmcnt(0)
	s_add_i32 s21, s20, -1
	s_cmp_lt_i32 s6, s21
	s_cbranch_scc1 .LBB215_36
; %bb.38:                               ;   in Loop: Header=BB215_37 Depth=1
	s_lshl_b32 s7, s6, 4
	s_add_i32 s23, s19, s7
	s_lshl_b32 s7, s20, 4
	s_max_i32 s22, s20, 1
	s_sub_i32 s24, 0, s7
	s_mul_i32 s25, s6, 0x110
	s_mul_i32 s26, s20, 0xfffffef0
	s_branch .LBB215_40
.LBB215_39:                             ;   in Loop: Header=BB215_40 Depth=2
	s_sub_i32 s6, s6, s20
	s_add_i32 s23, s23, s24
	s_add_i32 s25, s25, s26
	s_cmp_lt_i32 s6, s21
	s_cbranch_scc1 .LBB215_36
.LBB215_40:                             ;   Parent Loop BB215_37 Depth=1
                                        ; =>  This Loop Header: Depth=2
                                        ;       Child Loop BB215_41 Depth 3
                                        ;       Child Loop BB215_43 Depth 3
                                        ;         Child Loop BB215_44 Depth 4
                                        ;       Child Loop BB215_48 Depth 3
                                        ;         Child Loop BB215_50 Depth 4
	s_ashr_i32 s7, s6, 31
	s_lshl_b64 s[8:9], s[6:7], 4
	v_mov_b32_e32 v1, s9
	v_add_co_u32_e32 v0, vcc, s8, v4
	v_addc_co_u32_e32 v1, vcc, v5, v1, vcc
	s_mov_b32 s8, 0
	s_mov_b32 s9, s22
.LBB215_41:                             ;   Parent Loop BB215_37 Depth=1
                                        ;     Parent Loop BB215_40 Depth=2
                                        ; =>    This Inner Loop Header: Depth=3
	global_load_dwordx4 v[10:13], v[0:1], off offset:-8
	s_add_i32 s9, s9, -1
	v_add_co_u32_e32 v0, vcc, -16, v0
	v_addc_co_u32_e32 v1, vcc, -1, v1, vcc
	s_waitcnt vmcnt(0)
	v_mul_f64 v[2:3], s[14:15], v[12:13]
	v_mul_f64 v[6:7], s[12:13], v[12:13]
	v_mov_b32_e32 v12, s8
	s_add_i32 s8, s8, 16
	s_cmp_eq_u32 s9, 0
	v_fma_f64 v[2:3], s[12:13], v[10:11], -v[2:3]
	v_fma_f64 v[6:7], s[14:15], v[10:11], v[6:7]
	buffer_store_dword v3, v12, s[0:3], 0 offen offset:4
	buffer_store_dword v2, v12, s[0:3], 0 offen
	buffer_store_dword v7, v12, s[0:3], 0 offen offset:12
	buffer_store_dword v6, v12, s[0:3], 0 offen offset:8
	s_cbranch_scc0 .LBB215_41
; %bb.42:                               ;   in Loop: Header=BB215_40 Depth=2
	s_cmp_le_i32 s18, s6
	s_mov_b32 s10, s23
	s_mov_b32 s8, s18
	s_cbranch_scc1 .LBB215_46
.LBB215_43:                             ;   Parent Loop BB215_37 Depth=1
                                        ;     Parent Loop BB215_40 Depth=2
                                        ; =>    This Loop Header: Depth=3
                                        ;         Child Loop BB215_44 Depth 4
	s_ashr_i32 s9, s8, 31
	s_lshl_b64 s[16:17], s[8:9], 4
	v_mov_b32_e32 v1, s17
	v_add_co_u32_e32 v0, vcc, s16, v8
	v_addc_co_u32_e32 v1, vcc, v9, v1, vcc
	global_load_dwordx4 v[0:3], v[0:1], off
	s_mov_b32 s9, 0
	s_mov_b32 s11, s10
	;; [unrolled: 1-line block ×3, first 2 shown]
.LBB215_44:                             ;   Parent Loop BB215_37 Depth=1
                                        ;     Parent Loop BB215_40 Depth=2
                                        ;       Parent Loop BB215_43 Depth=3
                                        ; =>      This Inner Loop Header: Depth=4
	v_mov_b32_e32 v18, s9
	buffer_load_dword v6, v18, s[0:3], 0 offen
	buffer_load_dword v7, v18, s[0:3], 0 offen offset:4
	buffer_load_dword v14, v18, s[0:3], 0 offen offset:8
	;; [unrolled: 1-line block ×3, first 2 shown]
	v_mov_b32_e32 v10, s11
	ds_read_b128 v[10:13], v10
	s_add_i32 s16, s16, -1
	s_add_i32 s11, s11, -16
	s_add_i32 s9, s9, 16
	s_cmp_eq_u32 s16, 0
	s_waitcnt vmcnt(4) lgkmcnt(0)
	v_mul_f64 v[16:17], v[2:3], v[12:13]
	v_mul_f64 v[12:13], v[0:1], v[12:13]
	v_fma_f64 v[16:17], v[0:1], v[10:11], -v[16:17]
	v_fma_f64 v[10:11], v[2:3], v[10:11], v[12:13]
	s_waitcnt vmcnt(2)
	v_add_f64 v[6:7], v[6:7], -v[16:17]
	s_waitcnt vmcnt(0)
	v_add_f64 v[10:11], v[14:15], -v[10:11]
	buffer_store_dword v6, v18, s[0:3], 0 offen
	buffer_store_dword v7, v18, s[0:3], 0 offen offset:4
	buffer_store_dword v10, v18, s[0:3], 0 offen offset:8
	;; [unrolled: 1-line block ×3, first 2 shown]
	s_cbranch_scc0 .LBB215_44
; %bb.45:                               ;   in Loop: Header=BB215_43 Depth=3
	s_add_i32 s8, s8, -1
	s_addk_i32 s10, 0xff00
	s_cmp_le_i32 s8, s6
	s_cbranch_scc0 .LBB215_43
.LBB215_46:                             ;   in Loop: Header=BB215_40 Depth=2
	s_mov_b32 s27, 0
	s_mov_b32 s28, s25
	s_branch .LBB215_48
.LBB215_47:                             ;   in Loop: Header=BB215_48 Depth=3
	s_mulk_i32 s10, 0x110
	v_mov_b32_e32 v6, s10
	ds_read_b128 v[10:13], v6
	s_lshl_b64 s[8:9], s[8:9], 4
	s_lshl_b32 s10, s27, 4
	s_add_i32 s27, s27, 1
	s_add_i32 s28, s28, -16
	s_waitcnt vmcnt(0) lgkmcnt(0)
	v_mul_f64 v[6:7], v[12:13], v[2:3]
	v_mul_f64 v[2:3], v[10:11], v[2:3]
	v_mov_b32_e32 v14, s10
	s_cmp_eq_u32 s27, s22
	v_fma_f64 v[10:11], v[10:11], v[0:1], -v[6:7]
	v_fma_f64 v[12:13], v[12:13], v[0:1], v[2:3]
	v_mov_b32_e32 v6, s9
	v_add_co_u32_e32 v0, vcc, s8, v8
	v_addc_co_u32_e32 v1, vcc, v9, v6, vcc
	buffer_store_dword v11, v14, s[0:3], 0 offen offset:4
	buffer_store_dword v10, v14, s[0:3], 0 offen
	buffer_store_dword v13, v14, s[0:3], 0 offen offset:12
	buffer_store_dword v12, v14, s[0:3], 0 offen offset:8
	global_store_dwordx4 v[0:1], v[10:13], off
	s_cbranch_scc1 .LBB215_39
.LBB215_48:                             ;   Parent Loop BB215_37 Depth=1
                                        ;     Parent Loop BB215_40 Depth=2
                                        ; =>    This Loop Header: Depth=3
                                        ;         Child Loop BB215_50 Depth 4
	s_cmp_lg_u32 s27, 0
	s_cbranch_scc0 .LBB215_52
; %bb.49:                               ;   in Loop: Header=BB215_48 Depth=3
	s_lshl_b32 s8, s27, 4
	v_mov_b32_e32 v6, s8
	buffer_load_dword v0, v6, s[0:3], 0 offen
	buffer_load_dword v1, v6, s[0:3], 0 offen offset:4
	buffer_load_dword v2, v6, s[0:3], 0 offen offset:8
	;; [unrolled: 1-line block ×3, first 2 shown]
	s_mov_b32 s8, 0
	s_mov_b32 s9, s28
	;; [unrolled: 1-line block ×3, first 2 shown]
.LBB215_50:                             ;   Parent Loop BB215_37 Depth=1
                                        ;     Parent Loop BB215_40 Depth=2
                                        ;       Parent Loop BB215_48 Depth=3
                                        ; =>      This Inner Loop Header: Depth=4
	v_mov_b32_e32 v7, s8
	buffer_load_dword v14, v7, s[0:3], 0 offen offset:8
	buffer_load_dword v15, v7, s[0:3], 0 offen offset:12
	buffer_load_dword v16, v7, s[0:3], 0 offen
	buffer_load_dword v17, v7, s[0:3], 0 offen offset:4
	v_mov_b32_e32 v7, s9
	ds_read_b128 v[10:13], v7
	s_add_i32 s10, s10, -1
	s_addk_i32 s9, 0xff00
	s_add_i32 s8, s8, 16
	s_cmp_eq_u32 s10, 0
	s_waitcnt vmcnt(2) lgkmcnt(0)
	v_mul_f64 v[18:19], v[12:13], v[14:15]
	v_mul_f64 v[14:15], v[10:11], v[14:15]
	s_waitcnt vmcnt(0)
	v_fma_f64 v[10:11], v[10:11], v[16:17], -v[18:19]
	v_fma_f64 v[12:13], v[12:13], v[16:17], v[14:15]
	v_add_f64 v[0:1], v[0:1], -v[10:11]
	v_add_f64 v[2:3], v[2:3], -v[12:13]
	buffer_store_dword v0, v6, s[0:3], 0 offen
	buffer_store_dword v1, v6, s[0:3], 0 offen offset:4
	buffer_store_dword v2, v6, s[0:3], 0 offen offset:8
	;; [unrolled: 1-line block ×3, first 2 shown]
	s_cbranch_scc0 .LBB215_50
; %bb.51:                               ;   in Loop: Header=BB215_48 Depth=3
	s_sub_i32 s10, s6, s27
	s_ashr_i32 s11, s10, 31
	s_mov_b64 s[8:9], s[10:11]
	s_branch .LBB215_47
.LBB215_52:                             ;   in Loop: Header=BB215_48 Depth=3
                                        ; implicit-def: $vgpr0_vgpr1
                                        ; implicit-def: $vgpr2_vgpr3
                                        ; implicit-def: $sgpr10
                                        ; implicit-def: $sgpr8_sgpr9
	s_cbranch_execz .LBB215_47
; %bb.53:                               ;   in Loop: Header=BB215_48 Depth=3
	buffer_load_dword v0, off, s[0:3], 0
	buffer_load_dword v1, off, s[0:3], 0 offset:4
	buffer_load_dword v2, off, s[0:3], 0 offset:8
	;; [unrolled: 1-line block ×3, first 2 shown]
	s_mov_b64 s[8:9], s[6:7]
	s_mov_b32 s10, s6
	s_branch .LBB215_47
.LBB215_54:
	s_endpgm
	.section	.rodata,"a",@progbits
	.p2align	6, 0x0
	.amdhsa_kernel _ZL30rocblas_trsm_small_left_deviceILi16ELi16ELb0E19rocblas_complex_numIdES1_PKS1_PS1_Ev13rocblas_fill_18rocblas_operation_17rocblas_diagonal_iiT3_T4_lilT5_lili
		.amdhsa_group_segment_fixed_size 4096
		.amdhsa_private_segment_fixed_size 272
		.amdhsa_kernarg_size 368
		.amdhsa_user_sgpr_count 6
		.amdhsa_user_sgpr_private_segment_buffer 1
		.amdhsa_user_sgpr_dispatch_ptr 0
		.amdhsa_user_sgpr_queue_ptr 0
		.amdhsa_user_sgpr_kernarg_segment_ptr 1
		.amdhsa_user_sgpr_dispatch_id 0
		.amdhsa_user_sgpr_flat_scratch_init 0
		.amdhsa_user_sgpr_private_segment_size 0
		.amdhsa_uses_dynamic_stack 0
		.amdhsa_system_sgpr_private_segment_wavefront_offset 1
		.amdhsa_system_sgpr_workgroup_id_x 1
		.amdhsa_system_sgpr_workgroup_id_y 0
		.amdhsa_system_sgpr_workgroup_id_z 1
		.amdhsa_system_sgpr_workgroup_info 0
		.amdhsa_system_vgpr_workitem_id 0
		.amdhsa_next_free_vgpr 49
		.amdhsa_next_free_sgpr 98
		.amdhsa_reserve_vcc 1
		.amdhsa_reserve_flat_scratch 0
		.amdhsa_float_round_mode_32 0
		.amdhsa_float_round_mode_16_64 0
		.amdhsa_float_denorm_mode_32 3
		.amdhsa_float_denorm_mode_16_64 3
		.amdhsa_dx10_clamp 1
		.amdhsa_ieee_mode 1
		.amdhsa_fp16_overflow 0
		.amdhsa_exception_fp_ieee_invalid_op 0
		.amdhsa_exception_fp_denorm_src 0
		.amdhsa_exception_fp_ieee_div_zero 0
		.amdhsa_exception_fp_ieee_overflow 0
		.amdhsa_exception_fp_ieee_underflow 0
		.amdhsa_exception_fp_ieee_inexact 0
		.amdhsa_exception_int_div_zero 0
	.end_amdhsa_kernel
	.section	.text._ZL30rocblas_trsm_small_left_deviceILi16ELi16ELb0E19rocblas_complex_numIdES1_PKS1_PS1_Ev13rocblas_fill_18rocblas_operation_17rocblas_diagonal_iiT3_T4_lilT5_lili,"axG",@progbits,_ZL30rocblas_trsm_small_left_deviceILi16ELi16ELb0E19rocblas_complex_numIdES1_PKS1_PS1_Ev13rocblas_fill_18rocblas_operation_17rocblas_diagonal_iiT3_T4_lilT5_lili,comdat
.Lfunc_end215:
	.size	_ZL30rocblas_trsm_small_left_deviceILi16ELi16ELb0E19rocblas_complex_numIdES1_PKS1_PS1_Ev13rocblas_fill_18rocblas_operation_17rocblas_diagonal_iiT3_T4_lilT5_lili, .Lfunc_end215-_ZL30rocblas_trsm_small_left_deviceILi16ELi16ELb0E19rocblas_complex_numIdES1_PKS1_PS1_Ev13rocblas_fill_18rocblas_operation_17rocblas_diagonal_iiT3_T4_lilT5_lili
                                        ; -- End function
	.set _ZL30rocblas_trsm_small_left_deviceILi16ELi16ELb0E19rocblas_complex_numIdES1_PKS1_PS1_Ev13rocblas_fill_18rocblas_operation_17rocblas_diagonal_iiT3_T4_lilT5_lili.num_vgpr, 23
	.set _ZL30rocblas_trsm_small_left_deviceILi16ELi16ELb0E19rocblas_complex_numIdES1_PKS1_PS1_Ev13rocblas_fill_18rocblas_operation_17rocblas_diagonal_iiT3_T4_lilT5_lili.num_agpr, 0
	.set _ZL30rocblas_trsm_small_left_deviceILi16ELi16ELb0E19rocblas_complex_numIdES1_PKS1_PS1_Ev13rocblas_fill_18rocblas_operation_17rocblas_diagonal_iiT3_T4_lilT5_lili.numbered_sgpr, 35
	.set _ZL30rocblas_trsm_small_left_deviceILi16ELi16ELb0E19rocblas_complex_numIdES1_PKS1_PS1_Ev13rocblas_fill_18rocblas_operation_17rocblas_diagonal_iiT3_T4_lilT5_lili.num_named_barrier, 0
	.set _ZL30rocblas_trsm_small_left_deviceILi16ELi16ELb0E19rocblas_complex_numIdES1_PKS1_PS1_Ev13rocblas_fill_18rocblas_operation_17rocblas_diagonal_iiT3_T4_lilT5_lili.private_seg_size, 272
	.set _ZL30rocblas_trsm_small_left_deviceILi16ELi16ELb0E19rocblas_complex_numIdES1_PKS1_PS1_Ev13rocblas_fill_18rocblas_operation_17rocblas_diagonal_iiT3_T4_lilT5_lili.uses_vcc, 1
	.set _ZL30rocblas_trsm_small_left_deviceILi16ELi16ELb0E19rocblas_complex_numIdES1_PKS1_PS1_Ev13rocblas_fill_18rocblas_operation_17rocblas_diagonal_iiT3_T4_lilT5_lili.uses_flat_scratch, 0
	.set _ZL30rocblas_trsm_small_left_deviceILi16ELi16ELb0E19rocblas_complex_numIdES1_PKS1_PS1_Ev13rocblas_fill_18rocblas_operation_17rocblas_diagonal_iiT3_T4_lilT5_lili.has_dyn_sized_stack, 0
	.set _ZL30rocblas_trsm_small_left_deviceILi16ELi16ELb0E19rocblas_complex_numIdES1_PKS1_PS1_Ev13rocblas_fill_18rocblas_operation_17rocblas_diagonal_iiT3_T4_lilT5_lili.has_recursion, 0
	.set _ZL30rocblas_trsm_small_left_deviceILi16ELi16ELb0E19rocblas_complex_numIdES1_PKS1_PS1_Ev13rocblas_fill_18rocblas_operation_17rocblas_diagonal_iiT3_T4_lilT5_lili.has_indirect_call, 0
	.section	.AMDGPU.csdata,"",@progbits
; Kernel info:
; codeLenInByte = 2940
; TotalNumSgprs: 39
; NumVgprs: 23
; ScratchSize: 272
; MemoryBound: 0
; FloatMode: 240
; IeeeMode: 1
; LDSByteSize: 4096 bytes/workgroup (compile time only)
; SGPRBlocks: 12
; VGPRBlocks: 12
; NumSGPRsForWavesPerEU: 102
; NumVGPRsForWavesPerEU: 49
; Occupancy: 4
; WaveLimiterHint : 0
; COMPUTE_PGM_RSRC2:SCRATCH_EN: 1
; COMPUTE_PGM_RSRC2:USER_SGPR: 6
; COMPUTE_PGM_RSRC2:TRAP_HANDLER: 0
; COMPUTE_PGM_RSRC2:TGID_X_EN: 1
; COMPUTE_PGM_RSRC2:TGID_Y_EN: 0
; COMPUTE_PGM_RSRC2:TGID_Z_EN: 1
; COMPUTE_PGM_RSRC2:TIDIG_COMP_CNT: 0
	.section	.text._ZL38rocblas_trsm_small_left_device_sharedBILi16ELi16ELb1E19rocblas_complex_numIdES1_PKS1_PS1_Ev13rocblas_fill_18rocblas_operation_17rocblas_diagonal_iiT3_T4_lilT5_lili,"axG",@progbits,_ZL38rocblas_trsm_small_left_device_sharedBILi16ELi16ELb1E19rocblas_complex_numIdES1_PKS1_PS1_Ev13rocblas_fill_18rocblas_operation_17rocblas_diagonal_iiT3_T4_lilT5_lili,comdat
	.globl	_ZL38rocblas_trsm_small_left_device_sharedBILi16ELi16ELb1E19rocblas_complex_numIdES1_PKS1_PS1_Ev13rocblas_fill_18rocblas_operation_17rocblas_diagonal_iiT3_T4_lilT5_lili ; -- Begin function _ZL38rocblas_trsm_small_left_device_sharedBILi16ELi16ELb1E19rocblas_complex_numIdES1_PKS1_PS1_Ev13rocblas_fill_18rocblas_operation_17rocblas_diagonal_iiT3_T4_lilT5_lili
	.p2align	8
	.type	_ZL38rocblas_trsm_small_left_device_sharedBILi16ELi16ELb1E19rocblas_complex_numIdES1_PKS1_PS1_Ev13rocblas_fill_18rocblas_operation_17rocblas_diagonal_iiT3_T4_lilT5_lili,@function
_ZL38rocblas_trsm_small_left_device_sharedBILi16ELi16ELb1E19rocblas_complex_numIdES1_PKS1_PS1_Ev13rocblas_fill_18rocblas_operation_17rocblas_diagonal_iiT3_T4_lilT5_lili: ; @_ZL38rocblas_trsm_small_left_device_sharedBILi16ELi16ELb1E19rocblas_complex_numIdES1_PKS1_PS1_Ev13rocblas_fill_18rocblas_operation_17rocblas_diagonal_iiT3_T4_lilT5_lili
; %bb.0:
	s_add_u32 s0, s0, s8
	s_load_dwordx4 s[20:23], s[4:5], 0x4
	s_load_dwordx8 s[12:19], s[4:5], 0x18
	s_load_dwordx4 s[8:11], s[4:5], 0x40
	s_load_dwordx2 s[24:25], s[4:5], 0x50
	s_load_dword s29, s[4:5], 0x70
	s_addc_u32 s1, s1, 0
	s_waitcnt lgkmcnt(0)
	s_min_i32 s28, s22, 16
	v_cmp_gt_i32_e32 vcc, s28, v0
	s_and_saveexec_b64 s[26:27], vcc
	s_cbranch_execz .LBB216_11
; %bb.1:
	s_load_dword s30, s[4:5], 0x38
	s_mul_i32 s9, s9, s7
	s_mul_hi_u32 s33, s8, s7
	s_mul_i32 s8, s8, s7
	v_lshlrev_b32_e32 v3, 4, v0
	s_waitcnt lgkmcnt(0)
	s_ashr_i32 s31, s30, 31
	s_cmpk_eq_i32 s20, 0x71
	s_cselect_b64 vcc, -1, 0
	s_add_i32 s9, s33, s9
	s_lshl_b64 s[8:9], s[8:9], 4
	s_lshl_b64 s[18:19], s[18:19], 4
	s_add_u32 s8, s8, s18
	s_addc_u32 s9, s9, s19
	s_add_u32 s8, s16, s8
	s_addc_u32 s9, s17, s9
	v_mov_b32_e32 v1, s9
	v_add_co_u32_e64 v2, s[8:9], s8, v3
	v_addc_co_u32_e64 v4, s[8:9], 0, v1, s[8:9]
	v_add_co_u32_e64 v1, s[8:9], 8, v2
	s_lshl_b64 s[16:17], s[30:31], 4
	v_addc_co_u32_e64 v2, s[8:9], 0, v4, s[8:9]
	v_mov_b32_e32 v4, s17
	v_mov_b32_e32 v5, v3
	s_mov_b32 s17, s28
.LBB216_2:                              ; =>This Inner Loop Header: Depth=1
	global_load_dwordx4 v[6:9], v[1:2], off offset:-8
	s_add_i32 s17, s17, -1
	v_add_co_u32_e64 v1, s[8:9], s16, v1
	v_addc_co_u32_e64 v2, s[8:9], v2, v4, s[8:9]
	s_cmp_eq_u32 s17, 0
	s_waitcnt vmcnt(0)
	v_xor_b32_e32 v10, 0x80000000, v9
	v_cndmask_b32_e32 v9, v9, v10, vcc
	ds_write_b128 v5, v[6:9]
	v_add_u32_e32 v5, 0x100, v5
	s_cbranch_scc0 .LBB216_2
; %bb.3:
	v_lshlrev_b32_e32 v1, 8, v0
	s_cmpk_lg_i32 s21, 0x84
	v_add_u32_e32 v9, v3, v1
	s_cbranch_scc0 .LBB216_9
; %bb.4:
	ds_read_b128 v[1:4], v9
                                        ; implicit-def: $vgpr7_vgpr8
	s_waitcnt lgkmcnt(0)
	v_cmp_ngt_f64_e64 s[8:9], |v[1:2]|, |v[3:4]|
	s_and_saveexec_b64 s[16:17], s[8:9]
	s_xor_b64 s[8:9], exec, s[16:17]
	s_cbranch_execz .LBB216_6
; %bb.5:
	v_div_scale_f64 v[5:6], s[16:17], v[3:4], v[3:4], v[1:2]
	v_rcp_f64_e32 v[7:8], v[5:6]
	v_fma_f64 v[10:11], -v[5:6], v[7:8], 1.0
	v_fma_f64 v[7:8], v[7:8], v[10:11], v[7:8]
	v_div_scale_f64 v[10:11], vcc, v[1:2], v[3:4], v[1:2]
	v_fma_f64 v[12:13], -v[5:6], v[7:8], 1.0
	v_fma_f64 v[7:8], v[7:8], v[12:13], v[7:8]
	v_mul_f64 v[12:13], v[10:11], v[7:8]
	v_fma_f64 v[5:6], -v[5:6], v[12:13], v[10:11]
	v_div_fmas_f64 v[5:6], v[5:6], v[7:8], v[12:13]
	v_div_fixup_f64 v[5:6], v[5:6], v[3:4], v[1:2]
	v_fma_f64 v[1:2], v[1:2], v[5:6], v[3:4]
	v_div_scale_f64 v[3:4], s[16:17], v[1:2], v[1:2], 1.0
	v_rcp_f64_e32 v[7:8], v[3:4]
	v_fma_f64 v[10:11], -v[3:4], v[7:8], 1.0
	v_fma_f64 v[7:8], v[7:8], v[10:11], v[7:8]
	v_div_scale_f64 v[10:11], vcc, 1.0, v[1:2], 1.0
	v_fma_f64 v[12:13], -v[3:4], v[7:8], 1.0
	v_fma_f64 v[7:8], v[7:8], v[12:13], v[7:8]
	v_mul_f64 v[12:13], v[10:11], v[7:8]
	v_fma_f64 v[3:4], -v[3:4], v[12:13], v[10:11]
	v_div_fmas_f64 v[3:4], v[3:4], v[7:8], v[12:13]
	v_add_f64 v[7:8], v[5:6], 0
	v_div_fixup_f64 v[1:2], v[3:4], v[1:2], 1.0
	v_fma_f64 v[3:4], v[5:6], 0, -1.0
	v_mul_f64 v[5:6], v[7:8], v[1:2]
	v_mul_f64 v[7:8], v[3:4], v[1:2]
                                        ; implicit-def: $vgpr1_vgpr2
.LBB216_6:
	s_andn2_saveexec_b64 s[8:9], s[8:9]
	s_cbranch_execz .LBB216_8
; %bb.7:
	v_div_scale_f64 v[5:6], s[16:17], v[1:2], v[1:2], v[3:4]
	v_rcp_f64_e32 v[7:8], v[5:6]
	v_fma_f64 v[10:11], -v[5:6], v[7:8], 1.0
	v_fma_f64 v[7:8], v[7:8], v[10:11], v[7:8]
	v_div_scale_f64 v[10:11], vcc, v[3:4], v[1:2], v[3:4]
	v_fma_f64 v[12:13], -v[5:6], v[7:8], 1.0
	v_fma_f64 v[7:8], v[7:8], v[12:13], v[7:8]
	v_mul_f64 v[12:13], v[10:11], v[7:8]
	v_fma_f64 v[5:6], -v[5:6], v[12:13], v[10:11]
	v_div_fmas_f64 v[5:6], v[5:6], v[7:8], v[12:13]
	v_div_fixup_f64 v[5:6], v[5:6], v[1:2], v[3:4]
	v_fma_f64 v[1:2], v[3:4], v[5:6], v[1:2]
	v_div_scale_f64 v[3:4], s[16:17], v[1:2], v[1:2], 1.0
	v_rcp_f64_e32 v[7:8], v[3:4]
	v_fma_f64 v[10:11], -v[3:4], v[7:8], 1.0
	v_fma_f64 v[7:8], v[7:8], v[10:11], v[7:8]
	v_div_scale_f64 v[10:11], vcc, 1.0, v[1:2], 1.0
	v_fma_f64 v[12:13], -v[3:4], v[7:8], 1.0
	v_fma_f64 v[7:8], v[7:8], v[12:13], v[7:8]
	v_mul_f64 v[12:13], v[10:11], v[7:8]
	v_fma_f64 v[3:4], -v[3:4], v[12:13], v[10:11]
	v_div_fmas_f64 v[3:4], v[3:4], v[7:8], v[12:13]
	v_fma_f64 v[7:8], v[5:6], 0, 1.0
	v_div_fixup_f64 v[1:2], v[3:4], v[1:2], 1.0
	v_add_f64 v[3:4], -v[5:6], 0
	v_mul_f64 v[5:6], v[7:8], v[1:2]
	v_mul_f64 v[7:8], v[3:4], v[1:2]
.LBB216_8:
	s_or_b64 exec, exec, s[8:9]
	s_branch .LBB216_10
.LBB216_9:
	v_mov_b32_e32 v7, 0
	v_mov_b32_e32 v5, 0
	;; [unrolled: 1-line block ×4, first 2 shown]
.LBB216_10:
	ds_write_b128 v9, v[5:8]
.LBB216_11:
	s_or_b64 exec, exec, s[26:27]
	s_load_dword s21, s[4:5], 0x58
	s_load_dwordx2 s[8:9], s[4:5], 0x60
	s_add_i32 s29, s29, -1
	s_waitcnt lgkmcnt(0)
	s_ashr_i32 s26, s21, 31
	s_mul_i32 s4, s9, s7
	s_mul_hi_u32 s5, s8, s7
	s_mul_i32 s16, s8, s7
	s_lshl_b32 s8, s6, 4
	s_add_i32 s17, s5, s4
	s_sub_i32 s4, s23, s8
	s_cmp_ge_u32 s6, s29
	s_cselect_b32 s4, s4, 16
	s_ashr_i32 s9, s8, 31
	s_cmp_gt_i32 s22, 0
	v_cmp_gt_i32_e64 s[4:5], s4, v0
	s_cselect_b64 s[6:7], -1, 0
	s_and_b64 s[22:23], s[4:5], s[6:7]
	s_and_saveexec_b64 s[18:19], s[22:23]
	s_cbranch_execz .LBB216_14
; %bb.12:
	v_lshlrev_b32_e32 v3, 4, v0
	s_lshl_b64 s[30:31], s[8:9], 4
	s_lshl_b64 s[22:23], s[16:17], 4
	v_mov_b32_e32 v1, s31
	v_add_co_u32_e32 v4, vcc, s30, v3
	s_lshl_b64 s[30:31], s[24:25], 4
	s_add_u32 s9, s10, s30
	s_addc_u32 s27, s11, s31
	s_add_u32 s22, s9, s22
	v_addc_co_u32_e32 v5, vcc, 0, v1, vcc
	s_addc_u32 s23, s27, s23
	v_mov_b32_e32 v1, s22
	v_mov_b32_e32 v2, s23
	v_mad_u64_u32 v[1:2], s[22:23], v4, s21, v[1:2]
	v_mul_lo_u32 v4, v4, s26
	v_mul_lo_u32 v5, v5, s21
	v_add_co_u32_e32 v1, vcc, 8, v1
	v_or_b32_e32 v3, 0x1000, v3
	v_add3_u32 v2, v5, v2, v4
	v_addc_co_u32_e32 v2, vcc, 0, v2, vcc
	s_mov_b32 s9, s28
.LBB216_13:                             ; =>This Inner Loop Header: Depth=1
	global_load_dwordx4 v[4:7], v[1:2], off offset:-8
	s_add_i32 s9, s9, -1
	v_add_co_u32_e32 v1, vcc, 16, v1
	v_addc_co_u32_e32 v2, vcc, 0, v2, vcc
	s_cmp_lg_u32 s9, 0
	s_waitcnt vmcnt(0)
	v_mul_f64 v[8:9], s[14:15], v[6:7]
	v_mul_f64 v[10:11], s[12:13], v[6:7]
	v_fma_f64 v[6:7], s[12:13], v[4:5], -v[8:9]
	v_fma_f64 v[8:9], s[14:15], v[4:5], v[10:11]
	ds_write_b128 v3, v[6:9]
	v_add_u32_e32 v3, 0x100, v3
	s_cbranch_scc1 .LBB216_13
.LBB216_14:
	s_or_b64 exec, exec, s[18:19]
	v_mov_b32_e32 v1, 0x1000
	s_cmpk_eq_i32 s20, 0x6f
	v_lshl_or_b32 v5, v0, 4, v1
	s_mov_b64 s[12:13], -1
	s_waitcnt lgkmcnt(0)
	; wave barrier
	s_cbranch_scc1 .LBB216_35
; %bb.15:
	s_add_i32 s9, s28, -1
	s_lshl_b32 s18, s28, 4
	s_mov_b32 s13, 0
	s_add_i32 s18, s18, -16
	s_mov_b32 s12, s13
	s_mov_b32 s19, s9
	s_branch .LBB216_17
.LBB216_16:                             ;   in Loop: Header=BB216_17 Depth=1
	s_cmp_lt_i32 s19, 0
	s_cselect_b64 s[14:15], -1, 0
	s_add_i32 s12, s12, 1
	s_cmp_eq_u32 s12, 3
	s_cselect_b64 s[22:23], -1, 0
	s_or_b64 s[14:15], s[14:15], s[22:23]
	s_andn2_b64 vcc, exec, s[14:15]
	s_cbranch_vccz .LBB216_34
.LBB216_17:                             ; =>This Loop Header: Depth=1
                                        ;     Child Loop BB216_20 Depth 2
                                        ;       Child Loop BB216_21 Depth 3
                                        ;       Child Loop BB216_23 Depth 3
                                        ;         Child Loop BB216_24 Depth 4
                                        ;       Child Loop BB216_28 Depth 3
                                        ;         Child Loop BB216_30 Depth 4
	s_lshl_b64 s[14:15], s[12:13], 2
	s_getpc_b64 s[22:23]
	s_add_u32 s22, s22, __const._ZL38rocblas_trsm_small_left_device_sharedBILi16ELi16ELb1E19rocblas_complex_numIdES1_PKS1_PS1_Ev13rocblas_fill_18rocblas_operation_17rocblas_diagonal_iiT3_T4_lilT5_lili.step_sizes@rel32@lo+4
	s_addc_u32 s23, s23, __const._ZL38rocblas_trsm_small_left_device_sharedBILi16ELi16ELb1E19rocblas_complex_numIdES1_PKS1_PS1_Ev13rocblas_fill_18rocblas_operation_17rocblas_diagonal_iiT3_T4_lilT5_lili.step_sizes@rel32@hi+12
	s_add_u32 s14, s22, s14
	s_addc_u32 s15, s23, s15
	s_load_dword s20, s[14:15], 0x0
	s_waitcnt lgkmcnt(0)
	s_add_i32 s22, s20, -1
	s_cmp_lt_i32 s19, s22
	s_cbranch_scc1 .LBB216_16
; %bb.18:                               ;   in Loop: Header=BB216_17 Depth=1
	s_lshl_b32 s14, s19, 8
	s_lshl_b32 s15, s20, 8
	s_max_i32 s23, s20, 1
	v_add_u32_e32 v6, s14, v5
	s_sub_i32 s26, 0, s15
	s_add_i32 s27, s18, s14
	s_mul_i32 s29, s19, 0x110
	s_mul_i32 s30, s20, 0xfffffef0
	s_branch .LBB216_20
.LBB216_19:                             ;   in Loop: Header=BB216_20 Depth=2
	s_sub_i32 s19, s19, s20
	s_add_i32 s27, s27, s26
	s_add_i32 s29, s29, s30
	s_cmp_lt_i32 s19, s22
	v_add_u32_e32 v6, s26, v6
	s_cbranch_scc1 .LBB216_16
.LBB216_20:                             ;   Parent Loop BB216_17 Depth=1
                                        ; =>  This Loop Header: Depth=2
                                        ;       Child Loop BB216_21 Depth 3
                                        ;       Child Loop BB216_23 Depth 3
                                        ;         Child Loop BB216_24 Depth 4
                                        ;       Child Loop BB216_28 Depth 3
                                        ;         Child Loop BB216_30 Depth 4
	s_mov_b32 s14, 0
	v_mov_b32_e32 v1, v6
	s_mov_b32 s15, s23
.LBB216_21:                             ;   Parent Loop BB216_17 Depth=1
                                        ;     Parent Loop BB216_20 Depth=2
                                        ; =>    This Inner Loop Header: Depth=3
	ds_read_b128 v[7:10], v1
	v_mov_b32_e32 v2, s14
	s_add_i32 s15, s15, -1
	s_add_i32 s14, s14, 16
	v_add_u32_e32 v1, 0xffffff00, v1
	s_cmp_eq_u32 s15, 0
	s_waitcnt lgkmcnt(0)
	buffer_store_dword v10, v2, s[0:3], 0 offen offset:12
	buffer_store_dword v9, v2, s[0:3], 0 offen offset:8
	;; [unrolled: 1-line block ×3, first 2 shown]
	buffer_store_dword v7, v2, s[0:3], 0 offen
	s_cbranch_scc0 .LBB216_21
; %bb.22:                               ;   in Loop: Header=BB216_20 Depth=2
	s_cmp_le_i32 s9, s19
	s_mov_b32 s14, s27
	s_mov_b32 s15, s9
	s_cbranch_scc1 .LBB216_26
.LBB216_23:                             ;   Parent Loop BB216_17 Depth=1
                                        ;     Parent Loop BB216_20 Depth=2
                                        ; =>    This Loop Header: Depth=3
                                        ;         Child Loop BB216_24 Depth 4
	v_lshl_add_u32 v1, s15, 8, v5
	ds_read_b128 v[1:4], v1
	s_mov_b32 s31, 0
	s_mov_b32 s33, s14
	;; [unrolled: 1-line block ×3, first 2 shown]
.LBB216_24:                             ;   Parent Loop BB216_17 Depth=1
                                        ;     Parent Loop BB216_20 Depth=2
                                        ;       Parent Loop BB216_23 Depth=3
                                        ; =>      This Inner Loop Header: Depth=4
	v_mov_b32_e32 v17, s31
	buffer_load_dword v11, v17, s[0:3], 0 offen
	buffer_load_dword v12, v17, s[0:3], 0 offen offset:4
	buffer_load_dword v13, v17, s[0:3], 0 offen offset:8
	;; [unrolled: 1-line block ×3, first 2 shown]
	v_mov_b32_e32 v7, s33
	ds_read_b128 v[7:10], v7
	s_add_i32 s34, s34, -1
	s_addk_i32 s33, 0xff00
	s_add_i32 s31, s31, 16
	s_cmp_eq_u32 s34, 0
	s_waitcnt lgkmcnt(0)
	v_mul_f64 v[15:16], v[3:4], v[9:10]
	v_mul_f64 v[9:10], v[1:2], v[9:10]
	v_fma_f64 v[15:16], v[1:2], v[7:8], -v[15:16]
	v_fma_f64 v[7:8], v[3:4], v[7:8], v[9:10]
	s_waitcnt vmcnt(2)
	v_add_f64 v[9:10], v[11:12], -v[15:16]
	s_waitcnt vmcnt(0)
	v_add_f64 v[7:8], v[13:14], -v[7:8]
	buffer_store_dword v9, v17, s[0:3], 0 offen
	buffer_store_dword v10, v17, s[0:3], 0 offen offset:4
	buffer_store_dword v7, v17, s[0:3], 0 offen offset:8
	buffer_store_dword v8, v17, s[0:3], 0 offen offset:12
	s_cbranch_scc0 .LBB216_24
; %bb.25:                               ;   in Loop: Header=BB216_23 Depth=3
	s_add_i32 s15, s15, -1
	s_add_i32 s14, s14, -16
	s_cmp_le_i32 s15, s19
	s_cbranch_scc0 .LBB216_23
.LBB216_26:                             ;   in Loop: Header=BB216_20 Depth=2
	s_lshl_b32 s31, s19, 8
	s_mov_b32 s33, 0
	s_mov_b32 s34, s29
	s_branch .LBB216_28
.LBB216_27:                             ;   in Loop: Header=BB216_28 Depth=3
	s_mul_i32 s14, s36, 0x110
	v_mov_b32_e32 v7, s14
	ds_read_b128 v[7:10], v7
	s_lshl_b32 s14, s33, 4
	s_add_i32 s33, s33, 1
	s_addk_i32 s34, 0xff00
	s_cmp_eq_u32 s33, s23
	s_waitcnt vmcnt(0) lgkmcnt(0)
	v_mul_f64 v[11:12], v[9:10], v[3:4]
	v_mul_f64 v[3:4], v[7:8], v[3:4]
	v_fma_f64 v[7:8], v[7:8], v[1:2], -v[11:12]
	v_fma_f64 v[9:10], v[9:10], v[1:2], v[3:4]
	v_add_u32_e32 v1, s35, v5
	v_mov_b32_e32 v2, s14
	buffer_store_dword v8, v2, s[0:3], 0 offen offset:4
	buffer_store_dword v7, v2, s[0:3], 0 offen
	buffer_store_dword v10, v2, s[0:3], 0 offen offset:12
	buffer_store_dword v9, v2, s[0:3], 0 offen offset:8
	ds_write_b128 v1, v[7:10]
	s_cbranch_scc1 .LBB216_19
.LBB216_28:                             ;   Parent Loop BB216_17 Depth=1
                                        ;     Parent Loop BB216_20 Depth=2
                                        ; =>    This Loop Header: Depth=3
                                        ;         Child Loop BB216_30 Depth 4
	s_cmp_lg_u32 s33, 0
	s_cbranch_scc0 .LBB216_32
; %bb.29:                               ;   in Loop: Header=BB216_28 Depth=3
	s_lshl_b32 s14, s33, 4
	v_mov_b32_e32 v7, s14
	buffer_load_dword v1, v7, s[0:3], 0 offen
	buffer_load_dword v2, v7, s[0:3], 0 offen offset:4
	buffer_load_dword v3, v7, s[0:3], 0 offen offset:8
	;; [unrolled: 1-line block ×3, first 2 shown]
	s_sub_i32 s36, s19, s33
	s_lshl_b32 s35, s36, 8
	s_mov_b32 s14, 0
	s_mov_b32 s15, s34
	;; [unrolled: 1-line block ×3, first 2 shown]
.LBB216_30:                             ;   Parent Loop BB216_17 Depth=1
                                        ;     Parent Loop BB216_20 Depth=2
                                        ;       Parent Loop BB216_28 Depth=3
                                        ; =>      This Inner Loop Header: Depth=4
	v_mov_b32_e32 v8, s14
	buffer_load_dword v12, v8, s[0:3], 0 offen offset:8
	buffer_load_dword v13, v8, s[0:3], 0 offen offset:12
	buffer_load_dword v14, v8, s[0:3], 0 offen
	buffer_load_dword v15, v8, s[0:3], 0 offen offset:4
	v_mov_b32_e32 v8, s15
	ds_read_b128 v[8:11], v8
	s_add_i32 s37, s37, -1
	s_add_i32 s15, s15, -16
	s_add_i32 s14, s14, 16
	s_cmp_eq_u32 s37, 0
	s_waitcnt vmcnt(2) lgkmcnt(0)
	v_mul_f64 v[16:17], v[10:11], v[12:13]
	v_mul_f64 v[12:13], v[8:9], v[12:13]
	s_waitcnt vmcnt(0)
	v_fma_f64 v[8:9], v[8:9], v[14:15], -v[16:17]
	v_fma_f64 v[10:11], v[10:11], v[14:15], v[12:13]
	v_add_f64 v[1:2], v[1:2], -v[8:9]
	v_add_f64 v[3:4], v[3:4], -v[10:11]
	buffer_store_dword v1, v7, s[0:3], 0 offen
	buffer_store_dword v2, v7, s[0:3], 0 offen offset:4
	buffer_store_dword v3, v7, s[0:3], 0 offen offset:8
	;; [unrolled: 1-line block ×3, first 2 shown]
	s_cbranch_scc0 .LBB216_30
; %bb.31:                               ;   in Loop: Header=BB216_28 Depth=3
	s_branch .LBB216_27
.LBB216_32:                             ;   in Loop: Header=BB216_28 Depth=3
                                        ; implicit-def: $vgpr1_vgpr2
                                        ; implicit-def: $vgpr3_vgpr4
                                        ; implicit-def: $sgpr36
                                        ; implicit-def: $sgpr35
	s_cbranch_execz .LBB216_27
; %bb.33:                               ;   in Loop: Header=BB216_28 Depth=3
	buffer_load_dword v1, off, s[0:3], 0
	buffer_load_dword v2, off, s[0:3], 0 offset:4
	buffer_load_dword v3, off, s[0:3], 0 offset:8
	;; [unrolled: 1-line block ×3, first 2 shown]
	s_mov_b32 s35, s31
	s_mov_b32 s36, s19
	s_branch .LBB216_27
.LBB216_34:
	s_mov_b64 s[12:13], 0
.LBB216_35:
	s_and_b64 vcc, exec, s[12:13]
	s_cbranch_vccz .LBB216_56
; %bb.36:
	v_mov_b32_e32 v1, 0x1000
	s_mov_b32 s13, 0
	v_lshl_or_b32 v6, v0, 4, v1
	s_mov_b32 s12, s13
	s_mov_b32 s9, s13
	s_branch .LBB216_38
.LBB216_37:                             ;   in Loop: Header=BB216_38 Depth=1
	s_cmp_ge_i32 s9, s28
	s_cselect_b64 s[14:15], -1, 0
	s_add_i32 s12, s12, 1
	s_cmp_eq_u32 s12, 3
	s_cselect_b64 s[18:19], -1, 0
	s_or_b64 s[14:15], s[14:15], s[18:19]
	s_and_b64 vcc, exec, s[14:15]
	s_cbranch_vccnz .LBB216_56
.LBB216_38:                             ; =>This Loop Header: Depth=1
                                        ;     Child Loop BB216_41 Depth 2
                                        ;       Child Loop BB216_42 Depth 3
                                        ;       Child Loop BB216_45 Depth 3
                                        ;         Child Loop BB216_46 Depth 4
                                        ;       Child Loop BB216_50 Depth 3
                                        ;         Child Loop BB216_52 Depth 4
	s_lshl_b64 s[14:15], s[12:13], 2
	s_getpc_b64 s[18:19]
	s_add_u32 s18, s18, __const._ZL38rocblas_trsm_small_left_device_sharedBILi16ELi16ELb1E19rocblas_complex_numIdES1_PKS1_PS1_Ev13rocblas_fill_18rocblas_operation_17rocblas_diagonal_iiT3_T4_lilT5_lili.step_sizes@rel32@lo+4
	s_addc_u32 s19, s19, __const._ZL38rocblas_trsm_small_left_device_sharedBILi16ELi16ELb1E19rocblas_complex_numIdES1_PKS1_PS1_Ev13rocblas_fill_18rocblas_operation_17rocblas_diagonal_iiT3_T4_lilT5_lili.step_sizes@rel32@hi+12
	s_add_u32 s14, s18, s14
	s_addc_u32 s15, s19, s15
	s_load_dword s18, s[14:15], 0x0
	s_waitcnt lgkmcnt(0)
	s_add_i32 s19, s18, -1
	s_add_i32 s14, s19, s9
	s_cmp_ge_i32 s14, s28
	s_cbranch_scc1 .LBB216_37
; %bb.39:                               ;   in Loop: Header=BB216_38 Depth=1
	s_max_i32 s20, s18, 1
	v_lshl_add_u32 v7, s9, 8, v6
	s_lshl_b32 s22, s18, 8
	s_lshl_b32 s23, s9, 4
	;; [unrolled: 1-line block ×3, first 2 shown]
	s_mul_i32 s27, s9, 0x110
	s_mul_i32 s29, s18, 0x110
	s_branch .LBB216_41
.LBB216_40:                             ;   in Loop: Header=BB216_41 Depth=2
	s_add_i32 s9, s9, s18
	s_add_i32 s14, s19, s9
	s_add_i32 s23, s23, s26
	s_add_i32 s27, s27, s29
	s_cmp_ge_i32 s14, s28
	v_add_u32_e32 v7, s22, v7
	s_cbranch_scc1 .LBB216_37
.LBB216_41:                             ;   Parent Loop BB216_38 Depth=1
                                        ; =>  This Loop Header: Depth=2
                                        ;       Child Loop BB216_42 Depth 3
                                        ;       Child Loop BB216_45 Depth 3
                                        ;         Child Loop BB216_46 Depth 4
                                        ;       Child Loop BB216_50 Depth 3
                                        ;         Child Loop BB216_52 Depth 4
	s_mov_b32 s14, 0
	v_mov_b32_e32 v1, v7
	s_mov_b32 s15, s20
.LBB216_42:                             ;   Parent Loop BB216_38 Depth=1
                                        ;     Parent Loop BB216_41 Depth=2
                                        ; =>    This Inner Loop Header: Depth=3
	ds_read_b128 v[8:11], v1
	v_mov_b32_e32 v2, s14
	s_add_i32 s15, s15, -1
	s_add_i32 s14, s14, 16
	v_add_u32_e32 v1, 0x100, v1
	s_cmp_eq_u32 s15, 0
	s_waitcnt lgkmcnt(0)
	buffer_store_dword v11, v2, s[0:3], 0 offen offset:12
	buffer_store_dword v10, v2, s[0:3], 0 offen offset:8
	;; [unrolled: 1-line block ×3, first 2 shown]
	buffer_store_dword v8, v2, s[0:3], 0 offen
	s_cbranch_scc0 .LBB216_42
; %bb.43:                               ;   in Loop: Header=BB216_41 Depth=2
	s_cmp_lt_i32 s9, 1
	s_cbranch_scc1 .LBB216_48
; %bb.44:                               ;   in Loop: Header=BB216_41 Depth=2
	s_mov_b32 s14, 0
	s_mov_b32 s15, s23
.LBB216_45:                             ;   Parent Loop BB216_38 Depth=1
                                        ;     Parent Loop BB216_41 Depth=2
                                        ; =>    This Loop Header: Depth=3
                                        ;         Child Loop BB216_46 Depth 4
	v_lshl_add_u32 v1, s14, 8, v5
	ds_read_b128 v[1:4], v1
	s_mov_b32 s30, 0
	s_mov_b32 s31, s15
	;; [unrolled: 1-line block ×3, first 2 shown]
.LBB216_46:                             ;   Parent Loop BB216_38 Depth=1
                                        ;     Parent Loop BB216_41 Depth=2
                                        ;       Parent Loop BB216_45 Depth=3
                                        ; =>      This Inner Loop Header: Depth=4
	v_mov_b32_e32 v18, s30
	buffer_load_dword v12, v18, s[0:3], 0 offen
	buffer_load_dword v13, v18, s[0:3], 0 offen offset:4
	buffer_load_dword v14, v18, s[0:3], 0 offen offset:8
	;; [unrolled: 1-line block ×3, first 2 shown]
	v_mov_b32_e32 v8, s31
	ds_read_b128 v[8:11], v8
	s_add_i32 s33, s33, -1
	s_add_i32 s31, s31, 16
	s_add_i32 s30, s30, 16
	s_cmp_eq_u32 s33, 0
	s_waitcnt lgkmcnt(0)
	v_mul_f64 v[16:17], v[3:4], v[10:11]
	v_mul_f64 v[10:11], v[1:2], v[10:11]
	v_fma_f64 v[16:17], v[1:2], v[8:9], -v[16:17]
	v_fma_f64 v[8:9], v[3:4], v[8:9], v[10:11]
	s_waitcnt vmcnt(2)
	v_add_f64 v[10:11], v[12:13], -v[16:17]
	s_waitcnt vmcnt(0)
	v_add_f64 v[8:9], v[14:15], -v[8:9]
	buffer_store_dword v10, v18, s[0:3], 0 offen
	buffer_store_dword v11, v18, s[0:3], 0 offen offset:4
	buffer_store_dword v8, v18, s[0:3], 0 offen offset:8
	;; [unrolled: 1-line block ×3, first 2 shown]
	s_cbranch_scc0 .LBB216_46
; %bb.47:                               ;   in Loop: Header=BB216_45 Depth=3
	s_add_i32 s14, s14, 1
	s_addk_i32 s15, 0x100
	s_cmp_eq_u32 s14, s9
	s_cbranch_scc0 .LBB216_45
.LBB216_48:                             ;   in Loop: Header=BB216_41 Depth=2
	s_mov_b32 s30, 0
	s_mov_b32 s31, s27
	s_branch .LBB216_50
.LBB216_49:                             ;   in Loop: Header=BB216_50 Depth=3
	s_add_i32 s14, s30, s9
	s_mul_i32 s15, s14, 0x110
	v_mov_b32_e32 v8, s15
	ds_read_b128 v[8:11], v8
	s_lshl_b32 s15, s30, 4
	s_add_i32 s30, s30, 1
	s_add_i32 s31, s31, 16
	s_cmp_eq_u32 s30, s20
	s_waitcnt vmcnt(0) lgkmcnt(0)
	v_mul_f64 v[12:13], v[10:11], v[3:4]
	v_mul_f64 v[3:4], v[8:9], v[3:4]
	v_fma_f64 v[8:9], v[8:9], v[1:2], -v[12:13]
	v_fma_f64 v[10:11], v[10:11], v[1:2], v[3:4]
	v_mov_b32_e32 v1, s15
	v_lshl_add_u32 v2, s14, 8, v5
	buffer_store_dword v9, v1, s[0:3], 0 offen offset:4
	buffer_store_dword v8, v1, s[0:3], 0 offen
	buffer_store_dword v11, v1, s[0:3], 0 offen offset:12
	buffer_store_dword v10, v1, s[0:3], 0 offen offset:8
	ds_write_b128 v2, v[8:11]
	s_cbranch_scc1 .LBB216_40
.LBB216_50:                             ;   Parent Loop BB216_38 Depth=1
                                        ;     Parent Loop BB216_41 Depth=2
                                        ; =>    This Loop Header: Depth=3
                                        ;         Child Loop BB216_52 Depth 4
	s_cmp_lg_u32 s30, 0
	s_cbranch_scc0 .LBB216_54
; %bb.51:                               ;   in Loop: Header=BB216_50 Depth=3
	s_lshl_b32 s14, s30, 4
	v_mov_b32_e32 v8, s14
	buffer_load_dword v1, v8, s[0:3], 0 offen
	buffer_load_dword v2, v8, s[0:3], 0 offen offset:4
	buffer_load_dword v3, v8, s[0:3], 0 offen offset:8
	;; [unrolled: 1-line block ×3, first 2 shown]
	s_mov_b32 s14, 0
	s_mov_b32 s15, s31
	;; [unrolled: 1-line block ×3, first 2 shown]
.LBB216_52:                             ;   Parent Loop BB216_38 Depth=1
                                        ;     Parent Loop BB216_41 Depth=2
                                        ;       Parent Loop BB216_50 Depth=3
                                        ; =>      This Inner Loop Header: Depth=4
	v_mov_b32_e32 v9, s14
	buffer_load_dword v13, v9, s[0:3], 0 offen offset:8
	buffer_load_dword v14, v9, s[0:3], 0 offen offset:12
	buffer_load_dword v15, v9, s[0:3], 0 offen
	buffer_load_dword v16, v9, s[0:3], 0 offen offset:4
	v_mov_b32_e32 v9, s15
	ds_read_b128 v[9:12], v9
	s_add_i32 s33, s33, -1
	s_addk_i32 s15, 0x100
	s_add_i32 s14, s14, 16
	s_cmp_eq_u32 s33, 0
	s_waitcnt vmcnt(2) lgkmcnt(0)
	v_mul_f64 v[17:18], v[11:12], v[13:14]
	v_mul_f64 v[13:14], v[9:10], v[13:14]
	s_waitcnt vmcnt(0)
	v_fma_f64 v[9:10], v[9:10], v[15:16], -v[17:18]
	v_fma_f64 v[11:12], v[11:12], v[15:16], v[13:14]
	v_add_f64 v[1:2], v[1:2], -v[9:10]
	v_add_f64 v[3:4], v[3:4], -v[11:12]
	buffer_store_dword v1, v8, s[0:3], 0 offen
	buffer_store_dword v2, v8, s[0:3], 0 offen offset:4
	buffer_store_dword v3, v8, s[0:3], 0 offen offset:8
	;; [unrolled: 1-line block ×3, first 2 shown]
	s_cbranch_scc0 .LBB216_52
; %bb.53:                               ;   in Loop: Header=BB216_50 Depth=3
	s_branch .LBB216_49
.LBB216_54:                             ;   in Loop: Header=BB216_50 Depth=3
                                        ; implicit-def: $vgpr1_vgpr2
                                        ; implicit-def: $vgpr3_vgpr4
	s_cbranch_execz .LBB216_49
; %bb.55:                               ;   in Loop: Header=BB216_50 Depth=3
	buffer_load_dword v1, off, s[0:3], 0
	buffer_load_dword v2, off, s[0:3], 0 offset:4
	buffer_load_dword v3, off, s[0:3], 0 offset:8
	;; [unrolled: 1-line block ×3, first 2 shown]
	s_branch .LBB216_49
.LBB216_56:
	s_waitcnt lgkmcnt(0)
	; wave barrier
	s_and_saveexec_b64 s[12:13], s[4:5]
	s_cbranch_execz .LBB216_60
; %bb.57:
	s_andn2_b64 vcc, exec, s[6:7]
	s_cbranch_vccnz .LBB216_60
; %bb.58:
	s_lshl_b64 s[4:5], s[16:17], 4
	s_add_u32 s6, s10, s4
	s_addc_u32 s7, s11, s5
	s_lshl_b64 s[4:5], s[24:25], 4
	s_add_u32 s9, s6, s4
	s_addc_u32 s10, s7, s5
	v_mad_i64_i32 v[1:2], s[6:7], s21, v0, 0
	s_mul_hi_i32 s5, s21, s8
	s_mul_i32 s4, s21, s8
	s_lshl_b64 s[4:5], s[4:5], 4
	s_add_u32 s4, s9, s4
	v_lshlrev_b64 v[1:2], 4, v[1:2]
	s_addc_u32 s5, s10, s5
	v_mov_b32_e32 v3, s5
	v_add_co_u32_e32 v1, vcc, s4, v1
	v_addc_co_u32_e32 v2, vcc, v3, v2, vcc
	v_mov_b32_e32 v3, 0x1000
	v_lshl_or_b32 v0, v0, 4, v3
.LBB216_59:                             ; =>This Inner Loop Header: Depth=1
	ds_read2_b64 v[3:6], v0 offset1:1
	s_add_i32 s28, s28, -1
	v_add_u32_e32 v0, 0x100, v0
	s_cmp_lg_u32 s28, 0
	s_waitcnt lgkmcnt(0)
	global_store_dwordx4 v[1:2], v[3:6], off
	v_add_co_u32_e32 v1, vcc, 16, v1
	v_addc_co_u32_e32 v2, vcc, 0, v2, vcc
	s_cbranch_scc1 .LBB216_59
.LBB216_60:
	s_endpgm
	.section	.rodata,"a",@progbits
	.p2align	6, 0x0
	.amdhsa_kernel _ZL38rocblas_trsm_small_left_device_sharedBILi16ELi16ELb1E19rocblas_complex_numIdES1_PKS1_PS1_Ev13rocblas_fill_18rocblas_operation_17rocblas_diagonal_iiT3_T4_lilT5_lili
		.amdhsa_group_segment_fixed_size 8192
		.amdhsa_private_segment_fixed_size 272
		.amdhsa_kernarg_size 368
		.amdhsa_user_sgpr_count 6
		.amdhsa_user_sgpr_private_segment_buffer 1
		.amdhsa_user_sgpr_dispatch_ptr 0
		.amdhsa_user_sgpr_queue_ptr 0
		.amdhsa_user_sgpr_kernarg_segment_ptr 1
		.amdhsa_user_sgpr_dispatch_id 0
		.amdhsa_user_sgpr_flat_scratch_init 0
		.amdhsa_user_sgpr_private_segment_size 0
		.amdhsa_uses_dynamic_stack 0
		.amdhsa_system_sgpr_private_segment_wavefront_offset 1
		.amdhsa_system_sgpr_workgroup_id_x 1
		.amdhsa_system_sgpr_workgroup_id_y 0
		.amdhsa_system_sgpr_workgroup_id_z 1
		.amdhsa_system_sgpr_workgroup_info 0
		.amdhsa_system_vgpr_workitem_id 0
		.amdhsa_next_free_vgpr 85
		.amdhsa_next_free_sgpr 98
		.amdhsa_reserve_vcc 1
		.amdhsa_reserve_flat_scratch 0
		.amdhsa_float_round_mode_32 0
		.amdhsa_float_round_mode_16_64 0
		.amdhsa_float_denorm_mode_32 3
		.amdhsa_float_denorm_mode_16_64 3
		.amdhsa_dx10_clamp 1
		.amdhsa_ieee_mode 1
		.amdhsa_fp16_overflow 0
		.amdhsa_exception_fp_ieee_invalid_op 0
		.amdhsa_exception_fp_denorm_src 0
		.amdhsa_exception_fp_ieee_div_zero 0
		.amdhsa_exception_fp_ieee_overflow 0
		.amdhsa_exception_fp_ieee_underflow 0
		.amdhsa_exception_fp_ieee_inexact 0
		.amdhsa_exception_int_div_zero 0
	.end_amdhsa_kernel
	.section	.text._ZL38rocblas_trsm_small_left_device_sharedBILi16ELi16ELb1E19rocblas_complex_numIdES1_PKS1_PS1_Ev13rocblas_fill_18rocblas_operation_17rocblas_diagonal_iiT3_T4_lilT5_lili,"axG",@progbits,_ZL38rocblas_trsm_small_left_device_sharedBILi16ELi16ELb1E19rocblas_complex_numIdES1_PKS1_PS1_Ev13rocblas_fill_18rocblas_operation_17rocblas_diagonal_iiT3_T4_lilT5_lili,comdat
.Lfunc_end216:
	.size	_ZL38rocblas_trsm_small_left_device_sharedBILi16ELi16ELb1E19rocblas_complex_numIdES1_PKS1_PS1_Ev13rocblas_fill_18rocblas_operation_17rocblas_diagonal_iiT3_T4_lilT5_lili, .Lfunc_end216-_ZL38rocblas_trsm_small_left_device_sharedBILi16ELi16ELb1E19rocblas_complex_numIdES1_PKS1_PS1_Ev13rocblas_fill_18rocblas_operation_17rocblas_diagonal_iiT3_T4_lilT5_lili
                                        ; -- End function
	.set _ZL38rocblas_trsm_small_left_device_sharedBILi16ELi16ELb1E19rocblas_complex_numIdES1_PKS1_PS1_Ev13rocblas_fill_18rocblas_operation_17rocblas_diagonal_iiT3_T4_lilT5_lili.num_vgpr, 19
	.set _ZL38rocblas_trsm_small_left_device_sharedBILi16ELi16ELb1E19rocblas_complex_numIdES1_PKS1_PS1_Ev13rocblas_fill_18rocblas_operation_17rocblas_diagonal_iiT3_T4_lilT5_lili.num_agpr, 0
	.set _ZL38rocblas_trsm_small_left_device_sharedBILi16ELi16ELb1E19rocblas_complex_numIdES1_PKS1_PS1_Ev13rocblas_fill_18rocblas_operation_17rocblas_diagonal_iiT3_T4_lilT5_lili.numbered_sgpr, 38
	.set _ZL38rocblas_trsm_small_left_device_sharedBILi16ELi16ELb1E19rocblas_complex_numIdES1_PKS1_PS1_Ev13rocblas_fill_18rocblas_operation_17rocblas_diagonal_iiT3_T4_lilT5_lili.num_named_barrier, 0
	.set _ZL38rocblas_trsm_small_left_device_sharedBILi16ELi16ELb1E19rocblas_complex_numIdES1_PKS1_PS1_Ev13rocblas_fill_18rocblas_operation_17rocblas_diagonal_iiT3_T4_lilT5_lili.private_seg_size, 272
	.set _ZL38rocblas_trsm_small_left_device_sharedBILi16ELi16ELb1E19rocblas_complex_numIdES1_PKS1_PS1_Ev13rocblas_fill_18rocblas_operation_17rocblas_diagonal_iiT3_T4_lilT5_lili.uses_vcc, 1
	.set _ZL38rocblas_trsm_small_left_device_sharedBILi16ELi16ELb1E19rocblas_complex_numIdES1_PKS1_PS1_Ev13rocblas_fill_18rocblas_operation_17rocblas_diagonal_iiT3_T4_lilT5_lili.uses_flat_scratch, 0
	.set _ZL38rocblas_trsm_small_left_device_sharedBILi16ELi16ELb1E19rocblas_complex_numIdES1_PKS1_PS1_Ev13rocblas_fill_18rocblas_operation_17rocblas_diagonal_iiT3_T4_lilT5_lili.has_dyn_sized_stack, 0
	.set _ZL38rocblas_trsm_small_left_device_sharedBILi16ELi16ELb1E19rocblas_complex_numIdES1_PKS1_PS1_Ev13rocblas_fill_18rocblas_operation_17rocblas_diagonal_iiT3_T4_lilT5_lili.has_recursion, 0
	.set _ZL38rocblas_trsm_small_left_device_sharedBILi16ELi16ELb1E19rocblas_complex_numIdES1_PKS1_PS1_Ev13rocblas_fill_18rocblas_operation_17rocblas_diagonal_iiT3_T4_lilT5_lili.has_indirect_call, 0
	.section	.AMDGPU.csdata,"",@progbits
; Kernel info:
; codeLenInByte = 3060
; TotalNumSgprs: 42
; NumVgprs: 19
; ScratchSize: 272
; MemoryBound: 0
; FloatMode: 240
; IeeeMode: 1
; LDSByteSize: 8192 bytes/workgroup (compile time only)
; SGPRBlocks: 12
; VGPRBlocks: 21
; NumSGPRsForWavesPerEU: 102
; NumVGPRsForWavesPerEU: 85
; Occupancy: 2
; WaveLimiterHint : 0
; COMPUTE_PGM_RSRC2:SCRATCH_EN: 1
; COMPUTE_PGM_RSRC2:USER_SGPR: 6
; COMPUTE_PGM_RSRC2:TRAP_HANDLER: 0
; COMPUTE_PGM_RSRC2:TGID_X_EN: 1
; COMPUTE_PGM_RSRC2:TGID_Y_EN: 0
; COMPUTE_PGM_RSRC2:TGID_Z_EN: 1
; COMPUTE_PGM_RSRC2:TIDIG_COMP_CNT: 0
	.section	.text._ZL30rocblas_trsm_small_left_deviceILi16ELi16ELb1E19rocblas_complex_numIdES1_PKS1_PS1_Ev13rocblas_fill_18rocblas_operation_17rocblas_diagonal_iiT3_T4_lilT5_lili,"axG",@progbits,_ZL30rocblas_trsm_small_left_deviceILi16ELi16ELb1E19rocblas_complex_numIdES1_PKS1_PS1_Ev13rocblas_fill_18rocblas_operation_17rocblas_diagonal_iiT3_T4_lilT5_lili,comdat
	.globl	_ZL30rocblas_trsm_small_left_deviceILi16ELi16ELb1E19rocblas_complex_numIdES1_PKS1_PS1_Ev13rocblas_fill_18rocblas_operation_17rocblas_diagonal_iiT3_T4_lilT5_lili ; -- Begin function _ZL30rocblas_trsm_small_left_deviceILi16ELi16ELb1E19rocblas_complex_numIdES1_PKS1_PS1_Ev13rocblas_fill_18rocblas_operation_17rocblas_diagonal_iiT3_T4_lilT5_lili
	.p2align	8
	.type	_ZL30rocblas_trsm_small_left_deviceILi16ELi16ELb1E19rocblas_complex_numIdES1_PKS1_PS1_Ev13rocblas_fill_18rocblas_operation_17rocblas_diagonal_iiT3_T4_lilT5_lili,@function
_ZL30rocblas_trsm_small_left_deviceILi16ELi16ELb1E19rocblas_complex_numIdES1_PKS1_PS1_Ev13rocblas_fill_18rocblas_operation_17rocblas_diagonal_iiT3_T4_lilT5_lili: ; @_ZL30rocblas_trsm_small_left_deviceILi16ELi16ELb1E19rocblas_complex_numIdES1_PKS1_PS1_Ev13rocblas_fill_18rocblas_operation_17rocblas_diagonal_iiT3_T4_lilT5_lili
; %bb.0:
	s_add_u32 s0, s0, s8
	s_load_dwordx4 s[20:23], s[4:5], 0x4
	s_load_dwordx8 s[12:19], s[4:5], 0x18
	s_load_dwordx4 s[8:11], s[4:5], 0x40
	s_load_dwordx2 s[24:25], s[4:5], 0x50
	s_load_dword s29, s[4:5], 0x70
	s_addc_u32 s1, s1, 0
	s_waitcnt lgkmcnt(0)
	s_min_i32 s28, s22, 16
	v_cmp_gt_i32_e32 vcc, s28, v0
	s_and_saveexec_b64 s[26:27], vcc
	s_cbranch_execz .LBB217_11
; %bb.1:
	s_load_dword s30, s[4:5], 0x38
	s_mul_i32 s9, s9, s7
	s_mul_hi_u32 s22, s8, s7
	s_mul_i32 s8, s8, s7
	v_lshlrev_b32_e32 v3, 4, v0
	s_waitcnt lgkmcnt(0)
	s_ashr_i32 s31, s30, 31
	s_cmpk_eq_i32 s20, 0x71
	s_cselect_b64 vcc, -1, 0
	s_add_i32 s9, s22, s9
	s_lshl_b64 s[8:9], s[8:9], 4
	s_lshl_b64 s[18:19], s[18:19], 4
	s_add_u32 s8, s8, s18
	s_addc_u32 s9, s9, s19
	s_add_u32 s8, s16, s8
	s_addc_u32 s9, s17, s9
	v_mov_b32_e32 v1, s9
	v_add_co_u32_e64 v2, s[8:9], s8, v3
	v_addc_co_u32_e64 v4, s[8:9], 0, v1, s[8:9]
	v_add_co_u32_e64 v1, s[8:9], 8, v2
	s_lshl_b64 s[16:17], s[30:31], 4
	v_addc_co_u32_e64 v2, s[8:9], 0, v4, s[8:9]
	v_mov_b32_e32 v4, s17
	v_mov_b32_e32 v5, v3
	s_mov_b32 s17, s28
.LBB217_2:                              ; =>This Inner Loop Header: Depth=1
	global_load_dwordx4 v[6:9], v[1:2], off offset:-8
	s_add_i32 s17, s17, -1
	v_add_co_u32_e64 v1, s[8:9], s16, v1
	v_addc_co_u32_e64 v2, s[8:9], v2, v4, s[8:9]
	s_cmp_eq_u32 s17, 0
	s_waitcnt vmcnt(0)
	v_xor_b32_e32 v10, 0x80000000, v9
	v_cndmask_b32_e32 v9, v9, v10, vcc
	ds_write_b128 v5, v[6:9]
	v_add_u32_e32 v5, 0x100, v5
	s_cbranch_scc0 .LBB217_2
; %bb.3:
	v_lshlrev_b32_e32 v1, 8, v0
	s_cmpk_lg_i32 s21, 0x84
	v_add_u32_e32 v9, v3, v1
	s_cbranch_scc0 .LBB217_9
; %bb.4:
	ds_read_b128 v[1:4], v9
                                        ; implicit-def: $vgpr7_vgpr8
	s_waitcnt lgkmcnt(0)
	v_cmp_ngt_f64_e64 s[8:9], |v[1:2]|, |v[3:4]|
	s_and_saveexec_b64 s[16:17], s[8:9]
	s_xor_b64 s[8:9], exec, s[16:17]
	s_cbranch_execz .LBB217_6
; %bb.5:
	v_div_scale_f64 v[5:6], s[16:17], v[3:4], v[3:4], v[1:2]
	v_rcp_f64_e32 v[7:8], v[5:6]
	v_fma_f64 v[10:11], -v[5:6], v[7:8], 1.0
	v_fma_f64 v[7:8], v[7:8], v[10:11], v[7:8]
	v_div_scale_f64 v[10:11], vcc, v[1:2], v[3:4], v[1:2]
	v_fma_f64 v[12:13], -v[5:6], v[7:8], 1.0
	v_fma_f64 v[7:8], v[7:8], v[12:13], v[7:8]
	v_mul_f64 v[12:13], v[10:11], v[7:8]
	v_fma_f64 v[5:6], -v[5:6], v[12:13], v[10:11]
	v_div_fmas_f64 v[5:6], v[5:6], v[7:8], v[12:13]
	v_div_fixup_f64 v[5:6], v[5:6], v[3:4], v[1:2]
	v_fma_f64 v[1:2], v[1:2], v[5:6], v[3:4]
	v_div_scale_f64 v[3:4], s[16:17], v[1:2], v[1:2], 1.0
	v_rcp_f64_e32 v[7:8], v[3:4]
	v_fma_f64 v[10:11], -v[3:4], v[7:8], 1.0
	v_fma_f64 v[7:8], v[7:8], v[10:11], v[7:8]
	v_div_scale_f64 v[10:11], vcc, 1.0, v[1:2], 1.0
	v_fma_f64 v[12:13], -v[3:4], v[7:8], 1.0
	v_fma_f64 v[7:8], v[7:8], v[12:13], v[7:8]
	v_mul_f64 v[12:13], v[10:11], v[7:8]
	v_fma_f64 v[3:4], -v[3:4], v[12:13], v[10:11]
	v_div_fmas_f64 v[3:4], v[3:4], v[7:8], v[12:13]
	v_add_f64 v[7:8], v[5:6], 0
	v_div_fixup_f64 v[1:2], v[3:4], v[1:2], 1.0
	v_fma_f64 v[3:4], v[5:6], 0, -1.0
	v_mul_f64 v[5:6], v[7:8], v[1:2]
	v_mul_f64 v[7:8], v[3:4], v[1:2]
                                        ; implicit-def: $vgpr1_vgpr2
.LBB217_6:
	s_andn2_saveexec_b64 s[8:9], s[8:9]
	s_cbranch_execz .LBB217_8
; %bb.7:
	v_div_scale_f64 v[5:6], s[16:17], v[1:2], v[1:2], v[3:4]
	v_rcp_f64_e32 v[7:8], v[5:6]
	v_fma_f64 v[10:11], -v[5:6], v[7:8], 1.0
	v_fma_f64 v[7:8], v[7:8], v[10:11], v[7:8]
	v_div_scale_f64 v[10:11], vcc, v[3:4], v[1:2], v[3:4]
	v_fma_f64 v[12:13], -v[5:6], v[7:8], 1.0
	v_fma_f64 v[7:8], v[7:8], v[12:13], v[7:8]
	v_mul_f64 v[12:13], v[10:11], v[7:8]
	v_fma_f64 v[5:6], -v[5:6], v[12:13], v[10:11]
	v_div_fmas_f64 v[5:6], v[5:6], v[7:8], v[12:13]
	v_div_fixup_f64 v[5:6], v[5:6], v[1:2], v[3:4]
	v_fma_f64 v[1:2], v[3:4], v[5:6], v[1:2]
	v_div_scale_f64 v[3:4], s[16:17], v[1:2], v[1:2], 1.0
	v_rcp_f64_e32 v[7:8], v[3:4]
	v_fma_f64 v[10:11], -v[3:4], v[7:8], 1.0
	v_fma_f64 v[7:8], v[7:8], v[10:11], v[7:8]
	v_div_scale_f64 v[10:11], vcc, 1.0, v[1:2], 1.0
	v_fma_f64 v[12:13], -v[3:4], v[7:8], 1.0
	v_fma_f64 v[7:8], v[7:8], v[12:13], v[7:8]
	v_mul_f64 v[12:13], v[10:11], v[7:8]
	v_fma_f64 v[3:4], -v[3:4], v[12:13], v[10:11]
	v_div_fmas_f64 v[3:4], v[3:4], v[7:8], v[12:13]
	v_fma_f64 v[7:8], v[5:6], 0, 1.0
	v_div_fixup_f64 v[1:2], v[3:4], v[1:2], 1.0
	v_add_f64 v[3:4], -v[5:6], 0
	v_mul_f64 v[5:6], v[7:8], v[1:2]
	v_mul_f64 v[7:8], v[3:4], v[1:2]
.LBB217_8:
	s_or_b64 exec, exec, s[8:9]
	s_branch .LBB217_10
.LBB217_9:
	v_mov_b32_e32 v7, 0
	v_mov_b32_e32 v5, 0
	;; [unrolled: 1-line block ×4, first 2 shown]
.LBB217_10:
	ds_write_b128 v9, v[5:8]
.LBB217_11:
	s_or_b64 exec, exec, s[26:27]
	s_lshl_b32 s8, s6, 4
	s_add_i32 s29, s29, -1
	s_sub_i32 s9, s23, s8
	s_cmp_ge_u32 s6, s29
	s_cselect_b32 s6, s9, 16
	v_cmp_gt_i32_e32 vcc, s6, v0
	s_waitcnt lgkmcnt(0)
	; wave barrier
	s_and_saveexec_b64 s[16:17], vcc
	s_cbranch_execz .LBB217_54
; %bb.12:
	s_load_dwordx2 s[16:17], s[4:5], 0x60
	s_load_dword s6, s[4:5], 0x58
	v_add_u32_e32 v0, s8, v0
	s_waitcnt lgkmcnt(0)
	s_mul_i32 s5, s17, s7
	s_mul_hi_u32 s8, s16, s7
	s_mul_i32 s4, s16, s7
	s_add_i32 s5, s8, s5
	v_mad_i64_i32 v[0:1], s[6:7], s6, v0, 0
	s_lshl_b64 s[4:5], s[4:5], 4
	s_add_u32 s8, s10, s4
	s_addc_u32 s9, s11, s5
	s_lshl_b64 s[6:7], s[24:25], 4
	s_add_u32 s8, s8, s6
	v_lshlrev_b64 v[4:5], 4, v[0:1]
	s_addc_u32 s9, s9, s7
	v_mov_b32_e32 v0, s9
	v_add_co_u32_e32 v6, vcc, s8, v4
	v_addc_co_u32_e32 v7, vcc, v0, v5, vcc
	s_cmpk_eq_i32 s20, 0x6f
	s_mov_b64 s[8:9], -1
	s_cbranch_scc1 .LBB217_33
; %bb.13:
	s_add_i32 s24, s28, -1
	s_add_u32 s8, s10, s6
	s_addc_u32 s9, s11, s7
	s_add_u32 s8, s8, s4
	s_addc_u32 s9, s9, s5
	v_mov_b32_e32 v0, s9
	v_add_co_u32_e32 v1, vcc, s8, v4
	v_addc_co_u32_e32 v0, vcc, v0, v5, vcc
	v_add_co_u32_e32 v8, vcc, 8, v1
	s_lshl_b32 s25, s28, 4
	s_mov_b32 s9, 0
	v_addc_co_u32_e32 v9, vcc, 0, v0, vcc
	s_add_i32 s25, s25, -16
	s_mov_b32 s8, s9
	s_mov_b32 s16, s24
	s_branch .LBB217_15
.LBB217_14:                             ;   in Loop: Header=BB217_15 Depth=1
	s_cmp_lt_i32 s16, 0
	s_cselect_b64 s[18:19], -1, 0
	s_add_i32 s8, s8, 1
	s_cmp_eq_u32 s8, 3
	s_cselect_b64 s[20:21], -1, 0
	s_or_b64 s[18:19], s[18:19], s[20:21]
	s_andn2_b64 vcc, exec, s[18:19]
	s_cbranch_vccz .LBB217_32
.LBB217_15:                             ; =>This Loop Header: Depth=1
                                        ;     Child Loop BB217_18 Depth 2
                                        ;       Child Loop BB217_19 Depth 3
                                        ;       Child Loop BB217_21 Depth 3
                                        ;         Child Loop BB217_22 Depth 4
                                        ;       Child Loop BB217_26 Depth 3
                                        ;         Child Loop BB217_28 Depth 4
	s_lshl_b64 s[18:19], s[8:9], 2
	s_getpc_b64 s[20:21]
	s_add_u32 s20, s20, __const._ZL30rocblas_trsm_small_left_deviceILi16ELi16ELb1E19rocblas_complex_numIdES1_PKS1_PS1_Ev13rocblas_fill_18rocblas_operation_17rocblas_diagonal_iiT3_T4_lilT5_lili.step_sizes@rel32@lo+4
	s_addc_u32 s21, s21, __const._ZL30rocblas_trsm_small_left_deviceILi16ELi16ELb1E19rocblas_complex_numIdES1_PKS1_PS1_Ev13rocblas_fill_18rocblas_operation_17rocblas_diagonal_iiT3_T4_lilT5_lili.step_sizes@rel32@hi+12
	s_add_u32 s18, s20, s18
	s_addc_u32 s19, s21, s19
	s_load_dword s26, s[18:19], 0x0
	s_waitcnt lgkmcnt(0)
	s_add_i32 s27, s26, -1
	s_cmp_lt_i32 s16, s27
	s_cbranch_scc1 .LBB217_14
; %bb.16:                               ;   in Loop: Header=BB217_15 Depth=1
	s_lshl_b32 s17, s16, 8
	s_add_i32 s30, s25, s17
	s_lshl_b32 s17, s26, 8
	s_max_i32 s29, s26, 1
	s_sub_i32 s31, 0, s17
	s_mul_i32 s33, s16, 0x110
	s_mul_i32 s34, s26, 0xfffffef0
	s_branch .LBB217_18
.LBB217_17:                             ;   in Loop: Header=BB217_18 Depth=2
	s_sub_i32 s16, s16, s26
	s_add_i32 s30, s30, s31
	s_add_i32 s33, s33, s34
	s_cmp_lt_i32 s16, s27
	s_cbranch_scc1 .LBB217_14
.LBB217_18:                             ;   Parent Loop BB217_15 Depth=1
                                        ; =>  This Loop Header: Depth=2
                                        ;       Child Loop BB217_19 Depth 3
                                        ;       Child Loop BB217_21 Depth 3
                                        ;         Child Loop BB217_22 Depth 4
                                        ;       Child Loop BB217_26 Depth 3
                                        ;         Child Loop BB217_28 Depth 4
	s_ashr_i32 s17, s16, 31
	s_lshl_b64 s[18:19], s[16:17], 4
	v_mov_b32_e32 v1, s19
	v_add_co_u32_e32 v0, vcc, s18, v8
	v_addc_co_u32_e32 v1, vcc, v9, v1, vcc
	s_mov_b32 s18, 0
	s_mov_b32 s19, s29
.LBB217_19:                             ;   Parent Loop BB217_15 Depth=1
                                        ;     Parent Loop BB217_18 Depth=2
                                        ; =>    This Inner Loop Header: Depth=3
	global_load_dwordx4 v[10:13], v[0:1], off offset:-8
	v_mov_b32_e32 v14, s18
	s_add_i32 s19, s19, -1
	v_add_co_u32_e32 v0, vcc, -16, v0
	s_add_i32 s18, s18, 16
	v_addc_co_u32_e32 v1, vcc, -1, v1, vcc
	s_cmp_eq_u32 s19, 0
	s_waitcnt vmcnt(0)
	v_mul_f64 v[2:3], s[14:15], v[12:13]
	v_mul_f64 v[12:13], s[12:13], v[12:13]
	v_fma_f64 v[2:3], s[12:13], v[10:11], -v[2:3]
	v_fma_f64 v[10:11], s[14:15], v[10:11], v[12:13]
	buffer_store_dword v3, v14, s[0:3], 0 offen offset:4
	buffer_store_dword v2, v14, s[0:3], 0 offen
	buffer_store_dword v11, v14, s[0:3], 0 offen offset:12
	buffer_store_dword v10, v14, s[0:3], 0 offen offset:8
	s_cbranch_scc0 .LBB217_19
; %bb.20:                               ;   in Loop: Header=BB217_18 Depth=2
	s_cmp_le_i32 s24, s16
	s_mov_b32 s20, s30
	s_mov_b32 s18, s24
	s_cbranch_scc1 .LBB217_24
.LBB217_21:                             ;   Parent Loop BB217_15 Depth=1
                                        ;     Parent Loop BB217_18 Depth=2
                                        ; =>    This Loop Header: Depth=3
                                        ;         Child Loop BB217_22 Depth 4
	s_ashr_i32 s19, s18, 31
	s_lshl_b64 s[22:23], s[18:19], 4
	v_mov_b32_e32 v1, s23
	v_add_co_u32_e32 v0, vcc, s22, v6
	v_addc_co_u32_e32 v1, vcc, v7, v1, vcc
	global_load_dwordx4 v[0:3], v[0:1], off
	s_mov_b32 s19, 0
	s_mov_b32 s21, s20
	;; [unrolled: 1-line block ×3, first 2 shown]
.LBB217_22:                             ;   Parent Loop BB217_15 Depth=1
                                        ;     Parent Loop BB217_18 Depth=2
                                        ;       Parent Loop BB217_21 Depth=3
                                        ; =>      This Inner Loop Header: Depth=4
	v_mov_b32_e32 v20, s19
	buffer_load_dword v14, v20, s[0:3], 0 offen
	buffer_load_dword v15, v20, s[0:3], 0 offen offset:4
	buffer_load_dword v16, v20, s[0:3], 0 offen offset:8
	;; [unrolled: 1-line block ×3, first 2 shown]
	v_mov_b32_e32 v10, s21
	ds_read_b128 v[10:13], v10
	s_add_i32 s22, s22, -1
	s_addk_i32 s21, 0xff00
	s_add_i32 s19, s19, 16
	s_cmp_eq_u32 s22, 0
	s_waitcnt vmcnt(4) lgkmcnt(0)
	v_mul_f64 v[18:19], v[2:3], v[12:13]
	v_mul_f64 v[12:13], v[0:1], v[12:13]
	v_fma_f64 v[18:19], v[0:1], v[10:11], -v[18:19]
	v_fma_f64 v[10:11], v[2:3], v[10:11], v[12:13]
	s_waitcnt vmcnt(2)
	v_add_f64 v[12:13], v[14:15], -v[18:19]
	s_waitcnt vmcnt(0)
	v_add_f64 v[10:11], v[16:17], -v[10:11]
	buffer_store_dword v12, v20, s[0:3], 0 offen
	buffer_store_dword v13, v20, s[0:3], 0 offen offset:4
	buffer_store_dword v10, v20, s[0:3], 0 offen offset:8
	;; [unrolled: 1-line block ×3, first 2 shown]
	s_cbranch_scc0 .LBB217_22
; %bb.23:                               ;   in Loop: Header=BB217_21 Depth=3
	s_add_i32 s18, s18, -1
	s_add_i32 s20, s20, -16
	s_cmp_le_i32 s18, s16
	s_cbranch_scc0 .LBB217_21
.LBB217_24:                             ;   in Loop: Header=BB217_18 Depth=2
	s_mov_b32 s35, 0
	s_mov_b32 s36, s33
	s_branch .LBB217_26
.LBB217_25:                             ;   in Loop: Header=BB217_26 Depth=3
	s_mulk_i32 s20, 0x110
	v_mov_b32_e32 v10, s20
	ds_read_b128 v[10:13], v10
	s_lshl_b64 s[18:19], s[18:19], 4
	s_lshl_b32 s20, s35, 4
	s_add_i32 s35, s35, 1
	s_addk_i32 s36, 0xff00
	s_waitcnt vmcnt(0) lgkmcnt(0)
	v_mul_f64 v[14:15], v[12:13], v[2:3]
	v_mul_f64 v[2:3], v[10:11], v[2:3]
	v_mov_b32_e32 v16, s20
	s_cmp_eq_u32 s35, s29
	v_fma_f64 v[10:11], v[10:11], v[0:1], -v[14:15]
	v_fma_f64 v[12:13], v[12:13], v[0:1], v[2:3]
	v_mov_b32_e32 v14, s19
	v_add_co_u32_e32 v0, vcc, s18, v6
	v_addc_co_u32_e32 v1, vcc, v7, v14, vcc
	buffer_store_dword v11, v16, s[0:3], 0 offen offset:4
	buffer_store_dword v10, v16, s[0:3], 0 offen
	buffer_store_dword v13, v16, s[0:3], 0 offen offset:12
	buffer_store_dword v12, v16, s[0:3], 0 offen offset:8
	global_store_dwordx4 v[0:1], v[10:13], off
	s_cbranch_scc1 .LBB217_17
.LBB217_26:                             ;   Parent Loop BB217_15 Depth=1
                                        ;     Parent Loop BB217_18 Depth=2
                                        ; =>    This Loop Header: Depth=3
                                        ;         Child Loop BB217_28 Depth 4
	s_cmp_lg_u32 s35, 0
	s_cbranch_scc0 .LBB217_30
; %bb.27:                               ;   in Loop: Header=BB217_26 Depth=3
	s_lshl_b32 s18, s35, 4
	v_mov_b32_e32 v10, s18
	buffer_load_dword v0, v10, s[0:3], 0 offen
	buffer_load_dword v1, v10, s[0:3], 0 offen offset:4
	buffer_load_dword v2, v10, s[0:3], 0 offen offset:8
	;; [unrolled: 1-line block ×3, first 2 shown]
	s_mov_b32 s19, 0
	s_mov_b32 s20, s36
	;; [unrolled: 1-line block ×3, first 2 shown]
.LBB217_28:                             ;   Parent Loop BB217_15 Depth=1
                                        ;     Parent Loop BB217_18 Depth=2
                                        ;       Parent Loop BB217_26 Depth=3
                                        ; =>      This Inner Loop Header: Depth=4
	v_mov_b32_e32 v10, s19
	buffer_load_dword v14, v10, s[0:3], 0 offen offset:8
	buffer_load_dword v15, v10, s[0:3], 0 offen offset:12
	buffer_load_dword v16, v10, s[0:3], 0 offen
	buffer_load_dword v17, v10, s[0:3], 0 offen offset:4
	v_mov_b32_e32 v10, s20
	ds_read_b128 v[10:13], v10
	s_add_i32 s21, s21, -1
	s_add_i32 s20, s20, -16
	s_add_i32 s19, s19, 16
	s_cmp_eq_u32 s21, 0
	s_waitcnt vmcnt(2) lgkmcnt(0)
	v_mul_f64 v[18:19], v[12:13], v[14:15]
	v_mul_f64 v[14:15], v[10:11], v[14:15]
	s_waitcnt vmcnt(0)
	v_fma_f64 v[10:11], v[10:11], v[16:17], -v[18:19]
	v_fma_f64 v[12:13], v[12:13], v[16:17], v[14:15]
	v_mov_b32_e32 v14, s18
	v_add_f64 v[0:1], v[0:1], -v[10:11]
	v_add_f64 v[2:3], v[2:3], -v[12:13]
	buffer_store_dword v0, v14, s[0:3], 0 offen
	buffer_store_dword v1, v14, s[0:3], 0 offen offset:4
	buffer_store_dword v2, v14, s[0:3], 0 offen offset:8
	;; [unrolled: 1-line block ×3, first 2 shown]
	s_cbranch_scc0 .LBB217_28
; %bb.29:                               ;   in Loop: Header=BB217_26 Depth=3
	s_sub_i32 s20, s16, s35
	s_ashr_i32 s21, s20, 31
	s_mov_b64 s[18:19], s[20:21]
	s_branch .LBB217_25
.LBB217_30:                             ;   in Loop: Header=BB217_26 Depth=3
                                        ; implicit-def: $vgpr0_vgpr1
                                        ; implicit-def: $vgpr2_vgpr3
                                        ; implicit-def: $sgpr20
                                        ; implicit-def: $sgpr18_sgpr19
	s_cbranch_execz .LBB217_25
; %bb.31:                               ;   in Loop: Header=BB217_26 Depth=3
	buffer_load_dword v0, off, s[0:3], 0
	buffer_load_dword v1, off, s[0:3], 0 offset:4
	buffer_load_dword v2, off, s[0:3], 0 offset:8
	;; [unrolled: 1-line block ×3, first 2 shown]
	s_mov_b64 s[18:19], s[16:17]
	s_mov_b32 s20, s16
	s_branch .LBB217_25
.LBB217_32:
	s_mov_b64 s[8:9], 0
.LBB217_33:
	s_and_b64 vcc, exec, s[8:9]
	s_cbranch_vccz .LBB217_54
; %bb.34:
	s_add_u32 s6, s10, s6
	s_addc_u32 s7, s11, s7
	s_add_u32 s4, s6, s4
	s_addc_u32 s5, s7, s5
	v_mov_b32_e32 v0, s5
	v_add_co_u32_e32 v1, vcc, s4, v4
	v_addc_co_u32_e32 v0, vcc, v0, v5, vcc
	v_add_co_u32_e32 v8, vcc, 8, v1
	s_mov_b32 s5, 0
	v_addc_co_u32_e32 v9, vcc, 0, v0, vcc
	s_mov_b32 s6, s5
	s_mov_b32 s8, s5
	s_branch .LBB217_36
.LBB217_35:                             ;   in Loop: Header=BB217_36 Depth=1
	s_cmp_ge_i32 s6, s28
	s_cselect_b64 s[10:11], -1, 0
	s_add_i32 s8, s8, 1
	s_cmp_eq_u32 s8, 3
	s_cselect_b64 s[16:17], -1, 0
	s_or_b64 s[10:11], s[10:11], s[16:17]
	s_and_b64 vcc, exec, s[10:11]
	s_cbranch_vccnz .LBB217_54
.LBB217_36:                             ; =>This Loop Header: Depth=1
                                        ;     Child Loop BB217_39 Depth 2
                                        ;       Child Loop BB217_40 Depth 3
                                        ;       Child Loop BB217_43 Depth 3
                                        ;         Child Loop BB217_44 Depth 4
                                        ;       Child Loop BB217_48 Depth 3
                                        ;         Child Loop BB217_50 Depth 4
	s_mov_b32 s9, s5
	s_lshl_b64 s[10:11], s[8:9], 2
	s_getpc_b64 s[16:17]
	s_add_u32 s16, s16, __const._ZL30rocblas_trsm_small_left_deviceILi16ELi16ELb1E19rocblas_complex_numIdES1_PKS1_PS1_Ev13rocblas_fill_18rocblas_operation_17rocblas_diagonal_iiT3_T4_lilT5_lili.step_sizes@rel32@lo+4
	s_addc_u32 s17, s17, __const._ZL30rocblas_trsm_small_left_deviceILi16ELi16ELb1E19rocblas_complex_numIdES1_PKS1_PS1_Ev13rocblas_fill_18rocblas_operation_17rocblas_diagonal_iiT3_T4_lilT5_lili.step_sizes@rel32@hi+12
	s_add_u32 s10, s16, s10
	s_addc_u32 s11, s17, s11
	s_load_dword s10, s[10:11], 0x0
	s_waitcnt lgkmcnt(0)
	s_add_i32 s9, s10, -1
	s_add_i32 s4, s9, s6
	s_cmp_ge_i32 s4, s28
	s_cbranch_scc1 .LBB217_35
; %bb.37:                               ;   in Loop: Header=BB217_36 Depth=1
	s_ashr_i32 s7, s6, 31
	s_lshl_b64 s[16:17], s[6:7], 4
	v_mov_b32_e32 v0, s17
	v_add_co_u32_e32 v4, vcc, s16, v8
	s_ashr_i32 s11, s10, 31
	s_max_i32 s20, s10, 1
	v_addc_co_u32_e32 v5, vcc, v9, v0, vcc
	s_lshl_b64 s[16:17], s[10:11], 4
	s_lshl_b32 s7, s6, 4
	s_lshl_b32 s11, s10, 4
	s_mul_i32 s21, s6, 0x110
	s_mul_i32 s22, s10, 0x110
	s_branch .LBB217_39
.LBB217_38:                             ;   in Loop: Header=BB217_39 Depth=2
	s_add_i32 s6, s6, s10
	s_add_i32 s4, s9, s6
	v_mov_b32_e32 v0, s17
	s_add_i32 s7, s7, s11
	s_add_i32 s21, s21, s22
	v_add_co_u32_e32 v4, vcc, s16, v4
	s_cmp_ge_i32 s4, s28
	v_addc_co_u32_e32 v5, vcc, v5, v0, vcc
	s_cbranch_scc1 .LBB217_35
.LBB217_39:                             ;   Parent Loop BB217_36 Depth=1
                                        ; =>  This Loop Header: Depth=2
                                        ;       Child Loop BB217_40 Depth 3
                                        ;       Child Loop BB217_43 Depth 3
                                        ;         Child Loop BB217_44 Depth 4
                                        ;       Child Loop BB217_48 Depth 3
                                        ;         Child Loop BB217_50 Depth 4
	v_mov_b32_e32 v0, v4
	s_mov_b32 s4, 0
	v_mov_b32_e32 v1, v5
	s_mov_b32 s18, s20
.LBB217_40:                             ;   Parent Loop BB217_36 Depth=1
                                        ;     Parent Loop BB217_39 Depth=2
                                        ; =>    This Inner Loop Header: Depth=3
	global_load_dwordx4 v[10:13], v[0:1], off offset:-8
	v_mov_b32_e32 v14, s4
	s_add_i32 s18, s18, -1
	v_add_co_u32_e32 v0, vcc, 16, v0
	s_add_i32 s4, s4, 16
	v_addc_co_u32_e32 v1, vcc, 0, v1, vcc
	s_cmp_eq_u32 s18, 0
	s_waitcnt vmcnt(0)
	v_mul_f64 v[2:3], s[14:15], v[12:13]
	v_mul_f64 v[12:13], s[12:13], v[12:13]
	v_fma_f64 v[2:3], s[12:13], v[10:11], -v[2:3]
	v_fma_f64 v[10:11], s[14:15], v[10:11], v[12:13]
	buffer_store_dword v3, v14, s[0:3], 0 offen offset:4
	buffer_store_dword v2, v14, s[0:3], 0 offen
	buffer_store_dword v11, v14, s[0:3], 0 offen offset:12
	buffer_store_dword v10, v14, s[0:3], 0 offen offset:8
	s_cbranch_scc0 .LBB217_40
; %bb.41:                               ;   in Loop: Header=BB217_39 Depth=2
	s_cmp_lt_i32 s6, 1
	s_cbranch_scc1 .LBB217_46
; %bb.42:                               ;   in Loop: Header=BB217_39 Depth=2
	s_mov_b32 s4, 0
	s_mov_b32 s18, s7
.LBB217_43:                             ;   Parent Loop BB217_36 Depth=1
                                        ;     Parent Loop BB217_39 Depth=2
                                        ; =>    This Loop Header: Depth=3
                                        ;         Child Loop BB217_44 Depth 4
	s_lshl_b64 s[24:25], s[4:5], 4
	v_mov_b32_e32 v1, s25
	v_add_co_u32_e32 v0, vcc, s24, v6
	v_addc_co_u32_e32 v1, vcc, v7, v1, vcc
	global_load_dwordx4 v[0:3], v[0:1], off
	s_mov_b32 s19, 0
	s_mov_b32 s23, s18
	s_mov_b32 s24, s20
.LBB217_44:                             ;   Parent Loop BB217_36 Depth=1
                                        ;     Parent Loop BB217_39 Depth=2
                                        ;       Parent Loop BB217_43 Depth=3
                                        ; =>      This Inner Loop Header: Depth=4
	v_mov_b32_e32 v20, s19
	buffer_load_dword v14, v20, s[0:3], 0 offen
	buffer_load_dword v15, v20, s[0:3], 0 offen offset:4
	buffer_load_dword v16, v20, s[0:3], 0 offen offset:8
	;; [unrolled: 1-line block ×3, first 2 shown]
	v_mov_b32_e32 v10, s23
	ds_read_b128 v[10:13], v10
	s_add_i32 s24, s24, -1
	s_add_i32 s23, s23, 16
	s_add_i32 s19, s19, 16
	s_cmp_eq_u32 s24, 0
	s_waitcnt vmcnt(4) lgkmcnt(0)
	v_mul_f64 v[18:19], v[2:3], v[12:13]
	v_mul_f64 v[12:13], v[0:1], v[12:13]
	v_fma_f64 v[18:19], v[0:1], v[10:11], -v[18:19]
	v_fma_f64 v[10:11], v[2:3], v[10:11], v[12:13]
	s_waitcnt vmcnt(2)
	v_add_f64 v[12:13], v[14:15], -v[18:19]
	s_waitcnt vmcnt(0)
	v_add_f64 v[10:11], v[16:17], -v[10:11]
	buffer_store_dword v12, v20, s[0:3], 0 offen
	buffer_store_dword v13, v20, s[0:3], 0 offen offset:4
	buffer_store_dword v10, v20, s[0:3], 0 offen offset:8
	buffer_store_dword v11, v20, s[0:3], 0 offen offset:12
	s_cbranch_scc0 .LBB217_44
; %bb.45:                               ;   in Loop: Header=BB217_43 Depth=3
	s_add_i32 s4, s4, 1
	s_addk_i32 s18, 0x100
	s_cmp_eq_u32 s4, s6
	s_cbranch_scc0 .LBB217_43
.LBB217_46:                             ;   in Loop: Header=BB217_39 Depth=2
	s_mov_b32 s4, 0
	s_mov_b32 s23, s21
	s_branch .LBB217_48
.LBB217_47:                             ;   in Loop: Header=BB217_48 Depth=3
	s_add_i32 s18, s4, s6
	s_mul_i32 s19, s18, 0x110
	v_mov_b32_e32 v10, s19
	ds_read_b128 v[10:13], v10
	s_lshl_b32 s19, s4, 4
	v_mov_b32_e32 v16, s19
	s_ashr_i32 s19, s18, 31
	s_lshl_b64 s[18:19], s[18:19], 4
	s_waitcnt vmcnt(0) lgkmcnt(0)
	v_mul_f64 v[14:15], v[12:13], v[2:3]
	v_mul_f64 v[2:3], v[10:11], v[2:3]
	s_add_i32 s4, s4, 1
	s_add_i32 s23, s23, 16
	s_cmp_eq_u32 s4, s20
	v_fma_f64 v[10:11], v[10:11], v[0:1], -v[14:15]
	v_fma_f64 v[12:13], v[12:13], v[0:1], v[2:3]
	v_mov_b32_e32 v14, s19
	v_add_co_u32_e32 v0, vcc, s18, v6
	v_addc_co_u32_e32 v1, vcc, v7, v14, vcc
	buffer_store_dword v11, v16, s[0:3], 0 offen offset:4
	buffer_store_dword v10, v16, s[0:3], 0 offen
	buffer_store_dword v13, v16, s[0:3], 0 offen offset:12
	buffer_store_dword v12, v16, s[0:3], 0 offen offset:8
	global_store_dwordx4 v[0:1], v[10:13], off
	s_cbranch_scc1 .LBB217_38
.LBB217_48:                             ;   Parent Loop BB217_36 Depth=1
                                        ;     Parent Loop BB217_39 Depth=2
                                        ; =>    This Loop Header: Depth=3
                                        ;         Child Loop BB217_50 Depth 4
	s_cmp_lg_u32 s4, 0
	s_cbranch_scc0 .LBB217_52
; %bb.49:                               ;   in Loop: Header=BB217_48 Depth=3
	s_lshl_b32 s18, s4, 4
	v_mov_b32_e32 v10, s18
	buffer_load_dword v0, v10, s[0:3], 0 offen
	buffer_load_dword v1, v10, s[0:3], 0 offen offset:4
	buffer_load_dword v2, v10, s[0:3], 0 offen offset:8
	;; [unrolled: 1-line block ×3, first 2 shown]
	s_mov_b32 s18, 0
	s_mov_b32 s19, s23
	;; [unrolled: 1-line block ×3, first 2 shown]
.LBB217_50:                             ;   Parent Loop BB217_36 Depth=1
                                        ;     Parent Loop BB217_39 Depth=2
                                        ;       Parent Loop BB217_48 Depth=3
                                        ; =>      This Inner Loop Header: Depth=4
	v_mov_b32_e32 v11, s18
	buffer_load_dword v15, v11, s[0:3], 0 offen offset:8
	buffer_load_dword v16, v11, s[0:3], 0 offen offset:12
	buffer_load_dword v17, v11, s[0:3], 0 offen
	buffer_load_dword v18, v11, s[0:3], 0 offen offset:4
	v_mov_b32_e32 v11, s19
	ds_read_b128 v[11:14], v11
	s_add_i32 s24, s24, -1
	s_addk_i32 s19, 0x100
	s_add_i32 s18, s18, 16
	s_cmp_eq_u32 s24, 0
	s_waitcnt vmcnt(2) lgkmcnt(0)
	v_mul_f64 v[19:20], v[13:14], v[15:16]
	v_mul_f64 v[15:16], v[11:12], v[15:16]
	s_waitcnt vmcnt(0)
	v_fma_f64 v[11:12], v[11:12], v[17:18], -v[19:20]
	v_fma_f64 v[13:14], v[13:14], v[17:18], v[15:16]
	v_add_f64 v[0:1], v[0:1], -v[11:12]
	v_add_f64 v[2:3], v[2:3], -v[13:14]
	buffer_store_dword v0, v10, s[0:3], 0 offen
	buffer_store_dword v1, v10, s[0:3], 0 offen offset:4
	buffer_store_dword v2, v10, s[0:3], 0 offen offset:8
	;; [unrolled: 1-line block ×3, first 2 shown]
	s_cbranch_scc0 .LBB217_50
; %bb.51:                               ;   in Loop: Header=BB217_48 Depth=3
	s_branch .LBB217_47
.LBB217_52:                             ;   in Loop: Header=BB217_48 Depth=3
                                        ; implicit-def: $vgpr0_vgpr1
                                        ; implicit-def: $vgpr2_vgpr3
	s_cbranch_execz .LBB217_47
; %bb.53:                               ;   in Loop: Header=BB217_48 Depth=3
	buffer_load_dword v0, off, s[0:3], 0
	buffer_load_dword v1, off, s[0:3], 0 offset:4
	buffer_load_dword v2, off, s[0:3], 0 offset:8
	;; [unrolled: 1-line block ×3, first 2 shown]
	s_branch .LBB217_47
.LBB217_54:
	s_endpgm
	.section	.rodata,"a",@progbits
	.p2align	6, 0x0
	.amdhsa_kernel _ZL30rocblas_trsm_small_left_deviceILi16ELi16ELb1E19rocblas_complex_numIdES1_PKS1_PS1_Ev13rocblas_fill_18rocblas_operation_17rocblas_diagonal_iiT3_T4_lilT5_lili
		.amdhsa_group_segment_fixed_size 4096
		.amdhsa_private_segment_fixed_size 272
		.amdhsa_kernarg_size 368
		.amdhsa_user_sgpr_count 6
		.amdhsa_user_sgpr_private_segment_buffer 1
		.amdhsa_user_sgpr_dispatch_ptr 0
		.amdhsa_user_sgpr_queue_ptr 0
		.amdhsa_user_sgpr_kernarg_segment_ptr 1
		.amdhsa_user_sgpr_dispatch_id 0
		.amdhsa_user_sgpr_flat_scratch_init 0
		.amdhsa_user_sgpr_private_segment_size 0
		.amdhsa_uses_dynamic_stack 0
		.amdhsa_system_sgpr_private_segment_wavefront_offset 1
		.amdhsa_system_sgpr_workgroup_id_x 1
		.amdhsa_system_sgpr_workgroup_id_y 0
		.amdhsa_system_sgpr_workgroup_id_z 1
		.amdhsa_system_sgpr_workgroup_info 0
		.amdhsa_system_vgpr_workitem_id 0
		.amdhsa_next_free_vgpr 49
		.amdhsa_next_free_sgpr 98
		.amdhsa_reserve_vcc 1
		.amdhsa_reserve_flat_scratch 0
		.amdhsa_float_round_mode_32 0
		.amdhsa_float_round_mode_16_64 0
		.amdhsa_float_denorm_mode_32 3
		.amdhsa_float_denorm_mode_16_64 3
		.amdhsa_dx10_clamp 1
		.amdhsa_ieee_mode 1
		.amdhsa_fp16_overflow 0
		.amdhsa_exception_fp_ieee_invalid_op 0
		.amdhsa_exception_fp_denorm_src 0
		.amdhsa_exception_fp_ieee_div_zero 0
		.amdhsa_exception_fp_ieee_overflow 0
		.amdhsa_exception_fp_ieee_underflow 0
		.amdhsa_exception_fp_ieee_inexact 0
		.amdhsa_exception_int_div_zero 0
	.end_amdhsa_kernel
	.section	.text._ZL30rocblas_trsm_small_left_deviceILi16ELi16ELb1E19rocblas_complex_numIdES1_PKS1_PS1_Ev13rocblas_fill_18rocblas_operation_17rocblas_diagonal_iiT3_T4_lilT5_lili,"axG",@progbits,_ZL30rocblas_trsm_small_left_deviceILi16ELi16ELb1E19rocblas_complex_numIdES1_PKS1_PS1_Ev13rocblas_fill_18rocblas_operation_17rocblas_diagonal_iiT3_T4_lilT5_lili,comdat
.Lfunc_end217:
	.size	_ZL30rocblas_trsm_small_left_deviceILi16ELi16ELb1E19rocblas_complex_numIdES1_PKS1_PS1_Ev13rocblas_fill_18rocblas_operation_17rocblas_diagonal_iiT3_T4_lilT5_lili, .Lfunc_end217-_ZL30rocblas_trsm_small_left_deviceILi16ELi16ELb1E19rocblas_complex_numIdES1_PKS1_PS1_Ev13rocblas_fill_18rocblas_operation_17rocblas_diagonal_iiT3_T4_lilT5_lili
                                        ; -- End function
	.set _ZL30rocblas_trsm_small_left_deviceILi16ELi16ELb1E19rocblas_complex_numIdES1_PKS1_PS1_Ev13rocblas_fill_18rocblas_operation_17rocblas_diagonal_iiT3_T4_lilT5_lili.num_vgpr, 21
	.set _ZL30rocblas_trsm_small_left_deviceILi16ELi16ELb1E19rocblas_complex_numIdES1_PKS1_PS1_Ev13rocblas_fill_18rocblas_operation_17rocblas_diagonal_iiT3_T4_lilT5_lili.num_agpr, 0
	.set _ZL30rocblas_trsm_small_left_deviceILi16ELi16ELb1E19rocblas_complex_numIdES1_PKS1_PS1_Ev13rocblas_fill_18rocblas_operation_17rocblas_diagonal_iiT3_T4_lilT5_lili.numbered_sgpr, 37
	.set _ZL30rocblas_trsm_small_left_deviceILi16ELi16ELb1E19rocblas_complex_numIdES1_PKS1_PS1_Ev13rocblas_fill_18rocblas_operation_17rocblas_diagonal_iiT3_T4_lilT5_lili.num_named_barrier, 0
	.set _ZL30rocblas_trsm_small_left_deviceILi16ELi16ELb1E19rocblas_complex_numIdES1_PKS1_PS1_Ev13rocblas_fill_18rocblas_operation_17rocblas_diagonal_iiT3_T4_lilT5_lili.private_seg_size, 272
	.set _ZL30rocblas_trsm_small_left_deviceILi16ELi16ELb1E19rocblas_complex_numIdES1_PKS1_PS1_Ev13rocblas_fill_18rocblas_operation_17rocblas_diagonal_iiT3_T4_lilT5_lili.uses_vcc, 1
	.set _ZL30rocblas_trsm_small_left_deviceILi16ELi16ELb1E19rocblas_complex_numIdES1_PKS1_PS1_Ev13rocblas_fill_18rocblas_operation_17rocblas_diagonal_iiT3_T4_lilT5_lili.uses_flat_scratch, 0
	.set _ZL30rocblas_trsm_small_left_deviceILi16ELi16ELb1E19rocblas_complex_numIdES1_PKS1_PS1_Ev13rocblas_fill_18rocblas_operation_17rocblas_diagonal_iiT3_T4_lilT5_lili.has_dyn_sized_stack, 0
	.set _ZL30rocblas_trsm_small_left_deviceILi16ELi16ELb1E19rocblas_complex_numIdES1_PKS1_PS1_Ev13rocblas_fill_18rocblas_operation_17rocblas_diagonal_iiT3_T4_lilT5_lili.has_recursion, 0
	.set _ZL30rocblas_trsm_small_left_deviceILi16ELi16ELb1E19rocblas_complex_numIdES1_PKS1_PS1_Ev13rocblas_fill_18rocblas_operation_17rocblas_diagonal_iiT3_T4_lilT5_lili.has_indirect_call, 0
	.section	.AMDGPU.csdata,"",@progbits
; Kernel info:
; codeLenInByte = 2936
; TotalNumSgprs: 41
; NumVgprs: 21
; ScratchSize: 272
; MemoryBound: 0
; FloatMode: 240
; IeeeMode: 1
; LDSByteSize: 4096 bytes/workgroup (compile time only)
; SGPRBlocks: 12
; VGPRBlocks: 12
; NumSGPRsForWavesPerEU: 102
; NumVGPRsForWavesPerEU: 49
; Occupancy: 4
; WaveLimiterHint : 0
; COMPUTE_PGM_RSRC2:SCRATCH_EN: 1
; COMPUTE_PGM_RSRC2:USER_SGPR: 6
; COMPUTE_PGM_RSRC2:TRAP_HANDLER: 0
; COMPUTE_PGM_RSRC2:TGID_X_EN: 1
; COMPUTE_PGM_RSRC2:TGID_Y_EN: 0
; COMPUTE_PGM_RSRC2:TGID_Z_EN: 1
; COMPUTE_PGM_RSRC2:TIDIG_COMP_CNT: 0
	.section	.text._ZL31rocblas_trsm_small_right_deviceI19rocblas_complex_numIdES1_PKS1_PS1_Li16EEv13rocblas_fill_18rocblas_operation_17rocblas_diagonal_iiT0_T1_lilT2_lili,"axG",@progbits,_ZL31rocblas_trsm_small_right_deviceI19rocblas_complex_numIdES1_PKS1_PS1_Li16EEv13rocblas_fill_18rocblas_operation_17rocblas_diagonal_iiT0_T1_lilT2_lili,comdat
	.globl	_ZL31rocblas_trsm_small_right_deviceI19rocblas_complex_numIdES1_PKS1_PS1_Li16EEv13rocblas_fill_18rocblas_operation_17rocblas_diagonal_iiT0_T1_lilT2_lili ; -- Begin function _ZL31rocblas_trsm_small_right_deviceI19rocblas_complex_numIdES1_PKS1_PS1_Li16EEv13rocblas_fill_18rocblas_operation_17rocblas_diagonal_iiT0_T1_lilT2_lili
	.p2align	8
	.type	_ZL31rocblas_trsm_small_right_deviceI19rocblas_complex_numIdES1_PKS1_PS1_Li16EEv13rocblas_fill_18rocblas_operation_17rocblas_diagonal_iiT0_T1_lilT2_lili,@function
_ZL31rocblas_trsm_small_right_deviceI19rocblas_complex_numIdES1_PKS1_PS1_Li16EEv13rocblas_fill_18rocblas_operation_17rocblas_diagonal_iiT0_T1_lilT2_lili: ; @_ZL31rocblas_trsm_small_right_deviceI19rocblas_complex_numIdES1_PKS1_PS1_Li16EEv13rocblas_fill_18rocblas_operation_17rocblas_diagonal_iiT0_T1_lilT2_lili
; %bb.0:
	s_load_dwordx4 s[16:19], s[4:5], 0x0
	s_load_dword s24, s[4:5], 0x10
	s_load_dwordx8 s[8:15], s[4:5], 0x18
	s_load_dwordx2 s[20:21], s[4:5], 0x50
	s_load_dwordx4 s[0:3], s[4:5], 0x40
	s_waitcnt lgkmcnt(0)
	s_min_i32 s25, s24, 16
	v_cmp_gt_i32_e32 vcc, s25, v0
	s_and_saveexec_b64 s[22:23], vcc
	s_cbranch_execz .LBB218_5
; %bb.1:
	s_load_dword s26, s[4:5], 0x38
	s_mul_i32 s1, s1, s7
	s_mul_hi_u32 s28, s0, s7
	s_mul_i32 s0, s0, s7
	v_lshlrev_b32_e32 v3, 4, v0
	s_waitcnt lgkmcnt(0)
	s_ashr_i32 s27, s26, 31
	s_cmpk_eq_i32 s17, 0x71
	s_cselect_b64 vcc, -1, 0
	s_add_i32 s1, s28, s1
	s_lshl_b64 s[0:1], s[0:1], 4
	s_lshl_b64 s[14:15], s[14:15], 4
	s_add_u32 s0, s0, s14
	s_addc_u32 s1, s1, s15
	s_add_u32 s0, s12, s0
	s_addc_u32 s1, s13, s1
	v_mov_b32_e32 v1, s1
	v_add_co_u32_e64 v2, s[0:1], s0, v3
	v_addc_co_u32_e64 v4, s[0:1], 0, v1, s[0:1]
	v_add_co_u32_e64 v1, s[0:1], 8, v2
	s_lshl_b64 s[12:13], s[26:27], 4
	v_addc_co_u32_e64 v2, s[0:1], 0, v4, s[0:1]
	v_mov_b32_e32 v4, s13
	v_mov_b32_e32 v5, v3
	s_mov_b32 s13, s25
.LBB218_2:                              ; =>This Inner Loop Header: Depth=1
	global_load_dwordx4 v[6:9], v[1:2], off offset:-8
	s_add_i32 s13, s13, -1
	v_add_co_u32_e64 v1, s[0:1], s12, v1
	v_addc_co_u32_e64 v2, s[0:1], v2, v4, s[0:1]
	s_cmp_eq_u32 s13, 0
	s_waitcnt vmcnt(0)
	v_xor_b32_e32 v10, 0x80000000, v9
	v_cndmask_b32_e32 v9, v9, v10, vcc
	ds_write_b128 v5, v[6:9]
	v_add_u32_e32 v5, 0x100, v5
	s_cbranch_scc0 .LBB218_2
; %bb.3:
	s_cmpk_eq_i32 s18, 0x84
	s_cbranch_scc0 .LBB218_5
; %bb.4:
	v_mov_b32_e32 v1, 0
	v_lshl_or_b32 v5, v0, 8, v3
	v_mov_b32_e32 v2, 0x3ff00000
	v_mov_b32_e32 v3, v1
	;; [unrolled: 1-line block ×3, first 2 shown]
	ds_write_b128 v5, v[1:4]
.LBB218_5:
	s_or_b64 exec, exec, s[22:23]
	s_load_dword s0, s[4:5], 0x70
	s_load_dwordx2 s[14:15], s[4:5], 0x60
	s_load_dword s12, s[4:5], 0x58
	s_waitcnt lgkmcnt(0)
	s_add_i32 s0, s0, -1
	s_mul_i32 s1, s15, s7
	s_mul_hi_u32 s5, s14, s7
	s_add_i32 s5, s5, s1
	s_lshl_b32 s1, s6, 4
	s_sub_i32 s1, s19, s1
	s_cmp_ge_u32 s6, s0
	s_mul_i32 s4, s14, s7
	s_cselect_b32 s0, s1, 16
	s_ashr_i32 s7, s6, 31
	s_lshl_b64 s[6:7], s[6:7], 8
	v_cmp_gt_i32_e64 s[0:1], s0, v0
	s_and_saveexec_b64 s[14:15], s[0:1]
	s_cbranch_execz .LBB218_9
; %bb.6:
	s_cmp_lt_i32 s24, 1
	s_cbranch_scc1 .LBB218_9
; %bb.7:
	s_ashr_i32 s13, s12, 31
	s_lshl_b64 s[18:19], s[4:5], 4
	s_add_u32 s22, s18, s6
	s_addc_u32 s23, s19, s7
	s_lshl_b64 s[18:19], s[20:21], 4
	s_add_u32 s18, s22, s18
	s_addc_u32 s19, s23, s19
	s_add_u32 s18, s2, s18
	v_lshlrev_b32_e32 v3, 4, v0
	s_addc_u32 s19, s3, s19
	v_mov_b32_e32 v1, s19
	v_add_co_u32_e32 v2, vcc, s18, v3
	v_addc_co_u32_e32 v4, vcc, 0, v1, vcc
	v_add_co_u32_e32 v1, vcc, 8, v2
	s_lshl_b64 s[18:19], s[12:13], 4
	v_addc_co_u32_e32 v2, vcc, 0, v4, vcc
	v_or_b32_e32 v3, 0x1000, v3
	v_mov_b32_e32 v4, s19
	s_mov_b32 s13, s24
.LBB218_8:                              ; =>This Inner Loop Header: Depth=1
	global_load_dwordx4 v[5:8], v[1:2], off offset:-8
	s_add_i32 s13, s13, -1
	v_add_co_u32_e32 v1, vcc, s18, v1
	v_addc_co_u32_e32 v2, vcc, v2, v4, vcc
	s_cmp_lg_u32 s13, 0
	s_waitcnt vmcnt(0)
	v_mul_f64 v[9:10], s[10:11], v[7:8]
	v_mul_f64 v[11:12], s[8:9], v[7:8]
	v_fma_f64 v[7:8], s[8:9], v[5:6], -v[9:10]
	v_fma_f64 v[9:10], s[10:11], v[5:6], v[11:12]
	ds_write_b128 v3, v[7:10]
	v_add_u32_e32 v3, 0x100, v3
	s_cbranch_scc1 .LBB218_8
.LBB218_9:
	s_or_b64 exec, exec, s[14:15]
	s_cmpk_eq_i32 s17, 0x6f
	s_cselect_b64 s[8:9], -1, 0
	s_cmpk_lg_i32 s16, 0x79
	s_cselect_b64 s[10:11], -1, 0
	s_cmpk_eq_i32 s16, 0x79
	s_cselect_b64 s[14:15], -1, 0
	s_and_b64 s[14:15], s[14:15], s[8:9]
	s_andn2_b64 vcc, exec, s[14:15]
	s_mov_b64 s[14:15], -1
	s_waitcnt lgkmcnt(0)
	; wave barrier
	s_cbranch_vccz .LBB218_110
; %bb.10:
	s_cmpk_lg_i32 s16, 0x7a
	s_cselect_b64 s[16:17], -1, 0
	s_xor_b64 s[8:9], s[8:9], -1
	s_add_i32 s13, s25, -1
	s_or_b64 s[16:17], s[16:17], s[8:9]
	v_mov_b32_e32 v1, 0x1000
	s_cmp_gt_i32 s24, 3
	v_lshl_or_b32 v25, v0, 4, v1
	s_cselect_b64 s[8:9], -1, 0
	s_and_b64 vcc, exec, s[16:17]
	s_cbranch_vccz .LBB218_77
; %bb.11:
	s_andn2_b64 vcc, exec, s[10:11]
	s_mov_b64 s[10:11], -1
	s_cbranch_vccnz .LBB218_44
; %bb.12:
	s_andn2_b64 vcc, exec, s[8:9]
	s_mov_b32 s16, 0
	s_cbranch_vccnz .LBB218_34
; %bb.13:
	v_mov_b32_e32 v1, 0x1000
	v_lshl_or_b32 v26, v0, 4, v1
	s_mov_b32 s14, 0
	s_mov_b32 s15, 0
.LBB218_14:                             ; =>This Loop Header: Depth=1
                                        ;     Child Loop BB218_15 Depth 2
	s_lshl_b32 s10, s15, 8
	s_or_b32 s17, s15, 2
	v_add_u32_e32 v30, s10, v25
	s_or_b32 s11, s15, 1
	v_lshl_add_u32 v28, s17, 8, v25
	s_or_b32 s16, s10, 0x300
	v_lshl_add_u32 v29, s11, 8, v25
	ds_read_b128 v[17:20], v30
	ds_read_b128 v[13:16], v29
	v_add_u32_e32 v27, s16, v25
	ds_read_b128 v[5:8], v28
	ds_read_b128 v[1:4], v27
	s_cmp_eq_u32 s15, 0
	v_mov_b32_e32 v9, v26
	s_mov_b32 s16, s14
	s_mov_b32 s18, s15
	s_cbranch_scc1 .LBB218_16
.LBB218_15:                             ;   Parent Loop BB218_14 Depth=1
                                        ; =>  This Inner Loop Header: Depth=2
	v_mov_b32_e32 v10, s16
	ds_read_b128 v[21:24], v9
	ds_read_b128 v[31:34], v10
	ds_read_b128 v[35:38], v10 offset:16
	ds_read_b128 v[39:42], v10 offset:32
	ds_read_b128 v[43:46], v10 offset:48
	s_add_i32 s18, s18, -1
	s_addk_i32 s16, 0x100
	s_cmp_eq_u32 s18, 0
	s_waitcnt lgkmcnt(3)
	v_mul_f64 v[10:11], v[23:24], v[33:34]
	v_mul_f64 v[33:34], v[21:22], v[33:34]
	s_waitcnt lgkmcnt(2)
	v_mul_f64 v[47:48], v[23:24], v[37:38]
	v_mul_f64 v[37:38], v[21:22], v[37:38]
	;; [unrolled: 3-line block ×4, first 2 shown]
	v_fma_f64 v[10:11], v[21:22], v[31:32], -v[10:11]
	v_fma_f64 v[31:32], v[23:24], v[31:32], v[33:34]
	v_fma_f64 v[33:34], v[21:22], v[35:36], -v[47:48]
	v_fma_f64 v[35:36], v[23:24], v[35:36], v[37:38]
	;; [unrolled: 2-line block ×4, first 2 shown]
	v_add_f64 v[17:18], v[17:18], -v[10:11]
	v_add_f64 v[19:20], v[19:20], -v[31:32]
	;; [unrolled: 1-line block ×8, first 2 shown]
	v_add_u32_e32 v9, 0x100, v9
	s_cbranch_scc0 .LBB218_15
.LBB218_16:                             ;   in Loop: Header=BB218_14 Depth=1
	s_lshl_b32 s16, s15, 4
	s_add_i32 s18, s16, s10
	v_mov_b32_e32 v9, s18
	ds_read_b128 v[21:24], v9
	s_lshl_b32 s19, s11, 4
	s_lshl_b32 s17, s17, 4
	s_mov_b64 s[10:11], -1
                                        ; implicit-def: $vgpr11_vgpr12
	s_waitcnt lgkmcnt(0)
	v_cmp_ngt_f64_e64 s[22:23], |v[21:22]|, |v[23:24]|
	s_and_b64 vcc, exec, s[22:23]
	s_cbranch_vccz .LBB218_18
; %bb.17:                               ;   in Loop: Header=BB218_14 Depth=1
	v_div_scale_f64 v[9:10], s[10:11], v[23:24], v[23:24], v[21:22]
	v_rcp_f64_e32 v[11:12], v[9:10]
	v_fma_f64 v[31:32], -v[9:10], v[11:12], 1.0
	v_fma_f64 v[11:12], v[11:12], v[31:32], v[11:12]
	v_div_scale_f64 v[31:32], vcc, v[21:22], v[23:24], v[21:22]
	v_fma_f64 v[33:34], -v[9:10], v[11:12], 1.0
	v_fma_f64 v[11:12], v[11:12], v[33:34], v[11:12]
	v_mul_f64 v[33:34], v[31:32], v[11:12]
	v_fma_f64 v[9:10], -v[9:10], v[33:34], v[31:32]
	v_div_fmas_f64 v[9:10], v[9:10], v[11:12], v[33:34]
	v_div_fixup_f64 v[9:10], v[9:10], v[23:24], v[21:22]
	v_fma_f64 v[11:12], v[21:22], v[9:10], v[23:24]
	v_div_scale_f64 v[31:32], s[10:11], v[11:12], v[11:12], 1.0
	s_mov_b64 s[10:11], 0
	v_rcp_f64_e32 v[33:34], v[31:32]
	v_fma_f64 v[35:36], -v[31:32], v[33:34], 1.0
	v_fma_f64 v[33:34], v[33:34], v[35:36], v[33:34]
	v_div_scale_f64 v[35:36], vcc, 1.0, v[11:12], 1.0
	v_fma_f64 v[37:38], -v[31:32], v[33:34], 1.0
	v_fma_f64 v[33:34], v[33:34], v[37:38], v[33:34]
	v_mul_f64 v[37:38], v[35:36], v[33:34]
	v_fma_f64 v[31:32], -v[31:32], v[37:38], v[35:36]
	v_div_fmas_f64 v[31:32], v[31:32], v[33:34], v[37:38]
	v_fma_f64 v[33:34], v[17:18], v[9:10], v[19:20]
	v_div_fixup_f64 v[11:12], v[31:32], v[11:12], 1.0
	v_fma_f64 v[31:32], v[19:20], v[9:10], -v[17:18]
	v_mul_f64 v[9:10], v[33:34], v[11:12]
	v_mul_f64 v[11:12], v[31:32], v[11:12]
.LBB218_18:                             ;   in Loop: Header=BB218_14 Depth=1
	s_andn2_b64 vcc, exec, s[10:11]
	s_cbranch_vccnz .LBB218_20
; %bb.19:                               ;   in Loop: Header=BB218_14 Depth=1
	v_div_scale_f64 v[9:10], s[10:11], v[21:22], v[21:22], v[23:24]
	v_rcp_f64_e32 v[11:12], v[9:10]
	v_fma_f64 v[31:32], -v[9:10], v[11:12], 1.0
	v_fma_f64 v[11:12], v[11:12], v[31:32], v[11:12]
	v_div_scale_f64 v[31:32], vcc, v[23:24], v[21:22], v[23:24]
	v_fma_f64 v[33:34], -v[9:10], v[11:12], 1.0
	v_fma_f64 v[11:12], v[11:12], v[33:34], v[11:12]
	v_mul_f64 v[33:34], v[31:32], v[11:12]
	v_fma_f64 v[9:10], -v[9:10], v[33:34], v[31:32]
	v_div_fmas_f64 v[9:10], v[9:10], v[11:12], v[33:34]
	v_div_fixup_f64 v[9:10], v[9:10], v[21:22], v[23:24]
	v_fma_f64 v[11:12], v[23:24], v[9:10], v[21:22]
	v_div_scale_f64 v[21:22], s[10:11], v[11:12], v[11:12], 1.0
	v_rcp_f64_e32 v[23:24], v[21:22]
	v_fma_f64 v[31:32], -v[21:22], v[23:24], 1.0
	v_fma_f64 v[23:24], v[23:24], v[31:32], v[23:24]
	v_div_scale_f64 v[31:32], vcc, 1.0, v[11:12], 1.0
	v_fma_f64 v[33:34], -v[21:22], v[23:24], 1.0
	v_fma_f64 v[23:24], v[23:24], v[33:34], v[23:24]
	v_mul_f64 v[33:34], v[31:32], v[23:24]
	v_fma_f64 v[21:22], -v[21:22], v[33:34], v[31:32]
	v_div_fmas_f64 v[21:22], v[21:22], v[23:24], v[33:34]
	v_fma_f64 v[23:24], v[19:20], v[9:10], v[17:18]
	v_fma_f64 v[17:18], -v[17:18], v[9:10], v[19:20]
	v_div_fixup_f64 v[11:12], v[21:22], v[11:12], 1.0
	v_mul_f64 v[9:10], v[23:24], v[11:12]
	v_mul_f64 v[11:12], v[17:18], v[11:12]
.LBB218_20:                             ;   in Loop: Header=BB218_14 Depth=1
	s_sub_i32 s18, s18, s16
	s_add_i32 s18, s18, s16
	v_mov_b32_e32 v17, s18
	ds_read_b128 v[21:24], v17 offset:16
	ds_read_b128 v[17:20], v17 offset:272
	s_mov_b64 s[10:11], -1
	ds_write_b128 v30, v[9:12]
	s_waitcnt lgkmcnt(2)
	v_mul_f64 v[31:32], v[11:12], v[23:24]
	v_mul_f64 v[23:24], v[9:10], v[23:24]
	s_waitcnt lgkmcnt(1)
	v_cmp_ngt_f64_e64 s[22:23], |v[17:18]|, |v[19:20]|
	v_fma_f64 v[31:32], v[9:10], v[21:22], -v[31:32]
	v_fma_f64 v[23:24], v[11:12], v[21:22], v[23:24]
	s_and_b64 vcc, exec, s[22:23]
	v_add_f64 v[21:22], v[13:14], -v[31:32]
	v_add_f64 v[23:24], v[15:16], -v[23:24]
                                        ; implicit-def: $vgpr15_vgpr16
	s_cbranch_vccz .LBB218_22
; %bb.21:                               ;   in Loop: Header=BB218_14 Depth=1
	v_div_scale_f64 v[13:14], s[10:11], v[19:20], v[19:20], v[17:18]
	v_rcp_f64_e32 v[15:16], v[13:14]
	v_fma_f64 v[30:31], -v[13:14], v[15:16], 1.0
	v_fma_f64 v[15:16], v[15:16], v[30:31], v[15:16]
	v_div_scale_f64 v[30:31], vcc, v[17:18], v[19:20], v[17:18]
	v_fma_f64 v[32:33], -v[13:14], v[15:16], 1.0
	v_fma_f64 v[15:16], v[15:16], v[32:33], v[15:16]
	v_mul_f64 v[32:33], v[30:31], v[15:16]
	v_fma_f64 v[13:14], -v[13:14], v[32:33], v[30:31]
	v_div_fmas_f64 v[13:14], v[13:14], v[15:16], v[32:33]
	v_div_fixup_f64 v[13:14], v[13:14], v[19:20], v[17:18]
	v_fma_f64 v[15:16], v[17:18], v[13:14], v[19:20]
	v_div_scale_f64 v[30:31], s[10:11], v[15:16], v[15:16], 1.0
	s_mov_b64 s[10:11], 0
	v_rcp_f64_e32 v[32:33], v[30:31]
	v_fma_f64 v[34:35], -v[30:31], v[32:33], 1.0
	v_fma_f64 v[32:33], v[32:33], v[34:35], v[32:33]
	v_div_scale_f64 v[34:35], vcc, 1.0, v[15:16], 1.0
	v_fma_f64 v[36:37], -v[30:31], v[32:33], 1.0
	v_fma_f64 v[32:33], v[32:33], v[36:37], v[32:33]
	v_mul_f64 v[36:37], v[34:35], v[32:33]
	v_fma_f64 v[30:31], -v[30:31], v[36:37], v[34:35]
	v_div_fmas_f64 v[30:31], v[30:31], v[32:33], v[36:37]
	v_fma_f64 v[32:33], v[13:14], v[21:22], v[23:24]
	v_div_fixup_f64 v[15:16], v[30:31], v[15:16], 1.0
	v_fma_f64 v[30:31], v[13:14], v[23:24], -v[21:22]
	v_mul_f64 v[13:14], v[32:33], v[15:16]
	v_mul_f64 v[15:16], v[30:31], v[15:16]
.LBB218_22:                             ;   in Loop: Header=BB218_14 Depth=1
	s_andn2_b64 vcc, exec, s[10:11]
	s_cbranch_vccnz .LBB218_24
; %bb.23:                               ;   in Loop: Header=BB218_14 Depth=1
	v_div_scale_f64 v[13:14], s[10:11], v[17:18], v[17:18], v[19:20]
	v_rcp_f64_e32 v[15:16], v[13:14]
	v_fma_f64 v[30:31], -v[13:14], v[15:16], 1.0
	v_fma_f64 v[15:16], v[15:16], v[30:31], v[15:16]
	v_div_scale_f64 v[30:31], vcc, v[19:20], v[17:18], v[19:20]
	v_fma_f64 v[32:33], -v[13:14], v[15:16], 1.0
	v_fma_f64 v[15:16], v[15:16], v[32:33], v[15:16]
	v_mul_f64 v[32:33], v[30:31], v[15:16]
	v_fma_f64 v[13:14], -v[13:14], v[32:33], v[30:31]
	v_div_fmas_f64 v[13:14], v[13:14], v[15:16], v[32:33]
	v_div_fixup_f64 v[13:14], v[13:14], v[17:18], v[19:20]
	v_fma_f64 v[15:16], v[19:20], v[13:14], v[17:18]
	v_div_scale_f64 v[17:18], s[10:11], v[15:16], v[15:16], 1.0
	v_rcp_f64_e32 v[19:20], v[17:18]
	v_fma_f64 v[30:31], -v[17:18], v[19:20], 1.0
	v_fma_f64 v[19:20], v[19:20], v[30:31], v[19:20]
	v_div_scale_f64 v[30:31], vcc, 1.0, v[15:16], 1.0
	v_fma_f64 v[32:33], -v[17:18], v[19:20], 1.0
	v_fma_f64 v[19:20], v[19:20], v[32:33], v[19:20]
	v_mul_f64 v[32:33], v[30:31], v[19:20]
	v_fma_f64 v[17:18], -v[17:18], v[32:33], v[30:31]
	v_div_fmas_f64 v[17:18], v[17:18], v[19:20], v[32:33]
	v_fma_f64 v[19:20], v[13:14], v[23:24], v[21:22]
	v_div_fixup_f64 v[15:16], v[17:18], v[15:16], 1.0
	v_fma_f64 v[17:18], -v[13:14], v[21:22], v[23:24]
	v_mul_f64 v[13:14], v[19:20], v[15:16]
	v_mul_f64 v[15:16], v[17:18], v[15:16]
.LBB218_24:                             ;   in Loop: Header=BB218_14 Depth=1
	v_mov_b32_e32 v21, s18
	ds_read_b128 v[17:20], v21 offset:32
	s_add_i32 s22, s18, 0x110
	s_sub_i32 s19, s22, s19
	s_add_i32 s19, s19, s16
	v_mov_b32_e32 v30, s19
	ds_read_b128 v[30:33], v30 offset:32
	s_waitcnt lgkmcnt(1)
	v_mul_f64 v[34:35], v[11:12], v[19:20]
	v_mul_f64 v[19:20], v[9:10], v[19:20]
	ds_read_b128 v[21:24], v21 offset:544
	s_mov_b64 s[10:11], -1
	s_waitcnt lgkmcnt(1)
	v_mul_f64 v[36:37], v[15:16], v[32:33]
	v_mul_f64 v[32:33], v[13:14], v[32:33]
	ds_write_b128 v29, v[13:16]
	s_waitcnt lgkmcnt(1)
	v_cmp_ngt_f64_e64 s[26:27], |v[21:22]|, |v[23:24]|
	v_fma_f64 v[34:35], v[9:10], v[17:18], -v[34:35]
	v_fma_f64 v[17:18], v[11:12], v[17:18], v[19:20]
	v_fma_f64 v[19:20], v[13:14], v[30:31], -v[36:37]
	v_fma_f64 v[30:31], v[15:16], v[30:31], v[32:33]
	s_and_b64 vcc, exec, s[26:27]
	v_add_f64 v[5:6], v[5:6], -v[34:35]
	v_add_f64 v[7:8], v[7:8], -v[17:18]
	;; [unrolled: 1-line block ×4, first 2 shown]
                                        ; implicit-def: $vgpr19_vgpr20
	s_cbranch_vccz .LBB218_26
; %bb.25:                               ;   in Loop: Header=BB218_14 Depth=1
	v_div_scale_f64 v[17:18], s[10:11], v[23:24], v[23:24], v[21:22]
	v_rcp_f64_e32 v[19:20], v[17:18]
	v_fma_f64 v[29:30], -v[17:18], v[19:20], 1.0
	v_fma_f64 v[19:20], v[19:20], v[29:30], v[19:20]
	v_div_scale_f64 v[29:30], vcc, v[21:22], v[23:24], v[21:22]
	v_fma_f64 v[31:32], -v[17:18], v[19:20], 1.0
	v_fma_f64 v[19:20], v[19:20], v[31:32], v[19:20]
	v_mul_f64 v[31:32], v[29:30], v[19:20]
	v_fma_f64 v[17:18], -v[17:18], v[31:32], v[29:30]
	v_div_fmas_f64 v[17:18], v[17:18], v[19:20], v[31:32]
	v_div_fixup_f64 v[17:18], v[17:18], v[23:24], v[21:22]
	v_fma_f64 v[19:20], v[21:22], v[17:18], v[23:24]
	v_div_scale_f64 v[29:30], s[10:11], v[19:20], v[19:20], 1.0
	s_mov_b64 s[10:11], 0
	v_rcp_f64_e32 v[31:32], v[29:30]
	v_fma_f64 v[33:34], -v[29:30], v[31:32], 1.0
	v_fma_f64 v[31:32], v[31:32], v[33:34], v[31:32]
	v_div_scale_f64 v[33:34], vcc, 1.0, v[19:20], 1.0
	v_fma_f64 v[35:36], -v[29:30], v[31:32], 1.0
	v_fma_f64 v[31:32], v[31:32], v[35:36], v[31:32]
	v_mul_f64 v[35:36], v[33:34], v[31:32]
	v_fma_f64 v[29:30], -v[29:30], v[35:36], v[33:34]
	v_div_fmas_f64 v[29:30], v[29:30], v[31:32], v[35:36]
	v_fma_f64 v[31:32], v[17:18], v[5:6], v[7:8]
	v_div_fixup_f64 v[19:20], v[29:30], v[19:20], 1.0
	v_fma_f64 v[29:30], v[17:18], v[7:8], -v[5:6]
	v_mul_f64 v[17:18], v[31:32], v[19:20]
	v_mul_f64 v[19:20], v[29:30], v[19:20]
.LBB218_26:                             ;   in Loop: Header=BB218_14 Depth=1
	s_andn2_b64 vcc, exec, s[10:11]
	s_cbranch_vccnz .LBB218_28
; %bb.27:                               ;   in Loop: Header=BB218_14 Depth=1
	v_div_scale_f64 v[17:18], s[10:11], v[21:22], v[21:22], v[23:24]
	v_rcp_f64_e32 v[19:20], v[17:18]
	v_fma_f64 v[29:30], -v[17:18], v[19:20], 1.0
	v_fma_f64 v[19:20], v[19:20], v[29:30], v[19:20]
	v_div_scale_f64 v[29:30], vcc, v[23:24], v[21:22], v[23:24]
	v_fma_f64 v[31:32], -v[17:18], v[19:20], 1.0
	v_fma_f64 v[19:20], v[19:20], v[31:32], v[19:20]
	v_mul_f64 v[31:32], v[29:30], v[19:20]
	v_fma_f64 v[17:18], -v[17:18], v[31:32], v[29:30]
	v_div_fmas_f64 v[17:18], v[17:18], v[19:20], v[31:32]
	v_div_fixup_f64 v[17:18], v[17:18], v[21:22], v[23:24]
	v_fma_f64 v[19:20], v[23:24], v[17:18], v[21:22]
	v_div_scale_f64 v[21:22], s[10:11], v[19:20], v[19:20], 1.0
	v_rcp_f64_e32 v[23:24], v[21:22]
	v_fma_f64 v[29:30], -v[21:22], v[23:24], 1.0
	v_fma_f64 v[23:24], v[23:24], v[29:30], v[23:24]
	v_div_scale_f64 v[29:30], vcc, 1.0, v[19:20], 1.0
	v_fma_f64 v[31:32], -v[21:22], v[23:24], 1.0
	v_fma_f64 v[23:24], v[23:24], v[31:32], v[23:24]
	v_mul_f64 v[31:32], v[29:30], v[23:24]
	v_fma_f64 v[21:22], -v[21:22], v[31:32], v[29:30]
	v_div_fmas_f64 v[21:22], v[21:22], v[23:24], v[31:32]
	v_fma_f64 v[23:24], v[17:18], v[7:8], v[5:6]
	v_fma_f64 v[5:6], -v[17:18], v[5:6], v[7:8]
	v_div_fixup_f64 v[19:20], v[21:22], v[19:20], 1.0
	v_mul_f64 v[17:18], v[23:24], v[19:20]
	v_mul_f64 v[19:20], v[5:6], v[19:20]
.LBB218_28:                             ;   in Loop: Header=BB218_14 Depth=1
	v_mov_b32_e32 v5, s18
	ds_read_b128 v[21:24], v5 offset:48
	v_mov_b32_e32 v6, s19
	ds_read_b128 v[29:32], v6 offset:48
	ds_read_b128 v[5:8], v5 offset:816
	s_sub_i32 s10, s22, s17
	s_add_i32 s10, s10, s16
	s_waitcnt lgkmcnt(2)
	v_mul_f64 v[37:38], v[11:12], v[23:24]
	v_mul_f64 v[23:24], v[9:10], v[23:24]
	s_waitcnt lgkmcnt(1)
	v_mul_f64 v[39:40], v[15:16], v[31:32]
	v_mul_f64 v[31:32], v[13:14], v[31:32]
	v_mov_b32_e32 v33, s10
	ds_read_b128 v[33:36], v33 offset:320
	s_waitcnt lgkmcnt(1)
	v_cmp_ngt_f64_e64 s[16:17], |v[5:6]|, |v[7:8]|
	s_mov_b64 s[10:11], -1
	v_fma_f64 v[9:10], v[9:10], v[21:22], -v[37:38]
	v_fma_f64 v[11:12], v[11:12], v[21:22], v[23:24]
	s_waitcnt lgkmcnt(0)
	v_mul_f64 v[21:22], v[19:20], v[35:36]
	v_mul_f64 v[23:24], v[17:18], v[35:36]
	v_fma_f64 v[13:14], v[13:14], v[29:30], -v[39:40]
	v_fma_f64 v[15:16], v[15:16], v[29:30], v[31:32]
	s_and_b64 vcc, exec, s[16:17]
	ds_write_b128 v28, v[17:20]
	v_add_f64 v[1:2], v[1:2], -v[9:10]
	v_add_f64 v[3:4], v[3:4], -v[11:12]
	v_fma_f64 v[9:10], v[17:18], v[33:34], -v[21:22]
	v_fma_f64 v[11:12], v[19:20], v[33:34], v[23:24]
	v_add_f64 v[1:2], v[1:2], -v[13:14]
	v_add_f64 v[3:4], v[3:4], -v[15:16]
	v_add_f64 v[9:10], v[1:2], -v[9:10]
	v_add_f64 v[11:12], v[3:4], -v[11:12]
                                        ; implicit-def: $vgpr3_vgpr4
	s_cbranch_vccz .LBB218_30
; %bb.29:                               ;   in Loop: Header=BB218_14 Depth=1
	v_div_scale_f64 v[1:2], s[10:11], v[7:8], v[7:8], v[5:6]
	v_rcp_f64_e32 v[3:4], v[1:2]
	v_fma_f64 v[13:14], -v[1:2], v[3:4], 1.0
	v_fma_f64 v[3:4], v[3:4], v[13:14], v[3:4]
	v_div_scale_f64 v[13:14], vcc, v[5:6], v[7:8], v[5:6]
	v_fma_f64 v[15:16], -v[1:2], v[3:4], 1.0
	v_fma_f64 v[3:4], v[3:4], v[15:16], v[3:4]
	v_mul_f64 v[15:16], v[13:14], v[3:4]
	v_fma_f64 v[1:2], -v[1:2], v[15:16], v[13:14]
	v_div_fmas_f64 v[1:2], v[1:2], v[3:4], v[15:16]
	v_div_fixup_f64 v[1:2], v[1:2], v[7:8], v[5:6]
	v_fma_f64 v[3:4], v[5:6], v[1:2], v[7:8]
	v_div_scale_f64 v[13:14], s[10:11], v[3:4], v[3:4], 1.0
	s_mov_b64 s[10:11], 0
	v_rcp_f64_e32 v[15:16], v[13:14]
	v_fma_f64 v[17:18], -v[13:14], v[15:16], 1.0
	v_fma_f64 v[15:16], v[15:16], v[17:18], v[15:16]
	v_div_scale_f64 v[17:18], vcc, 1.0, v[3:4], 1.0
	v_fma_f64 v[19:20], -v[13:14], v[15:16], 1.0
	v_fma_f64 v[15:16], v[15:16], v[19:20], v[15:16]
	v_mul_f64 v[19:20], v[17:18], v[15:16]
	v_fma_f64 v[13:14], -v[13:14], v[19:20], v[17:18]
	v_div_fmas_f64 v[13:14], v[13:14], v[15:16], v[19:20]
	v_fma_f64 v[15:16], v[1:2], v[9:10], v[11:12]
	v_div_fixup_f64 v[3:4], v[13:14], v[3:4], 1.0
	v_fma_f64 v[13:14], v[1:2], v[11:12], -v[9:10]
	v_mul_f64 v[1:2], v[15:16], v[3:4]
	v_mul_f64 v[3:4], v[13:14], v[3:4]
.LBB218_30:                             ;   in Loop: Header=BB218_14 Depth=1
	s_andn2_b64 vcc, exec, s[10:11]
	s_cbranch_vccnz .LBB218_32
; %bb.31:                               ;   in Loop: Header=BB218_14 Depth=1
	v_div_scale_f64 v[1:2], s[10:11], v[5:6], v[5:6], v[7:8]
	v_rcp_f64_e32 v[3:4], v[1:2]
	v_fma_f64 v[13:14], -v[1:2], v[3:4], 1.0
	v_fma_f64 v[3:4], v[3:4], v[13:14], v[3:4]
	v_div_scale_f64 v[13:14], vcc, v[7:8], v[5:6], v[7:8]
	v_fma_f64 v[15:16], -v[1:2], v[3:4], 1.0
	v_fma_f64 v[3:4], v[3:4], v[15:16], v[3:4]
	v_mul_f64 v[15:16], v[13:14], v[3:4]
	v_fma_f64 v[1:2], -v[1:2], v[15:16], v[13:14]
	v_div_fmas_f64 v[1:2], v[1:2], v[3:4], v[15:16]
	v_div_fixup_f64 v[1:2], v[1:2], v[5:6], v[7:8]
	v_fma_f64 v[3:4], v[7:8], v[1:2], v[5:6]
	v_div_scale_f64 v[5:6], s[10:11], v[3:4], v[3:4], 1.0
	v_rcp_f64_e32 v[7:8], v[5:6]
	v_fma_f64 v[13:14], -v[5:6], v[7:8], 1.0
	v_fma_f64 v[7:8], v[7:8], v[13:14], v[7:8]
	v_div_scale_f64 v[13:14], vcc, 1.0, v[3:4], 1.0
	v_fma_f64 v[15:16], -v[5:6], v[7:8], 1.0
	v_fma_f64 v[7:8], v[7:8], v[15:16], v[7:8]
	v_mul_f64 v[15:16], v[13:14], v[7:8]
	v_fma_f64 v[5:6], -v[5:6], v[15:16], v[13:14]
	v_div_fmas_f64 v[5:6], v[5:6], v[7:8], v[15:16]
	v_fma_f64 v[7:8], v[1:2], v[11:12], v[9:10]
	v_div_fixup_f64 v[3:4], v[5:6], v[3:4], 1.0
	v_fma_f64 v[5:6], -v[1:2], v[9:10], v[11:12]
	v_mul_f64 v[1:2], v[7:8], v[3:4]
	v_mul_f64 v[3:4], v[5:6], v[3:4]
.LBB218_32:                             ;   in Loop: Header=BB218_14 Depth=1
	s_add_i32 s16, s15, 4
	s_add_i32 s10, s15, 7
	;; [unrolled: 1-line block ×3, first 2 shown]
	s_cmp_ge_i32 s10, s25
	ds_write_b128 v27, v[1:4]
	s_cbranch_scc1 .LBB218_34
; %bb.33:                               ;   in Loop: Header=BB218_14 Depth=1
	s_mov_b32 s15, s16
	s_branch .LBB218_14
.LBB218_34:
	s_cmp_ge_i32 s16, s25
	s_cbranch_scc1 .LBB218_43
; %bb.35:
	v_mov_b32_e32 v1, 0x1000
	s_lshl_b32 s14, s16, 4
	v_lshl_or_b32 v13, v0, 4, v1
	s_branch .LBB218_37
.LBB218_36:                             ;   in Loop: Header=BB218_37 Depth=1
	s_add_i32 s16, s16, 1
	s_add_i32 s14, s14, 16
	s_cmp_ge_i32 s16, s25
	ds_write_b128 v14, v[9:12]
	s_cbranch_scc1 .LBB218_43
.LBB218_37:                             ; =>This Loop Header: Depth=1
                                        ;     Child Loop BB218_38 Depth 2
	s_lshl_b32 s10, s16, 8
	v_add_u32_e32 v14, s10, v25
	ds_read_b128 v[1:4], v14
	s_cmp_eq_u32 s16, 0
	v_mov_b32_e32 v5, v13
	s_mov_b32 s11, s14
	s_mov_b32 s15, s16
	s_cbranch_scc1 .LBB218_39
.LBB218_38:                             ;   Parent Loop BB218_37 Depth=1
                                        ; =>  This Inner Loop Header: Depth=2
	v_mov_b32_e32 v10, s11
	ds_read_b128 v[6:9], v5
	ds_read_b128 v[15:18], v10
	s_add_i32 s15, s15, -1
	s_addk_i32 s11, 0x100
	s_cmp_eq_u32 s15, 0
	v_add_u32_e32 v5, 0x100, v5
	s_waitcnt lgkmcnt(0)
	v_mul_f64 v[10:11], v[17:18], v[8:9]
	v_mul_f64 v[8:9], v[15:16], v[8:9]
	v_fma_f64 v[10:11], v[15:16], v[6:7], -v[10:11]
	v_fma_f64 v[6:7], v[17:18], v[6:7], v[8:9]
	v_add_f64 v[1:2], v[1:2], -v[10:11]
	v_add_f64 v[3:4], v[3:4], -v[6:7]
	s_cbranch_scc0 .LBB218_38
.LBB218_39:                             ;   in Loop: Header=BB218_37 Depth=1
	s_lshl_b32 s11, s16, 4
	s_add_i32 s10, s11, s10
	v_mov_b32_e32 v5, s10
	ds_read_b128 v[5:8], v5
	s_mov_b64 s[10:11], -1
                                        ; implicit-def: $vgpr9_vgpr10
	s_waitcnt lgkmcnt(0)
	v_cmp_ngt_f64_e64 s[18:19], |v[5:6]|, |v[7:8]|
	s_and_b64 vcc, exec, s[18:19]
	s_cbranch_vccz .LBB218_41
; %bb.40:                               ;   in Loop: Header=BB218_37 Depth=1
	v_div_scale_f64 v[9:10], s[10:11], v[7:8], v[7:8], v[5:6]
	v_rcp_f64_e32 v[11:12], v[9:10]
	v_fma_f64 v[15:16], -v[9:10], v[11:12], 1.0
	v_fma_f64 v[11:12], v[11:12], v[15:16], v[11:12]
	v_div_scale_f64 v[15:16], vcc, v[5:6], v[7:8], v[5:6]
	v_fma_f64 v[17:18], -v[9:10], v[11:12], 1.0
	v_fma_f64 v[11:12], v[11:12], v[17:18], v[11:12]
	v_mul_f64 v[17:18], v[15:16], v[11:12]
	v_fma_f64 v[9:10], -v[9:10], v[17:18], v[15:16]
	v_div_fmas_f64 v[9:10], v[9:10], v[11:12], v[17:18]
	v_div_fixup_f64 v[9:10], v[9:10], v[7:8], v[5:6]
	v_fma_f64 v[11:12], v[5:6], v[9:10], v[7:8]
	v_div_scale_f64 v[15:16], s[10:11], v[11:12], v[11:12], 1.0
	s_mov_b64 s[10:11], 0
	v_rcp_f64_e32 v[17:18], v[15:16]
	v_fma_f64 v[19:20], -v[15:16], v[17:18], 1.0
	v_fma_f64 v[17:18], v[17:18], v[19:20], v[17:18]
	v_div_scale_f64 v[19:20], vcc, 1.0, v[11:12], 1.0
	v_fma_f64 v[21:22], -v[15:16], v[17:18], 1.0
	v_fma_f64 v[17:18], v[17:18], v[21:22], v[17:18]
	v_mul_f64 v[21:22], v[19:20], v[17:18]
	v_fma_f64 v[15:16], -v[15:16], v[21:22], v[19:20]
	v_div_fmas_f64 v[15:16], v[15:16], v[17:18], v[21:22]
	v_fma_f64 v[17:18], v[1:2], v[9:10], v[3:4]
	v_div_fixup_f64 v[11:12], v[15:16], v[11:12], 1.0
	v_fma_f64 v[15:16], v[3:4], v[9:10], -v[1:2]
	v_mul_f64 v[9:10], v[17:18], v[11:12]
	v_mul_f64 v[11:12], v[15:16], v[11:12]
.LBB218_41:                             ;   in Loop: Header=BB218_37 Depth=1
	s_andn2_b64 vcc, exec, s[10:11]
	s_cbranch_vccnz .LBB218_36
; %bb.42:                               ;   in Loop: Header=BB218_37 Depth=1
	v_div_scale_f64 v[9:10], s[10:11], v[5:6], v[5:6], v[7:8]
	v_rcp_f64_e32 v[11:12], v[9:10]
	v_fma_f64 v[15:16], -v[9:10], v[11:12], 1.0
	v_fma_f64 v[11:12], v[11:12], v[15:16], v[11:12]
	v_div_scale_f64 v[15:16], vcc, v[7:8], v[5:6], v[7:8]
	v_fma_f64 v[17:18], -v[9:10], v[11:12], 1.0
	v_fma_f64 v[11:12], v[11:12], v[17:18], v[11:12]
	v_mul_f64 v[17:18], v[15:16], v[11:12]
	v_fma_f64 v[9:10], -v[9:10], v[17:18], v[15:16]
	v_div_fmas_f64 v[9:10], v[9:10], v[11:12], v[17:18]
	v_div_fixup_f64 v[9:10], v[9:10], v[5:6], v[7:8]
	v_fma_f64 v[5:6], v[7:8], v[9:10], v[5:6]
	v_div_scale_f64 v[7:8], s[10:11], v[5:6], v[5:6], 1.0
	v_rcp_f64_e32 v[11:12], v[7:8]
	v_fma_f64 v[15:16], -v[7:8], v[11:12], 1.0
	v_fma_f64 v[11:12], v[11:12], v[15:16], v[11:12]
	v_div_scale_f64 v[15:16], vcc, 1.0, v[5:6], 1.0
	v_fma_f64 v[17:18], -v[7:8], v[11:12], 1.0
	v_fma_f64 v[11:12], v[11:12], v[17:18], v[11:12]
	v_mul_f64 v[17:18], v[15:16], v[11:12]
	v_fma_f64 v[7:8], -v[7:8], v[17:18], v[15:16]
	v_div_fmas_f64 v[7:8], v[7:8], v[11:12], v[17:18]
	v_fma_f64 v[11:12], v[3:4], v[9:10], v[1:2]
	v_fma_f64 v[1:2], -v[1:2], v[9:10], v[3:4]
	v_div_fixup_f64 v[5:6], v[7:8], v[5:6], 1.0
	v_mul_f64 v[9:10], v[11:12], v[5:6]
	v_mul_f64 v[11:12], v[1:2], v[5:6]
	s_branch .LBB218_36
.LBB218_43:
	s_mov_b64 s[10:11], 0
.LBB218_44:
	s_and_b64 vcc, exec, s[10:11]
	s_cbranch_vccz .LBB218_76
; %bb.45:
	s_andn2_b64 vcc, exec, s[8:9]
	s_mov_b32 s16, s13
	s_cbranch_vccnz .LBB218_67
; %bb.46:
	v_lshlrev_b32_e32 v1, 4, v0
	s_mul_i32 s10, s25, 0x110
	v_lshl_or_b32 v1, s25, 8, v1
	s_add_i32 s14, s10, 0xfffffec0
	v_add_u32_e32 v26, 0xf00, v1
	s_mov_b32 s15, s13
.LBB218_47:                             ; =>This Loop Header: Depth=1
                                        ;     Child Loop BB218_48 Depth 2
	s_add_i32 s18, s15, -2
	s_add_i32 s16, s15, -3
	v_lshl_add_u32 v30, s15, 8, v25
	s_add_i32 s23, s15, -1
	v_lshl_add_u32 v28, s18, 8, v25
	s_lshl_b32 s10, s16, 8
	v_lshl_add_u32 v29, s23, 8, v25
	ds_read_b128 v[17:20], v30
	ds_read_b128 v[13:16], v29
	v_add_u32_e32 v27, s10, v25
	ds_read_b128 v[5:8], v28
	ds_read_b128 v[1:4], v27
	s_cmp_le_i32 s13, s15
	v_mov_b32_e32 v9, v26
	s_mov_b32 s10, s14
	s_mov_b32 s11, s13
	s_cbranch_scc1 .LBB218_49
.LBB218_48:                             ;   Parent Loop BB218_47 Depth=1
                                        ; =>  This Inner Loop Header: Depth=2
	v_mov_b32_e32 v10, s10
	ds_read_b128 v[21:24], v9
	ds_read_b128 v[31:34], v10 offset:48
	ds_read_b128 v[35:38], v10 offset:32
	ds_read_b128 v[39:42], v10
	ds_read_b128 v[43:46], v10 offset:16
	s_add_i32 s11, s11, -1
	s_addk_i32 s10, 0xff00
	s_cmp_le_i32 s11, s15
	s_waitcnt lgkmcnt(3)
	v_mul_f64 v[10:11], v[23:24], v[33:34]
	v_mul_f64 v[33:34], v[21:22], v[33:34]
	s_waitcnt lgkmcnt(2)
	v_mul_f64 v[47:48], v[23:24], v[37:38]
	v_mul_f64 v[37:38], v[21:22], v[37:38]
	;; [unrolled: 3-line block ×3, first 2 shown]
	v_mul_f64 v[51:52], v[23:24], v[41:42]
	v_mul_f64 v[41:42], v[21:22], v[41:42]
	v_fma_f64 v[10:11], v[21:22], v[31:32], -v[10:11]
	v_fma_f64 v[31:32], v[23:24], v[31:32], v[33:34]
	v_fma_f64 v[33:34], v[21:22], v[35:36], -v[47:48]
	v_fma_f64 v[35:36], v[23:24], v[35:36], v[37:38]
	;; [unrolled: 2-line block ×4, first 2 shown]
	v_add_f64 v[17:18], v[17:18], -v[10:11]
	v_add_f64 v[19:20], v[19:20], -v[31:32]
	;; [unrolled: 1-line block ×8, first 2 shown]
	v_add_u32_e32 v9, 0xffffff00, v9
	s_cbranch_scc0 .LBB218_48
.LBB218_49:                             ;   in Loop: Header=BB218_47 Depth=1
	s_lshl_b32 s22, s15, 4
	s_lshl_b32 s10, s15, 8
	s_add_i32 s19, s22, s10
	v_mov_b32_e32 v9, s19
	ds_read_b128 v[21:24], v9
	s_lshl_b32 s26, s23, 4
	s_lshl_b32 s17, s18, 4
	s_mov_b64 s[10:11], -1
                                        ; implicit-def: $vgpr11_vgpr12
	s_waitcnt lgkmcnt(0)
	v_cmp_ngt_f64_e64 s[28:29], |v[21:22]|, |v[23:24]|
	s_and_b64 vcc, exec, s[28:29]
	s_cbranch_vccz .LBB218_51
; %bb.50:                               ;   in Loop: Header=BB218_47 Depth=1
	v_div_scale_f64 v[9:10], s[10:11], v[23:24], v[23:24], v[21:22]
	v_rcp_f64_e32 v[11:12], v[9:10]
	v_fma_f64 v[31:32], -v[9:10], v[11:12], 1.0
	v_fma_f64 v[11:12], v[11:12], v[31:32], v[11:12]
	v_div_scale_f64 v[31:32], vcc, v[21:22], v[23:24], v[21:22]
	v_fma_f64 v[33:34], -v[9:10], v[11:12], 1.0
	v_fma_f64 v[11:12], v[11:12], v[33:34], v[11:12]
	v_mul_f64 v[33:34], v[31:32], v[11:12]
	v_fma_f64 v[9:10], -v[9:10], v[33:34], v[31:32]
	v_div_fmas_f64 v[9:10], v[9:10], v[11:12], v[33:34]
	v_div_fixup_f64 v[9:10], v[9:10], v[23:24], v[21:22]
	v_fma_f64 v[11:12], v[21:22], v[9:10], v[23:24]
	v_div_scale_f64 v[31:32], s[10:11], v[11:12], v[11:12], 1.0
	s_mov_b64 s[10:11], 0
	v_rcp_f64_e32 v[33:34], v[31:32]
	v_fma_f64 v[35:36], -v[31:32], v[33:34], 1.0
	v_fma_f64 v[33:34], v[33:34], v[35:36], v[33:34]
	v_div_scale_f64 v[35:36], vcc, 1.0, v[11:12], 1.0
	v_fma_f64 v[37:38], -v[31:32], v[33:34], 1.0
	v_fma_f64 v[33:34], v[33:34], v[37:38], v[33:34]
	v_mul_f64 v[37:38], v[35:36], v[33:34]
	v_fma_f64 v[31:32], -v[31:32], v[37:38], v[35:36]
	v_div_fmas_f64 v[31:32], v[31:32], v[33:34], v[37:38]
	v_fma_f64 v[33:34], v[17:18], v[9:10], v[19:20]
	v_div_fixup_f64 v[11:12], v[31:32], v[11:12], 1.0
	v_fma_f64 v[31:32], v[19:20], v[9:10], -v[17:18]
	v_mul_f64 v[9:10], v[33:34], v[11:12]
	v_mul_f64 v[11:12], v[31:32], v[11:12]
.LBB218_51:                             ;   in Loop: Header=BB218_47 Depth=1
	s_andn2_b64 vcc, exec, s[10:11]
	s_cbranch_vccnz .LBB218_53
; %bb.52:                               ;   in Loop: Header=BB218_47 Depth=1
	v_div_scale_f64 v[9:10], s[10:11], v[21:22], v[21:22], v[23:24]
	v_rcp_f64_e32 v[11:12], v[9:10]
	v_fma_f64 v[31:32], -v[9:10], v[11:12], 1.0
	v_fma_f64 v[11:12], v[11:12], v[31:32], v[11:12]
	v_div_scale_f64 v[31:32], vcc, v[23:24], v[21:22], v[23:24]
	v_fma_f64 v[33:34], -v[9:10], v[11:12], 1.0
	v_fma_f64 v[11:12], v[11:12], v[33:34], v[11:12]
	v_mul_f64 v[33:34], v[31:32], v[11:12]
	v_fma_f64 v[9:10], -v[9:10], v[33:34], v[31:32]
	v_div_fmas_f64 v[9:10], v[9:10], v[11:12], v[33:34]
	v_div_fixup_f64 v[9:10], v[9:10], v[21:22], v[23:24]
	v_fma_f64 v[11:12], v[23:24], v[9:10], v[21:22]
	v_div_scale_f64 v[21:22], s[10:11], v[11:12], v[11:12], 1.0
	v_rcp_f64_e32 v[23:24], v[21:22]
	v_fma_f64 v[31:32], -v[21:22], v[23:24], 1.0
	v_fma_f64 v[23:24], v[23:24], v[31:32], v[23:24]
	v_div_scale_f64 v[31:32], vcc, 1.0, v[11:12], 1.0
	v_fma_f64 v[33:34], -v[21:22], v[23:24], 1.0
	v_fma_f64 v[23:24], v[23:24], v[33:34], v[23:24]
	v_mul_f64 v[33:34], v[31:32], v[23:24]
	v_fma_f64 v[21:22], -v[21:22], v[33:34], v[31:32]
	v_div_fmas_f64 v[21:22], v[21:22], v[23:24], v[33:34]
	v_fma_f64 v[23:24], v[19:20], v[9:10], v[17:18]
	v_fma_f64 v[17:18], -v[17:18], v[9:10], v[19:20]
	v_div_fixup_f64 v[11:12], v[21:22], v[11:12], 1.0
	v_mul_f64 v[9:10], v[23:24], v[11:12]
	v_mul_f64 v[11:12], v[17:18], v[11:12]
.LBB218_53:                             ;   in Loop: Header=BB218_47 Depth=1
	s_add_i32 s11, s19, -16
	v_mov_b32_e32 v17, s11
	ds_read_b128 v[21:24], v17
	s_lshl_b32 s10, s23, 8
	s_add_i32 s23, s22, s10
	s_add_i32 s23, s23, -16
	v_mov_b32_e32 v17, s23
	s_waitcnt lgkmcnt(0)
	v_mul_f64 v[31:32], v[11:12], v[23:24]
	v_mul_f64 v[23:24], v[9:10], v[23:24]
	ds_read_b128 v[17:20], v17
	s_mov_b64 s[10:11], -1
	ds_write_b128 v30, v[9:12]
	s_waitcnt lgkmcnt(1)
	v_cmp_ngt_f64_e64 s[28:29], |v[17:18]|, |v[19:20]|
	v_fma_f64 v[31:32], v[9:10], v[21:22], -v[31:32]
	v_fma_f64 v[23:24], v[11:12], v[21:22], v[23:24]
	s_and_b64 vcc, exec, s[28:29]
	v_add_f64 v[21:22], v[13:14], -v[31:32]
	v_add_f64 v[23:24], v[15:16], -v[23:24]
                                        ; implicit-def: $vgpr15_vgpr16
	s_cbranch_vccz .LBB218_55
; %bb.54:                               ;   in Loop: Header=BB218_47 Depth=1
	v_div_scale_f64 v[13:14], s[10:11], v[19:20], v[19:20], v[17:18]
	v_rcp_f64_e32 v[15:16], v[13:14]
	v_fma_f64 v[30:31], -v[13:14], v[15:16], 1.0
	v_fma_f64 v[15:16], v[15:16], v[30:31], v[15:16]
	v_div_scale_f64 v[30:31], vcc, v[17:18], v[19:20], v[17:18]
	v_fma_f64 v[32:33], -v[13:14], v[15:16], 1.0
	v_fma_f64 v[15:16], v[15:16], v[32:33], v[15:16]
	v_mul_f64 v[32:33], v[30:31], v[15:16]
	v_fma_f64 v[13:14], -v[13:14], v[32:33], v[30:31]
	v_div_fmas_f64 v[13:14], v[13:14], v[15:16], v[32:33]
	v_div_fixup_f64 v[13:14], v[13:14], v[19:20], v[17:18]
	v_fma_f64 v[15:16], v[17:18], v[13:14], v[19:20]
	v_div_scale_f64 v[30:31], s[10:11], v[15:16], v[15:16], 1.0
	s_mov_b64 s[10:11], 0
	v_rcp_f64_e32 v[32:33], v[30:31]
	v_fma_f64 v[34:35], -v[30:31], v[32:33], 1.0
	v_fma_f64 v[32:33], v[32:33], v[34:35], v[32:33]
	v_div_scale_f64 v[34:35], vcc, 1.0, v[15:16], 1.0
	v_fma_f64 v[36:37], -v[30:31], v[32:33], 1.0
	v_fma_f64 v[32:33], v[32:33], v[36:37], v[32:33]
	v_mul_f64 v[36:37], v[34:35], v[32:33]
	v_fma_f64 v[30:31], -v[30:31], v[36:37], v[34:35]
	v_div_fmas_f64 v[30:31], v[30:31], v[32:33], v[36:37]
	v_fma_f64 v[32:33], v[13:14], v[21:22], v[23:24]
	v_div_fixup_f64 v[15:16], v[30:31], v[15:16], 1.0
	v_fma_f64 v[30:31], v[13:14], v[23:24], -v[21:22]
	v_mul_f64 v[13:14], v[32:33], v[15:16]
	v_mul_f64 v[15:16], v[30:31], v[15:16]
.LBB218_55:                             ;   in Loop: Header=BB218_47 Depth=1
	s_andn2_b64 vcc, exec, s[10:11]
	s_cbranch_vccnz .LBB218_57
; %bb.56:                               ;   in Loop: Header=BB218_47 Depth=1
	v_div_scale_f64 v[13:14], s[10:11], v[17:18], v[17:18], v[19:20]
	v_rcp_f64_e32 v[15:16], v[13:14]
	v_fma_f64 v[30:31], -v[13:14], v[15:16], 1.0
	v_fma_f64 v[15:16], v[15:16], v[30:31], v[15:16]
	v_div_scale_f64 v[30:31], vcc, v[19:20], v[17:18], v[19:20]
	v_fma_f64 v[32:33], -v[13:14], v[15:16], 1.0
	v_fma_f64 v[15:16], v[15:16], v[32:33], v[15:16]
	v_mul_f64 v[32:33], v[30:31], v[15:16]
	v_fma_f64 v[13:14], -v[13:14], v[32:33], v[30:31]
	v_div_fmas_f64 v[13:14], v[13:14], v[15:16], v[32:33]
	v_div_fixup_f64 v[13:14], v[13:14], v[17:18], v[19:20]
	v_fma_f64 v[15:16], v[19:20], v[13:14], v[17:18]
	v_div_scale_f64 v[17:18], s[10:11], v[15:16], v[15:16], 1.0
	v_rcp_f64_e32 v[19:20], v[17:18]
	v_fma_f64 v[30:31], -v[17:18], v[19:20], 1.0
	v_fma_f64 v[19:20], v[19:20], v[30:31], v[19:20]
	v_div_scale_f64 v[30:31], vcc, 1.0, v[15:16], 1.0
	v_fma_f64 v[32:33], -v[17:18], v[19:20], 1.0
	v_fma_f64 v[19:20], v[19:20], v[32:33], v[19:20]
	v_mul_f64 v[32:33], v[30:31], v[19:20]
	v_fma_f64 v[17:18], -v[17:18], v[32:33], v[30:31]
	v_div_fmas_f64 v[17:18], v[17:18], v[19:20], v[32:33]
	v_fma_f64 v[19:20], v[13:14], v[23:24], v[21:22]
	v_div_fixup_f64 v[15:16], v[17:18], v[15:16], 1.0
	v_fma_f64 v[17:18], -v[13:14], v[21:22], v[23:24]
	v_mul_f64 v[13:14], v[19:20], v[15:16]
	v_mul_f64 v[15:16], v[17:18], v[15:16]
.LBB218_57:                             ;   in Loop: Header=BB218_47 Depth=1
	s_sub_i32 s10, s19, 32
	v_mov_b32_e32 v17, s10
	ds_read_b128 v[17:20], v17
	s_sub_i32 s23, s23, s26
	s_add_i32 s10, s23, s17
	v_mov_b32_e32 v21, s10
	ds_read_b128 v[21:24], v21
	s_waitcnt lgkmcnt(1)
	v_mul_f64 v[30:31], v[11:12], v[19:20]
	v_mul_f64 v[19:20], v[9:10], v[19:20]
	s_lshl_b32 s10, s18, 8
	s_add_i32 s22, s22, s10
	s_waitcnt lgkmcnt(0)
	v_mul_f64 v[32:33], v[15:16], v[23:24]
	v_mul_f64 v[23:24], v[13:14], v[23:24]
	s_sub_i32 s18, s22, 32
	s_mov_b64 s[10:11], -1
	v_fma_f64 v[30:31], v[9:10], v[17:18], -v[30:31]
	v_fma_f64 v[34:35], v[11:12], v[17:18], v[19:20]
	v_mov_b32_e32 v17, s18
	ds_read_b128 v[17:20], v17
	v_fma_f64 v[32:33], v[13:14], v[21:22], -v[32:33]
	v_fma_f64 v[23:24], v[15:16], v[21:22], v[23:24]
	ds_write_b128 v29, v[13:16]
	s_waitcnt lgkmcnt(1)
	v_cmp_ngt_f64_e64 s[26:27], |v[17:18]|, |v[19:20]|
	v_add_f64 v[5:6], v[5:6], -v[30:31]
	v_add_f64 v[7:8], v[7:8], -v[34:35]
	s_and_b64 vcc, exec, s[26:27]
	v_add_f64 v[21:22], v[5:6], -v[32:33]
	v_add_f64 v[23:24], v[7:8], -v[23:24]
                                        ; implicit-def: $vgpr7_vgpr8
	s_cbranch_vccz .LBB218_59
; %bb.58:                               ;   in Loop: Header=BB218_47 Depth=1
	v_div_scale_f64 v[5:6], s[10:11], v[19:20], v[19:20], v[17:18]
	v_rcp_f64_e32 v[7:8], v[5:6]
	v_fma_f64 v[29:30], -v[5:6], v[7:8], 1.0
	v_fma_f64 v[7:8], v[7:8], v[29:30], v[7:8]
	v_div_scale_f64 v[29:30], vcc, v[17:18], v[19:20], v[17:18]
	v_fma_f64 v[31:32], -v[5:6], v[7:8], 1.0
	v_fma_f64 v[7:8], v[7:8], v[31:32], v[7:8]
	v_mul_f64 v[31:32], v[29:30], v[7:8]
	v_fma_f64 v[5:6], -v[5:6], v[31:32], v[29:30]
	v_div_fmas_f64 v[5:6], v[5:6], v[7:8], v[31:32]
	v_div_fixup_f64 v[5:6], v[5:6], v[19:20], v[17:18]
	v_fma_f64 v[7:8], v[17:18], v[5:6], v[19:20]
	v_div_scale_f64 v[29:30], s[10:11], v[7:8], v[7:8], 1.0
	s_mov_b64 s[10:11], 0
	v_rcp_f64_e32 v[31:32], v[29:30]
	v_fma_f64 v[33:34], -v[29:30], v[31:32], 1.0
	v_fma_f64 v[31:32], v[31:32], v[33:34], v[31:32]
	v_div_scale_f64 v[33:34], vcc, 1.0, v[7:8], 1.0
	v_fma_f64 v[35:36], -v[29:30], v[31:32], 1.0
	v_fma_f64 v[31:32], v[31:32], v[35:36], v[31:32]
	v_mul_f64 v[35:36], v[33:34], v[31:32]
	v_fma_f64 v[29:30], -v[29:30], v[35:36], v[33:34]
	v_div_fmas_f64 v[29:30], v[29:30], v[31:32], v[35:36]
	v_fma_f64 v[31:32], v[5:6], v[21:22], v[23:24]
	v_div_fixup_f64 v[7:8], v[29:30], v[7:8], 1.0
	v_fma_f64 v[29:30], v[5:6], v[23:24], -v[21:22]
	v_mul_f64 v[5:6], v[31:32], v[7:8]
	v_mul_f64 v[7:8], v[29:30], v[7:8]
.LBB218_59:                             ;   in Loop: Header=BB218_47 Depth=1
	s_andn2_b64 vcc, exec, s[10:11]
	s_cbranch_vccnz .LBB218_61
; %bb.60:                               ;   in Loop: Header=BB218_47 Depth=1
	v_div_scale_f64 v[5:6], s[10:11], v[17:18], v[17:18], v[19:20]
	v_rcp_f64_e32 v[7:8], v[5:6]
	v_fma_f64 v[29:30], -v[5:6], v[7:8], 1.0
	v_fma_f64 v[7:8], v[7:8], v[29:30], v[7:8]
	v_div_scale_f64 v[29:30], vcc, v[19:20], v[17:18], v[19:20]
	v_fma_f64 v[31:32], -v[5:6], v[7:8], 1.0
	v_fma_f64 v[7:8], v[7:8], v[31:32], v[7:8]
	v_mul_f64 v[31:32], v[29:30], v[7:8]
	v_fma_f64 v[5:6], -v[5:6], v[31:32], v[29:30]
	v_div_fmas_f64 v[5:6], v[5:6], v[7:8], v[31:32]
	v_div_fixup_f64 v[5:6], v[5:6], v[17:18], v[19:20]
	v_fma_f64 v[7:8], v[19:20], v[5:6], v[17:18]
	v_div_scale_f64 v[17:18], s[10:11], v[7:8], v[7:8], 1.0
	v_rcp_f64_e32 v[19:20], v[17:18]
	v_fma_f64 v[29:30], -v[17:18], v[19:20], 1.0
	v_fma_f64 v[19:20], v[19:20], v[29:30], v[19:20]
	v_div_scale_f64 v[29:30], vcc, 1.0, v[7:8], 1.0
	v_fma_f64 v[31:32], -v[17:18], v[19:20], 1.0
	v_fma_f64 v[19:20], v[19:20], v[31:32], v[19:20]
	v_mul_f64 v[31:32], v[29:30], v[19:20]
	v_fma_f64 v[17:18], -v[17:18], v[31:32], v[29:30]
	v_div_fmas_f64 v[17:18], v[17:18], v[19:20], v[31:32]
	v_fma_f64 v[19:20], v[5:6], v[23:24], v[21:22]
	v_div_fixup_f64 v[7:8], v[17:18], v[7:8], 1.0
	v_fma_f64 v[17:18], -v[5:6], v[21:22], v[23:24]
	v_mul_f64 v[5:6], v[19:20], v[7:8]
	v_mul_f64 v[7:8], v[17:18], v[7:8]
.LBB218_61:                             ;   in Loop: Header=BB218_47 Depth=1
	s_sub_i32 s10, s19, 48
	v_mov_b32_e32 v17, s10
	ds_read_b128 v[17:20], v17
	s_lshl_b32 s10, s16, 4
	s_add_i32 s11, s23, s10
	v_mov_b32_e32 v21, s11
	s_sub_i32 s11, s18, s17
	s_add_i32 s10, s11, s10
	v_mov_b32_e32 v29, s10
	ds_read_b128 v[29:32], v29
	s_waitcnt lgkmcnt(1)
	v_mul_f64 v[33:34], v[11:12], v[19:20]
	v_mul_f64 v[19:20], v[9:10], v[19:20]
	ds_read_b128 v[21:24], v21
	s_add_i32 s16, s18, 0xfffffef0
	s_mov_b64 s[10:11], -1
	ds_write_b128 v28, v[5:8]
	v_fma_f64 v[33:34], v[9:10], v[17:18], -v[33:34]
	v_mov_b32_e32 v9, s16
	v_fma_f64 v[17:18], v[11:12], v[17:18], v[19:20]
	ds_read_b128 v[9:12], v9
	s_waitcnt lgkmcnt(2)
	v_mul_f64 v[35:36], v[15:16], v[23:24]
	v_mul_f64 v[23:24], v[13:14], v[23:24]
	;; [unrolled: 1-line block ×4, first 2 shown]
	v_add_f64 v[1:2], v[1:2], -v[33:34]
	s_waitcnt lgkmcnt(0)
	v_cmp_ngt_f64_e64 s[16:17], |v[9:10]|, |v[11:12]|
	v_add_f64 v[3:4], v[3:4], -v[17:18]
	v_fma_f64 v[13:14], v[13:14], v[21:22], -v[35:36]
	v_fma_f64 v[15:16], v[15:16], v[21:22], v[23:24]
	v_fma_f64 v[17:18], v[5:6], v[29:30], -v[19:20]
	v_fma_f64 v[19:20], v[7:8], v[29:30], v[31:32]
	s_and_b64 vcc, exec, s[16:17]
	v_add_f64 v[1:2], v[1:2], -v[13:14]
	v_add_f64 v[3:4], v[3:4], -v[15:16]
	;; [unrolled: 1-line block ×4, first 2 shown]
                                        ; implicit-def: $vgpr3_vgpr4
	s_cbranch_vccz .LBB218_63
; %bb.62:                               ;   in Loop: Header=BB218_47 Depth=1
	v_div_scale_f64 v[1:2], s[10:11], v[11:12], v[11:12], v[9:10]
	v_rcp_f64_e32 v[3:4], v[1:2]
	v_fma_f64 v[5:6], -v[1:2], v[3:4], 1.0
	v_fma_f64 v[3:4], v[3:4], v[5:6], v[3:4]
	v_div_scale_f64 v[5:6], vcc, v[9:10], v[11:12], v[9:10]
	v_fma_f64 v[7:8], -v[1:2], v[3:4], 1.0
	v_fma_f64 v[3:4], v[3:4], v[7:8], v[3:4]
	v_mul_f64 v[7:8], v[5:6], v[3:4]
	v_fma_f64 v[1:2], -v[1:2], v[7:8], v[5:6]
	v_div_fmas_f64 v[1:2], v[1:2], v[3:4], v[7:8]
	v_div_fixup_f64 v[1:2], v[1:2], v[11:12], v[9:10]
	v_fma_f64 v[3:4], v[9:10], v[1:2], v[11:12]
	v_div_scale_f64 v[5:6], s[10:11], v[3:4], v[3:4], 1.0
	s_mov_b64 s[10:11], 0
	v_rcp_f64_e32 v[7:8], v[5:6]
	v_fma_f64 v[17:18], -v[5:6], v[7:8], 1.0
	v_fma_f64 v[7:8], v[7:8], v[17:18], v[7:8]
	v_div_scale_f64 v[17:18], vcc, 1.0, v[3:4], 1.0
	v_fma_f64 v[19:20], -v[5:6], v[7:8], 1.0
	v_fma_f64 v[7:8], v[7:8], v[19:20], v[7:8]
	v_mul_f64 v[19:20], v[17:18], v[7:8]
	v_fma_f64 v[5:6], -v[5:6], v[19:20], v[17:18]
	v_div_fmas_f64 v[5:6], v[5:6], v[7:8], v[19:20]
	v_fma_f64 v[7:8], v[1:2], v[13:14], v[15:16]
	v_div_fixup_f64 v[3:4], v[5:6], v[3:4], 1.0
	v_fma_f64 v[5:6], v[1:2], v[15:16], -v[13:14]
	v_mul_f64 v[1:2], v[7:8], v[3:4]
	v_mul_f64 v[3:4], v[5:6], v[3:4]
.LBB218_63:                             ;   in Loop: Header=BB218_47 Depth=1
	s_andn2_b64 vcc, exec, s[10:11]
	s_cbranch_vccnz .LBB218_65
; %bb.64:                               ;   in Loop: Header=BB218_47 Depth=1
	v_div_scale_f64 v[1:2], s[10:11], v[9:10], v[9:10], v[11:12]
	v_rcp_f64_e32 v[3:4], v[1:2]
	v_fma_f64 v[5:6], -v[1:2], v[3:4], 1.0
	v_fma_f64 v[3:4], v[3:4], v[5:6], v[3:4]
	v_div_scale_f64 v[5:6], vcc, v[11:12], v[9:10], v[11:12]
	v_fma_f64 v[7:8], -v[1:2], v[3:4], 1.0
	v_fma_f64 v[3:4], v[3:4], v[7:8], v[3:4]
	v_mul_f64 v[7:8], v[5:6], v[3:4]
	v_fma_f64 v[1:2], -v[1:2], v[7:8], v[5:6]
	v_div_fmas_f64 v[1:2], v[1:2], v[3:4], v[7:8]
	v_div_fixup_f64 v[1:2], v[1:2], v[9:10], v[11:12]
	v_fma_f64 v[3:4], v[11:12], v[1:2], v[9:10]
	v_div_scale_f64 v[5:6], s[10:11], v[3:4], v[3:4], 1.0
	v_rcp_f64_e32 v[7:8], v[5:6]
	v_fma_f64 v[9:10], -v[5:6], v[7:8], 1.0
	v_fma_f64 v[7:8], v[7:8], v[9:10], v[7:8]
	v_div_scale_f64 v[9:10], vcc, 1.0, v[3:4], 1.0
	v_fma_f64 v[11:12], -v[5:6], v[7:8], 1.0
	v_fma_f64 v[7:8], v[7:8], v[11:12], v[7:8]
	v_mul_f64 v[11:12], v[9:10], v[7:8]
	v_fma_f64 v[5:6], -v[5:6], v[11:12], v[9:10]
	v_div_fmas_f64 v[5:6], v[5:6], v[7:8], v[11:12]
	v_fma_f64 v[7:8], v[1:2], v[15:16], v[13:14]
	v_div_fixup_f64 v[3:4], v[5:6], v[3:4], 1.0
	v_fma_f64 v[5:6], -v[1:2], v[13:14], v[15:16]
	v_mul_f64 v[1:2], v[7:8], v[3:4]
	v_mul_f64 v[3:4], v[5:6], v[3:4]
.LBB218_65:                             ;   in Loop: Header=BB218_47 Depth=1
	s_add_i32 s16, s15, -4
	s_sub_i32 s14, s14, 64
	s_cmp_lt_i32 s15, 7
	ds_write_b128 v27, v[1:4]
	s_cbranch_scc1 .LBB218_67
; %bb.66:                               ;   in Loop: Header=BB218_47 Depth=1
	s_mov_b32 s15, s16
	s_branch .LBB218_47
.LBB218_67:
	s_cmp_lt_i32 s16, 0
	s_cbranch_scc1 .LBB218_76
; %bb.68:
	s_lshl_b32 s10, s25, 8
	s_lshl_b32 s11, s16, 4
	s_add_i32 s11, s10, s11
	v_lshl_or_b32 v1, v0, 4, s10
	s_add_i32 s14, s11, 0xffffff00
	v_add_u32_e32 v13, 0xf00, v1
	s_branch .LBB218_70
.LBB218_69:                             ;   in Loop: Header=BB218_70 Depth=1
	v_sub_co_u32_e64 v1, s[10:11], s16, 1
	v_readfirstlane_b32 s16, v1
	s_add_i32 s14, s14, -16
	s_and_b64 vcc, exec, s[10:11]
	ds_write_b128 v14, v[9:12]
	s_cbranch_vccnz .LBB218_76
.LBB218_70:                             ; =>This Loop Header: Depth=1
                                        ;     Child Loop BB218_71 Depth 2
	s_lshl_b32 s10, s16, 8
	v_add_u32_e32 v14, s10, v25
	ds_read_b128 v[1:4], v14
	s_cmp_le_i32 s13, s16
	v_mov_b32_e32 v5, v13
	s_mov_b32 s11, s14
	s_mov_b32 s15, s13
	s_cbranch_scc1 .LBB218_72
.LBB218_71:                             ;   Parent Loop BB218_70 Depth=1
                                        ; =>  This Inner Loop Header: Depth=2
	v_mov_b32_e32 v10, s11
	ds_read_b128 v[6:9], v5
	ds_read_b128 v[15:18], v10
	s_add_i32 s15, s15, -1
	s_addk_i32 s11, 0xff00
	s_cmp_le_u32 s15, s16
	v_add_u32_e32 v5, 0xffffff00, v5
	s_waitcnt lgkmcnt(0)
	v_mul_f64 v[10:11], v[17:18], v[8:9]
	v_mul_f64 v[8:9], v[15:16], v[8:9]
	v_fma_f64 v[10:11], v[15:16], v[6:7], -v[10:11]
	v_fma_f64 v[6:7], v[17:18], v[6:7], v[8:9]
	v_add_f64 v[1:2], v[1:2], -v[10:11]
	v_add_f64 v[3:4], v[3:4], -v[6:7]
	s_cbranch_scc0 .LBB218_71
.LBB218_72:                             ;   in Loop: Header=BB218_70 Depth=1
	s_lshl_b32 s11, s16, 4
	s_add_i32 s10, s11, s10
	v_mov_b32_e32 v5, s10
	ds_read_b128 v[5:8], v5
	s_mov_b64 s[10:11], -1
                                        ; implicit-def: $vgpr9_vgpr10
	s_waitcnt lgkmcnt(0)
	v_cmp_ngt_f64_e64 s[18:19], |v[5:6]|, |v[7:8]|
	s_and_b64 vcc, exec, s[18:19]
	s_cbranch_vccz .LBB218_74
; %bb.73:                               ;   in Loop: Header=BB218_70 Depth=1
	v_div_scale_f64 v[9:10], s[10:11], v[7:8], v[7:8], v[5:6]
	v_rcp_f64_e32 v[11:12], v[9:10]
	v_fma_f64 v[15:16], -v[9:10], v[11:12], 1.0
	v_fma_f64 v[11:12], v[11:12], v[15:16], v[11:12]
	v_div_scale_f64 v[15:16], vcc, v[5:6], v[7:8], v[5:6]
	v_fma_f64 v[17:18], -v[9:10], v[11:12], 1.0
	v_fma_f64 v[11:12], v[11:12], v[17:18], v[11:12]
	v_mul_f64 v[17:18], v[15:16], v[11:12]
	v_fma_f64 v[9:10], -v[9:10], v[17:18], v[15:16]
	v_div_fmas_f64 v[9:10], v[9:10], v[11:12], v[17:18]
	v_div_fixup_f64 v[9:10], v[9:10], v[7:8], v[5:6]
	v_fma_f64 v[11:12], v[5:6], v[9:10], v[7:8]
	v_div_scale_f64 v[15:16], s[10:11], v[11:12], v[11:12], 1.0
	s_mov_b64 s[10:11], 0
	v_rcp_f64_e32 v[17:18], v[15:16]
	v_fma_f64 v[19:20], -v[15:16], v[17:18], 1.0
	v_fma_f64 v[17:18], v[17:18], v[19:20], v[17:18]
	v_div_scale_f64 v[19:20], vcc, 1.0, v[11:12], 1.0
	v_fma_f64 v[21:22], -v[15:16], v[17:18], 1.0
	v_fma_f64 v[17:18], v[17:18], v[21:22], v[17:18]
	v_mul_f64 v[21:22], v[19:20], v[17:18]
	v_fma_f64 v[15:16], -v[15:16], v[21:22], v[19:20]
	v_div_fmas_f64 v[15:16], v[15:16], v[17:18], v[21:22]
	v_fma_f64 v[17:18], v[1:2], v[9:10], v[3:4]
	v_div_fixup_f64 v[11:12], v[15:16], v[11:12], 1.0
	v_fma_f64 v[15:16], v[3:4], v[9:10], -v[1:2]
	v_mul_f64 v[9:10], v[17:18], v[11:12]
	v_mul_f64 v[11:12], v[15:16], v[11:12]
.LBB218_74:                             ;   in Loop: Header=BB218_70 Depth=1
	s_andn2_b64 vcc, exec, s[10:11]
	s_cbranch_vccnz .LBB218_69
; %bb.75:                               ;   in Loop: Header=BB218_70 Depth=1
	v_div_scale_f64 v[9:10], s[10:11], v[5:6], v[5:6], v[7:8]
	v_rcp_f64_e32 v[11:12], v[9:10]
	v_fma_f64 v[15:16], -v[9:10], v[11:12], 1.0
	v_fma_f64 v[11:12], v[11:12], v[15:16], v[11:12]
	v_div_scale_f64 v[15:16], vcc, v[7:8], v[5:6], v[7:8]
	v_fma_f64 v[17:18], -v[9:10], v[11:12], 1.0
	v_fma_f64 v[11:12], v[11:12], v[17:18], v[11:12]
	v_mul_f64 v[17:18], v[15:16], v[11:12]
	v_fma_f64 v[9:10], -v[9:10], v[17:18], v[15:16]
	v_div_fmas_f64 v[9:10], v[9:10], v[11:12], v[17:18]
	v_div_fixup_f64 v[9:10], v[9:10], v[5:6], v[7:8]
	v_fma_f64 v[5:6], v[7:8], v[9:10], v[5:6]
	v_div_scale_f64 v[7:8], s[10:11], v[5:6], v[5:6], 1.0
	v_rcp_f64_e32 v[11:12], v[7:8]
	v_fma_f64 v[15:16], -v[7:8], v[11:12], 1.0
	v_fma_f64 v[11:12], v[11:12], v[15:16], v[11:12]
	v_div_scale_f64 v[15:16], vcc, 1.0, v[5:6], 1.0
	v_fma_f64 v[17:18], -v[7:8], v[11:12], 1.0
	v_fma_f64 v[11:12], v[11:12], v[17:18], v[11:12]
	v_mul_f64 v[17:18], v[15:16], v[11:12]
	v_fma_f64 v[7:8], -v[7:8], v[17:18], v[15:16]
	v_div_fmas_f64 v[7:8], v[7:8], v[11:12], v[17:18]
	v_fma_f64 v[11:12], v[3:4], v[9:10], v[1:2]
	v_fma_f64 v[1:2], -v[1:2], v[9:10], v[3:4]
	v_div_fixup_f64 v[5:6], v[7:8], v[5:6], 1.0
	v_mul_f64 v[9:10], v[11:12], v[5:6]
	v_mul_f64 v[11:12], v[1:2], v[5:6]
	s_branch .LBB218_69
.LBB218_76:
	s_mov_b64 s[14:15], 0
.LBB218_77:
	s_andn2_b64 vcc, exec, s[14:15]
	s_cbranch_vccnz .LBB218_109
; %bb.78:
	s_andn2_b64 vcc, exec, s[8:9]
	s_mov_b32 s14, s13
	s_cbranch_vccnz .LBB218_100
; %bb.79:
	v_lshlrev_b32_e32 v1, 4, v0
	v_lshl_or_b32 v1, s25, 8, v1
	s_mul_i32 s8, s25, 0x110
	v_add_u32_e32 v26, 0xf00, v1
	s_add_i32 s10, s8, 0xfffffbf0
	s_mov_b32 s11, s13
.LBB218_80:                             ; =>This Loop Header: Depth=1
                                        ;     Child Loop BB218_81 Depth 2
	s_add_i32 s9, s11, -2
	v_lshl_add_u32 v30, s11, 8, v25
	s_add_i32 s8, s11, -1
	v_lshl_add_u32 v28, s9, 8, v25
	;; [unrolled: 2-line block ×3, first 2 shown]
	ds_read_b128 v[17:20], v30
	ds_read_b128 v[13:16], v29
	v_lshl_add_u32 v27, s14, 8, v25
	ds_read_b128 v[5:8], v28
	ds_read_b128 v[1:4], v27
	s_cmp_le_i32 s13, s11
	s_mov_b32 s15, s10
	v_mov_b32_e32 v9, v26
	s_mov_b32 s16, s13
	s_cbranch_scc1 .LBB218_82
.LBB218_81:                             ;   Parent Loop BB218_80 Depth=1
                                        ; =>  This Inner Loop Header: Depth=2
	v_mov_b32_e32 v10, s15
	ds_read_b128 v[21:24], v9
	ds_read_b128 v[31:34], v10 offset:768
	ds_read_b128 v[35:38], v10 offset:512
	;; [unrolled: 1-line block ×3, first 2 shown]
	ds_read_b128 v[43:46], v10
	s_add_i32 s16, s16, -1
	s_add_i32 s15, s15, -16
	s_cmp_le_i32 s16, s11
	s_waitcnt lgkmcnt(3)
	v_mul_f64 v[10:11], v[23:24], v[33:34]
	v_mul_f64 v[33:34], v[21:22], v[33:34]
	s_waitcnt lgkmcnt(2)
	v_mul_f64 v[47:48], v[23:24], v[37:38]
	v_mul_f64 v[37:38], v[21:22], v[37:38]
	;; [unrolled: 3-line block ×4, first 2 shown]
	v_fma_f64 v[10:11], v[21:22], v[31:32], -v[10:11]
	v_fma_f64 v[31:32], v[23:24], v[31:32], v[33:34]
	v_fma_f64 v[33:34], v[21:22], v[35:36], -v[47:48]
	v_fma_f64 v[35:36], v[23:24], v[35:36], v[37:38]
	;; [unrolled: 2-line block ×4, first 2 shown]
	v_add_f64 v[17:18], v[17:18], -v[10:11]
	v_add_f64 v[19:20], v[19:20], -v[31:32]
	;; [unrolled: 1-line block ×8, first 2 shown]
	v_add_u32_e32 v9, 0xffffff00, v9
	s_cbranch_scc0 .LBB218_81
.LBB218_82:                             ;   in Loop: Header=BB218_80 Depth=1
	s_lshl_b32 s17, s8, 4
	s_mul_i32 s8, s11, 0x110
	v_mov_b32_e32 v9, s8
	ds_read_b128 v[21:24], v9
	s_lshl_b32 s16, s9, 4
	s_lshl_b32 s14, s14, 4
	s_mov_b64 s[8:9], -1
                                        ; implicit-def: $vgpr11_vgpr12
	s_waitcnt lgkmcnt(0)
	v_cmp_ngt_f64_e64 s[18:19], |v[21:22]|, |v[23:24]|
	s_and_b64 vcc, exec, s[18:19]
	s_cbranch_vccz .LBB218_84
; %bb.83:                               ;   in Loop: Header=BB218_80 Depth=1
	v_div_scale_f64 v[9:10], s[8:9], v[23:24], v[23:24], v[21:22]
	v_rcp_f64_e32 v[11:12], v[9:10]
	v_fma_f64 v[31:32], -v[9:10], v[11:12], 1.0
	v_fma_f64 v[11:12], v[11:12], v[31:32], v[11:12]
	v_div_scale_f64 v[31:32], vcc, v[21:22], v[23:24], v[21:22]
	v_fma_f64 v[33:34], -v[9:10], v[11:12], 1.0
	v_fma_f64 v[11:12], v[11:12], v[33:34], v[11:12]
	v_mul_f64 v[33:34], v[31:32], v[11:12]
	v_fma_f64 v[9:10], -v[9:10], v[33:34], v[31:32]
	v_div_fmas_f64 v[9:10], v[9:10], v[11:12], v[33:34]
	v_div_fixup_f64 v[9:10], v[9:10], v[23:24], v[21:22]
	v_fma_f64 v[11:12], v[21:22], v[9:10], v[23:24]
	v_div_scale_f64 v[31:32], s[8:9], v[11:12], v[11:12], 1.0
	s_mov_b64 s[8:9], 0
	v_rcp_f64_e32 v[33:34], v[31:32]
	v_fma_f64 v[35:36], -v[31:32], v[33:34], 1.0
	v_fma_f64 v[33:34], v[33:34], v[35:36], v[33:34]
	v_div_scale_f64 v[35:36], vcc, 1.0, v[11:12], 1.0
	v_fma_f64 v[37:38], -v[31:32], v[33:34], 1.0
	v_fma_f64 v[33:34], v[33:34], v[37:38], v[33:34]
	v_mul_f64 v[37:38], v[35:36], v[33:34]
	v_fma_f64 v[31:32], -v[31:32], v[37:38], v[35:36]
	v_div_fmas_f64 v[31:32], v[31:32], v[33:34], v[37:38]
	v_fma_f64 v[33:34], v[17:18], v[9:10], v[19:20]
	v_div_fixup_f64 v[11:12], v[31:32], v[11:12], 1.0
	v_fma_f64 v[31:32], v[19:20], v[9:10], -v[17:18]
	v_mul_f64 v[9:10], v[33:34], v[11:12]
	v_mul_f64 v[11:12], v[31:32], v[11:12]
.LBB218_84:                             ;   in Loop: Header=BB218_80 Depth=1
	s_andn2_b64 vcc, exec, s[8:9]
	s_cbranch_vccnz .LBB218_86
; %bb.85:                               ;   in Loop: Header=BB218_80 Depth=1
	v_div_scale_f64 v[9:10], s[8:9], v[21:22], v[21:22], v[23:24]
	v_rcp_f64_e32 v[11:12], v[9:10]
	v_fma_f64 v[31:32], -v[9:10], v[11:12], 1.0
	v_fma_f64 v[11:12], v[11:12], v[31:32], v[11:12]
	v_div_scale_f64 v[31:32], vcc, v[23:24], v[21:22], v[23:24]
	v_fma_f64 v[33:34], -v[9:10], v[11:12], 1.0
	v_fma_f64 v[11:12], v[11:12], v[33:34], v[11:12]
	v_mul_f64 v[33:34], v[31:32], v[11:12]
	v_fma_f64 v[9:10], -v[9:10], v[33:34], v[31:32]
	v_div_fmas_f64 v[9:10], v[9:10], v[11:12], v[33:34]
	v_div_fixup_f64 v[9:10], v[9:10], v[21:22], v[23:24]
	v_fma_f64 v[11:12], v[23:24], v[9:10], v[21:22]
	v_div_scale_f64 v[21:22], s[8:9], v[11:12], v[11:12], 1.0
	v_rcp_f64_e32 v[23:24], v[21:22]
	v_fma_f64 v[31:32], -v[21:22], v[23:24], 1.0
	v_fma_f64 v[23:24], v[23:24], v[31:32], v[23:24]
	v_div_scale_f64 v[31:32], vcc, 1.0, v[11:12], 1.0
	v_fma_f64 v[33:34], -v[21:22], v[23:24], 1.0
	v_fma_f64 v[23:24], v[23:24], v[33:34], v[23:24]
	v_mul_f64 v[33:34], v[31:32], v[23:24]
	v_fma_f64 v[21:22], -v[21:22], v[33:34], v[31:32]
	v_div_fmas_f64 v[21:22], v[21:22], v[23:24], v[33:34]
	v_fma_f64 v[23:24], v[19:20], v[9:10], v[17:18]
	v_fma_f64 v[17:18], -v[17:18], v[9:10], v[19:20]
	v_div_fixup_f64 v[11:12], v[21:22], v[11:12], 1.0
	v_mul_f64 v[9:10], v[23:24], v[11:12]
	v_mul_f64 v[11:12], v[17:18], v[11:12]
.LBB218_86:                             ;   in Loop: Header=BB218_80 Depth=1
	s_lshl_b32 s8, s17, 4
	s_lshl_b32 s15, s11, 4
	s_add_i32 s9, s8, s15
	v_mov_b32_e32 v17, s9
	ds_read_b128 v[21:24], v17
	s_add_i32 s8, s8, s17
	v_mov_b32_e32 v17, s8
	ds_read_b128 v[17:20], v17
	s_mov_b64 s[8:9], -1
	s_waitcnt lgkmcnt(1)
	v_mul_f64 v[31:32], v[11:12], v[23:24]
	v_mul_f64 v[23:24], v[9:10], v[23:24]
	ds_write_b128 v30, v[9:12]
	s_waitcnt lgkmcnt(1)
	v_cmp_ngt_f64_e64 s[18:19], |v[17:18]|, |v[19:20]|
	v_fma_f64 v[31:32], v[9:10], v[21:22], -v[31:32]
	v_fma_f64 v[23:24], v[11:12], v[21:22], v[23:24]
	s_and_b64 vcc, exec, s[18:19]
	v_add_f64 v[21:22], v[13:14], -v[31:32]
	v_add_f64 v[23:24], v[15:16], -v[23:24]
                                        ; implicit-def: $vgpr15_vgpr16
	s_cbranch_vccz .LBB218_88
; %bb.87:                               ;   in Loop: Header=BB218_80 Depth=1
	v_div_scale_f64 v[13:14], s[8:9], v[19:20], v[19:20], v[17:18]
	v_rcp_f64_e32 v[15:16], v[13:14]
	v_fma_f64 v[30:31], -v[13:14], v[15:16], 1.0
	v_fma_f64 v[15:16], v[15:16], v[30:31], v[15:16]
	v_div_scale_f64 v[30:31], vcc, v[17:18], v[19:20], v[17:18]
	v_fma_f64 v[32:33], -v[13:14], v[15:16], 1.0
	v_fma_f64 v[15:16], v[15:16], v[32:33], v[15:16]
	v_mul_f64 v[32:33], v[30:31], v[15:16]
	v_fma_f64 v[13:14], -v[13:14], v[32:33], v[30:31]
	v_div_fmas_f64 v[13:14], v[13:14], v[15:16], v[32:33]
	v_div_fixup_f64 v[13:14], v[13:14], v[19:20], v[17:18]
	v_fma_f64 v[15:16], v[17:18], v[13:14], v[19:20]
	v_div_scale_f64 v[30:31], s[8:9], v[15:16], v[15:16], 1.0
	s_mov_b64 s[8:9], 0
	v_rcp_f64_e32 v[32:33], v[30:31]
	v_fma_f64 v[34:35], -v[30:31], v[32:33], 1.0
	v_fma_f64 v[32:33], v[32:33], v[34:35], v[32:33]
	v_div_scale_f64 v[34:35], vcc, 1.0, v[15:16], 1.0
	v_fma_f64 v[36:37], -v[30:31], v[32:33], 1.0
	v_fma_f64 v[32:33], v[32:33], v[36:37], v[32:33]
	v_mul_f64 v[36:37], v[34:35], v[32:33]
	v_fma_f64 v[30:31], -v[30:31], v[36:37], v[34:35]
	v_div_fmas_f64 v[30:31], v[30:31], v[32:33], v[36:37]
	v_fma_f64 v[32:33], v[13:14], v[21:22], v[23:24]
	v_div_fixup_f64 v[15:16], v[30:31], v[15:16], 1.0
	v_fma_f64 v[30:31], v[13:14], v[23:24], -v[21:22]
	v_mul_f64 v[13:14], v[32:33], v[15:16]
	v_mul_f64 v[15:16], v[30:31], v[15:16]
.LBB218_88:                             ;   in Loop: Header=BB218_80 Depth=1
	s_andn2_b64 vcc, exec, s[8:9]
	s_cbranch_vccnz .LBB218_90
; %bb.89:                               ;   in Loop: Header=BB218_80 Depth=1
	v_div_scale_f64 v[13:14], s[8:9], v[17:18], v[17:18], v[19:20]
	v_rcp_f64_e32 v[15:16], v[13:14]
	v_fma_f64 v[30:31], -v[13:14], v[15:16], 1.0
	v_fma_f64 v[15:16], v[15:16], v[30:31], v[15:16]
	v_div_scale_f64 v[30:31], vcc, v[19:20], v[17:18], v[19:20]
	v_fma_f64 v[32:33], -v[13:14], v[15:16], 1.0
	v_fma_f64 v[15:16], v[15:16], v[32:33], v[15:16]
	v_mul_f64 v[32:33], v[30:31], v[15:16]
	v_fma_f64 v[13:14], -v[13:14], v[32:33], v[30:31]
	v_div_fmas_f64 v[13:14], v[13:14], v[15:16], v[32:33]
	v_div_fixup_f64 v[13:14], v[13:14], v[17:18], v[19:20]
	v_fma_f64 v[15:16], v[19:20], v[13:14], v[17:18]
	v_div_scale_f64 v[17:18], s[8:9], v[15:16], v[15:16], 1.0
	v_rcp_f64_e32 v[19:20], v[17:18]
	v_fma_f64 v[30:31], -v[17:18], v[19:20], 1.0
	v_fma_f64 v[19:20], v[19:20], v[30:31], v[19:20]
	v_div_scale_f64 v[30:31], vcc, 1.0, v[15:16], 1.0
	v_fma_f64 v[32:33], -v[17:18], v[19:20], 1.0
	v_fma_f64 v[19:20], v[19:20], v[32:33], v[19:20]
	v_mul_f64 v[32:33], v[30:31], v[19:20]
	v_fma_f64 v[17:18], -v[17:18], v[32:33], v[30:31]
	v_div_fmas_f64 v[17:18], v[17:18], v[19:20], v[32:33]
	v_fma_f64 v[19:20], v[13:14], v[23:24], v[21:22]
	v_div_fixup_f64 v[15:16], v[17:18], v[15:16], 1.0
	v_fma_f64 v[17:18], -v[13:14], v[21:22], v[23:24]
	v_mul_f64 v[13:14], v[19:20], v[15:16]
	v_mul_f64 v[15:16], v[17:18], v[15:16]
.LBB218_90:                             ;   in Loop: Header=BB218_80 Depth=1
	s_lshl_b32 s8, s16, 4
	s_add_i32 s9, s8, s15
	v_mov_b32_e32 v17, s9
	ds_read_b128 v[17:20], v17
	s_add_i32 s9, s9, -16
	v_mov_b32_e32 v21, s9
	ds_read_b128 v[21:24], v21
	s_add_i32 s8, s8, s16
	s_waitcnt lgkmcnt(1)
	v_mul_f64 v[30:31], v[11:12], v[19:20]
	v_mul_f64 v[19:20], v[9:10], v[19:20]
	ds_write_b128 v29, v[13:16]
	s_waitcnt lgkmcnt(1)
	v_mul_f64 v[32:33], v[15:16], v[23:24]
	v_mul_f64 v[23:24], v[13:14], v[23:24]
	v_fma_f64 v[30:31], v[9:10], v[17:18], -v[30:31]
	v_fma_f64 v[34:35], v[11:12], v[17:18], v[19:20]
	v_mov_b32_e32 v17, s8
	v_fma_f64 v[32:33], v[13:14], v[21:22], -v[32:33]
	v_fma_f64 v[23:24], v[15:16], v[21:22], v[23:24]
	ds_read_b128 v[17:20], v17
	s_mov_b64 s[8:9], -1
	v_add_f64 v[5:6], v[5:6], -v[30:31]
	v_add_f64 v[7:8], v[7:8], -v[34:35]
	s_waitcnt lgkmcnt(0)
	v_cmp_ngt_f64_e64 s[16:17], |v[17:18]|, |v[19:20]|
	v_add_f64 v[21:22], v[5:6], -v[32:33]
	v_add_f64 v[23:24], v[7:8], -v[23:24]
	s_and_b64 vcc, exec, s[16:17]
                                        ; implicit-def: $vgpr7_vgpr8
	s_cbranch_vccz .LBB218_92
; %bb.91:                               ;   in Loop: Header=BB218_80 Depth=1
	v_div_scale_f64 v[5:6], s[8:9], v[19:20], v[19:20], v[17:18]
	v_rcp_f64_e32 v[7:8], v[5:6]
	v_fma_f64 v[29:30], -v[5:6], v[7:8], 1.0
	v_fma_f64 v[7:8], v[7:8], v[29:30], v[7:8]
	v_div_scale_f64 v[29:30], vcc, v[17:18], v[19:20], v[17:18]
	v_fma_f64 v[31:32], -v[5:6], v[7:8], 1.0
	v_fma_f64 v[7:8], v[7:8], v[31:32], v[7:8]
	v_mul_f64 v[31:32], v[29:30], v[7:8]
	v_fma_f64 v[5:6], -v[5:6], v[31:32], v[29:30]
	v_div_fmas_f64 v[5:6], v[5:6], v[7:8], v[31:32]
	v_div_fixup_f64 v[5:6], v[5:6], v[19:20], v[17:18]
	v_fma_f64 v[7:8], v[17:18], v[5:6], v[19:20]
	v_div_scale_f64 v[29:30], s[8:9], v[7:8], v[7:8], 1.0
	s_mov_b64 s[8:9], 0
	v_rcp_f64_e32 v[31:32], v[29:30]
	v_fma_f64 v[33:34], -v[29:30], v[31:32], 1.0
	v_fma_f64 v[31:32], v[31:32], v[33:34], v[31:32]
	v_div_scale_f64 v[33:34], vcc, 1.0, v[7:8], 1.0
	v_fma_f64 v[35:36], -v[29:30], v[31:32], 1.0
	v_fma_f64 v[31:32], v[31:32], v[35:36], v[31:32]
	v_mul_f64 v[35:36], v[33:34], v[31:32]
	v_fma_f64 v[29:30], -v[29:30], v[35:36], v[33:34]
	v_div_fmas_f64 v[29:30], v[29:30], v[31:32], v[35:36]
	v_fma_f64 v[31:32], v[5:6], v[21:22], v[23:24]
	v_div_fixup_f64 v[7:8], v[29:30], v[7:8], 1.0
	v_fma_f64 v[29:30], v[5:6], v[23:24], -v[21:22]
	v_mul_f64 v[5:6], v[31:32], v[7:8]
	v_mul_f64 v[7:8], v[29:30], v[7:8]
.LBB218_92:                             ;   in Loop: Header=BB218_80 Depth=1
	s_andn2_b64 vcc, exec, s[8:9]
	s_cbranch_vccnz .LBB218_94
; %bb.93:                               ;   in Loop: Header=BB218_80 Depth=1
	v_div_scale_f64 v[5:6], s[8:9], v[17:18], v[17:18], v[19:20]
	v_rcp_f64_e32 v[7:8], v[5:6]
	v_fma_f64 v[29:30], -v[5:6], v[7:8], 1.0
	v_fma_f64 v[7:8], v[7:8], v[29:30], v[7:8]
	v_div_scale_f64 v[29:30], vcc, v[19:20], v[17:18], v[19:20]
	v_fma_f64 v[31:32], -v[5:6], v[7:8], 1.0
	v_fma_f64 v[7:8], v[7:8], v[31:32], v[7:8]
	v_mul_f64 v[31:32], v[29:30], v[7:8]
	v_fma_f64 v[5:6], -v[5:6], v[31:32], v[29:30]
	v_div_fmas_f64 v[5:6], v[5:6], v[7:8], v[31:32]
	v_div_fixup_f64 v[5:6], v[5:6], v[17:18], v[19:20]
	v_fma_f64 v[7:8], v[19:20], v[5:6], v[17:18]
	v_div_scale_f64 v[17:18], s[8:9], v[7:8], v[7:8], 1.0
	v_rcp_f64_e32 v[19:20], v[17:18]
	v_fma_f64 v[29:30], -v[17:18], v[19:20], 1.0
	v_fma_f64 v[19:20], v[19:20], v[29:30], v[19:20]
	v_div_scale_f64 v[29:30], vcc, 1.0, v[7:8], 1.0
	v_fma_f64 v[31:32], -v[17:18], v[19:20], 1.0
	v_fma_f64 v[19:20], v[19:20], v[31:32], v[19:20]
	v_mul_f64 v[31:32], v[29:30], v[19:20]
	v_fma_f64 v[17:18], -v[17:18], v[31:32], v[29:30]
	v_div_fmas_f64 v[17:18], v[17:18], v[19:20], v[31:32]
	v_fma_f64 v[19:20], v[5:6], v[23:24], v[21:22]
	v_div_fixup_f64 v[7:8], v[17:18], v[7:8], 1.0
	v_fma_f64 v[17:18], -v[5:6], v[21:22], v[23:24]
	v_mul_f64 v[5:6], v[19:20], v[7:8]
	v_mul_f64 v[7:8], v[17:18], v[7:8]
.LBB218_94:                             ;   in Loop: Header=BB218_80 Depth=1
	s_lshl_b32 s8, s14, 4
	s_add_i32 s9, s8, s15
	v_mov_b32_e32 v17, s9
	ds_read_b128 v[17:20], v17
	s_add_i32 s15, s9, -16
	s_sub_i32 s9, s9, 32
	v_mov_b32_e32 v29, s9
	ds_read_b128 v[29:32], v29
	s_waitcnt lgkmcnt(1)
	v_mul_f64 v[33:34], v[11:12], v[19:20]
	v_mul_f64 v[19:20], v[9:10], v[19:20]
	v_mov_b32_e32 v21, s15
	ds_read_b128 v[21:24], v21
	s_add_i32 s8, s8, s14
	ds_write_b128 v28, v[5:8]
	v_fma_f64 v[33:34], v[9:10], v[17:18], -v[33:34]
	v_mov_b32_e32 v9, s8
	v_fma_f64 v[17:18], v[11:12], v[17:18], v[19:20]
	ds_read_b128 v[9:12], v9
	s_waitcnt lgkmcnt(2)
	v_mul_f64 v[35:36], v[15:16], v[23:24]
	v_mul_f64 v[23:24], v[13:14], v[23:24]
	;; [unrolled: 1-line block ×4, first 2 shown]
	v_add_f64 v[1:2], v[1:2], -v[33:34]
	s_waitcnt lgkmcnt(0)
	v_cmp_ngt_f64_e64 s[14:15], |v[9:10]|, |v[11:12]|
	v_add_f64 v[3:4], v[3:4], -v[17:18]
	s_mov_b64 s[8:9], -1
	v_fma_f64 v[13:14], v[13:14], v[21:22], -v[35:36]
	v_fma_f64 v[15:16], v[15:16], v[21:22], v[23:24]
	v_fma_f64 v[17:18], v[5:6], v[29:30], -v[19:20]
	v_fma_f64 v[19:20], v[7:8], v[29:30], v[31:32]
	s_and_b64 vcc, exec, s[14:15]
	v_add_f64 v[1:2], v[1:2], -v[13:14]
	v_add_f64 v[3:4], v[3:4], -v[15:16]
	;; [unrolled: 1-line block ×4, first 2 shown]
                                        ; implicit-def: $vgpr3_vgpr4
	s_cbranch_vccz .LBB218_96
; %bb.95:                               ;   in Loop: Header=BB218_80 Depth=1
	v_div_scale_f64 v[1:2], s[8:9], v[11:12], v[11:12], v[9:10]
	v_rcp_f64_e32 v[3:4], v[1:2]
	v_fma_f64 v[5:6], -v[1:2], v[3:4], 1.0
	v_fma_f64 v[3:4], v[3:4], v[5:6], v[3:4]
	v_div_scale_f64 v[5:6], vcc, v[9:10], v[11:12], v[9:10]
	v_fma_f64 v[7:8], -v[1:2], v[3:4], 1.0
	v_fma_f64 v[3:4], v[3:4], v[7:8], v[3:4]
	v_mul_f64 v[7:8], v[5:6], v[3:4]
	v_fma_f64 v[1:2], -v[1:2], v[7:8], v[5:6]
	v_div_fmas_f64 v[1:2], v[1:2], v[3:4], v[7:8]
	v_div_fixup_f64 v[1:2], v[1:2], v[11:12], v[9:10]
	v_fma_f64 v[3:4], v[9:10], v[1:2], v[11:12]
	v_div_scale_f64 v[5:6], s[8:9], v[3:4], v[3:4], 1.0
	s_mov_b64 s[8:9], 0
	v_rcp_f64_e32 v[7:8], v[5:6]
	v_fma_f64 v[17:18], -v[5:6], v[7:8], 1.0
	v_fma_f64 v[7:8], v[7:8], v[17:18], v[7:8]
	v_div_scale_f64 v[17:18], vcc, 1.0, v[3:4], 1.0
	v_fma_f64 v[19:20], -v[5:6], v[7:8], 1.0
	v_fma_f64 v[7:8], v[7:8], v[19:20], v[7:8]
	v_mul_f64 v[19:20], v[17:18], v[7:8]
	v_fma_f64 v[5:6], -v[5:6], v[19:20], v[17:18]
	v_div_fmas_f64 v[5:6], v[5:6], v[7:8], v[19:20]
	v_fma_f64 v[7:8], v[1:2], v[13:14], v[15:16]
	v_div_fixup_f64 v[3:4], v[5:6], v[3:4], 1.0
	v_fma_f64 v[5:6], v[1:2], v[15:16], -v[13:14]
	v_mul_f64 v[1:2], v[7:8], v[3:4]
	v_mul_f64 v[3:4], v[5:6], v[3:4]
.LBB218_96:                             ;   in Loop: Header=BB218_80 Depth=1
	s_andn2_b64 vcc, exec, s[8:9]
	s_cbranch_vccnz .LBB218_98
; %bb.97:                               ;   in Loop: Header=BB218_80 Depth=1
	v_div_scale_f64 v[1:2], s[8:9], v[9:10], v[9:10], v[11:12]
	v_rcp_f64_e32 v[3:4], v[1:2]
	v_fma_f64 v[5:6], -v[1:2], v[3:4], 1.0
	v_fma_f64 v[3:4], v[3:4], v[5:6], v[3:4]
	v_div_scale_f64 v[5:6], vcc, v[11:12], v[9:10], v[11:12]
	v_fma_f64 v[7:8], -v[1:2], v[3:4], 1.0
	v_fma_f64 v[3:4], v[3:4], v[7:8], v[3:4]
	v_mul_f64 v[7:8], v[5:6], v[3:4]
	v_fma_f64 v[1:2], -v[1:2], v[7:8], v[5:6]
	v_div_fmas_f64 v[1:2], v[1:2], v[3:4], v[7:8]
	v_div_fixup_f64 v[1:2], v[1:2], v[9:10], v[11:12]
	v_fma_f64 v[3:4], v[11:12], v[1:2], v[9:10]
	v_div_scale_f64 v[5:6], s[8:9], v[3:4], v[3:4], 1.0
	v_rcp_f64_e32 v[7:8], v[5:6]
	v_fma_f64 v[9:10], -v[5:6], v[7:8], 1.0
	v_fma_f64 v[7:8], v[7:8], v[9:10], v[7:8]
	v_div_scale_f64 v[9:10], vcc, 1.0, v[3:4], 1.0
	v_fma_f64 v[11:12], -v[5:6], v[7:8], 1.0
	v_fma_f64 v[7:8], v[7:8], v[11:12], v[7:8]
	v_mul_f64 v[11:12], v[9:10], v[7:8]
	v_fma_f64 v[5:6], -v[5:6], v[11:12], v[9:10]
	v_div_fmas_f64 v[5:6], v[5:6], v[7:8], v[11:12]
	v_fma_f64 v[7:8], v[1:2], v[15:16], v[13:14]
	v_div_fixup_f64 v[3:4], v[5:6], v[3:4], 1.0
	v_fma_f64 v[5:6], -v[1:2], v[13:14], v[15:16]
	v_mul_f64 v[1:2], v[7:8], v[3:4]
	v_mul_f64 v[3:4], v[5:6], v[3:4]
.LBB218_98:                             ;   in Loop: Header=BB218_80 Depth=1
	s_add_i32 s14, s11, -4
	s_addk_i32 s10, 0xfc00
	s_cmp_lt_i32 s11, 7
	ds_write_b128 v27, v[1:4]
	s_cbranch_scc1 .LBB218_100
; %bb.99:                               ;   in Loop: Header=BB218_80 Depth=1
	s_mov_b32 s11, s14
	s_branch .LBB218_80
.LBB218_100:
	s_cmp_lt_i32 s14, 0
	s_cbranch_scc1 .LBB218_109
; %bb.101:
	v_lshlrev_b32_e32 v1, 4, v0
	s_lshl_b32 s8, s14, 8
	s_lshl_b32 s9, s25, 4
	v_lshl_or_b32 v1, s25, 8, v1
	s_add_i32 s8, s8, s9
	v_add_u32_e32 v13, 0xf00, v1
	s_add_i32 s10, s8, -16
	s_branch .LBB218_103
.LBB218_102:                            ;   in Loop: Header=BB218_103 Depth=1
	v_sub_co_u32_e64 v1, s[8:9], s14, 1
	v_readfirstlane_b32 s14, v1
	s_addk_i32 s10, 0xff00
	s_and_b64 vcc, exec, s[8:9]
	ds_write_b128 v14, v[9:12]
	s_cbranch_vccnz .LBB218_109
.LBB218_103:                            ; =>This Loop Header: Depth=1
                                        ;     Child Loop BB218_104 Depth 2
	v_lshl_add_u32 v14, s14, 8, v25
	ds_read_b128 v[1:4], v14
	s_cmp_le_i32 s13, s14
	s_mov_b32 s8, s10
	v_mov_b32_e32 v5, v13
	s_mov_b32 s9, s13
	s_cbranch_scc1 .LBB218_105
.LBB218_104:                            ;   Parent Loop BB218_103 Depth=1
                                        ; =>  This Inner Loop Header: Depth=2
	v_mov_b32_e32 v10, s8
	ds_read_b128 v[6:9], v5
	ds_read_b128 v[15:18], v10
	s_add_i32 s9, s9, -1
	s_add_i32 s8, s8, -16
	s_cmp_le_u32 s9, s14
	v_add_u32_e32 v5, 0xffffff00, v5
	s_waitcnt lgkmcnt(0)
	v_mul_f64 v[10:11], v[17:18], v[8:9]
	v_mul_f64 v[8:9], v[15:16], v[8:9]
	v_fma_f64 v[10:11], v[15:16], v[6:7], -v[10:11]
	v_fma_f64 v[6:7], v[17:18], v[6:7], v[8:9]
	v_add_f64 v[1:2], v[1:2], -v[10:11]
	v_add_f64 v[3:4], v[3:4], -v[6:7]
	s_cbranch_scc0 .LBB218_104
.LBB218_105:                            ;   in Loop: Header=BB218_103 Depth=1
	s_mul_i32 s8, s14, 0x110
	v_mov_b32_e32 v5, s8
	ds_read_b128 v[5:8], v5
	s_mov_b64 s[8:9], -1
                                        ; implicit-def: $vgpr9_vgpr10
	s_waitcnt lgkmcnt(0)
	v_cmp_ngt_f64_e64 s[16:17], |v[5:6]|, |v[7:8]|
	s_and_b64 vcc, exec, s[16:17]
	s_cbranch_vccz .LBB218_107
; %bb.106:                              ;   in Loop: Header=BB218_103 Depth=1
	v_div_scale_f64 v[9:10], s[8:9], v[7:8], v[7:8], v[5:6]
	v_rcp_f64_e32 v[11:12], v[9:10]
	v_fma_f64 v[15:16], -v[9:10], v[11:12], 1.0
	v_fma_f64 v[11:12], v[11:12], v[15:16], v[11:12]
	v_div_scale_f64 v[15:16], vcc, v[5:6], v[7:8], v[5:6]
	v_fma_f64 v[17:18], -v[9:10], v[11:12], 1.0
	v_fma_f64 v[11:12], v[11:12], v[17:18], v[11:12]
	v_mul_f64 v[17:18], v[15:16], v[11:12]
	v_fma_f64 v[9:10], -v[9:10], v[17:18], v[15:16]
	v_div_fmas_f64 v[9:10], v[9:10], v[11:12], v[17:18]
	v_div_fixup_f64 v[9:10], v[9:10], v[7:8], v[5:6]
	v_fma_f64 v[11:12], v[5:6], v[9:10], v[7:8]
	v_div_scale_f64 v[15:16], s[8:9], v[11:12], v[11:12], 1.0
	s_mov_b64 s[8:9], 0
	v_rcp_f64_e32 v[17:18], v[15:16]
	v_fma_f64 v[19:20], -v[15:16], v[17:18], 1.0
	v_fma_f64 v[17:18], v[17:18], v[19:20], v[17:18]
	v_div_scale_f64 v[19:20], vcc, 1.0, v[11:12], 1.0
	v_fma_f64 v[21:22], -v[15:16], v[17:18], 1.0
	v_fma_f64 v[17:18], v[17:18], v[21:22], v[17:18]
	v_mul_f64 v[21:22], v[19:20], v[17:18]
	v_fma_f64 v[15:16], -v[15:16], v[21:22], v[19:20]
	v_div_fmas_f64 v[15:16], v[15:16], v[17:18], v[21:22]
	v_fma_f64 v[17:18], v[1:2], v[9:10], v[3:4]
	v_div_fixup_f64 v[11:12], v[15:16], v[11:12], 1.0
	v_fma_f64 v[15:16], v[3:4], v[9:10], -v[1:2]
	v_mul_f64 v[9:10], v[17:18], v[11:12]
	v_mul_f64 v[11:12], v[15:16], v[11:12]
.LBB218_107:                            ;   in Loop: Header=BB218_103 Depth=1
	s_andn2_b64 vcc, exec, s[8:9]
	s_cbranch_vccnz .LBB218_102
; %bb.108:                              ;   in Loop: Header=BB218_103 Depth=1
	v_div_scale_f64 v[9:10], s[8:9], v[5:6], v[5:6], v[7:8]
	v_rcp_f64_e32 v[11:12], v[9:10]
	v_fma_f64 v[15:16], -v[9:10], v[11:12], 1.0
	v_fma_f64 v[11:12], v[11:12], v[15:16], v[11:12]
	v_div_scale_f64 v[15:16], vcc, v[7:8], v[5:6], v[7:8]
	v_fma_f64 v[17:18], -v[9:10], v[11:12], 1.0
	v_fma_f64 v[11:12], v[11:12], v[17:18], v[11:12]
	v_mul_f64 v[17:18], v[15:16], v[11:12]
	v_fma_f64 v[9:10], -v[9:10], v[17:18], v[15:16]
	v_div_fmas_f64 v[9:10], v[9:10], v[11:12], v[17:18]
	v_div_fixup_f64 v[9:10], v[9:10], v[5:6], v[7:8]
	v_fma_f64 v[5:6], v[7:8], v[9:10], v[5:6]
	v_div_scale_f64 v[7:8], s[8:9], v[5:6], v[5:6], 1.0
	v_rcp_f64_e32 v[11:12], v[7:8]
	v_fma_f64 v[15:16], -v[7:8], v[11:12], 1.0
	v_fma_f64 v[11:12], v[11:12], v[15:16], v[11:12]
	v_div_scale_f64 v[15:16], vcc, 1.0, v[5:6], 1.0
	v_fma_f64 v[17:18], -v[7:8], v[11:12], 1.0
	v_fma_f64 v[11:12], v[11:12], v[17:18], v[11:12]
	v_mul_f64 v[17:18], v[15:16], v[11:12]
	v_fma_f64 v[7:8], -v[7:8], v[17:18], v[15:16]
	v_div_fmas_f64 v[7:8], v[7:8], v[11:12], v[17:18]
	v_fma_f64 v[11:12], v[3:4], v[9:10], v[1:2]
	v_fma_f64 v[1:2], -v[1:2], v[9:10], v[3:4]
	v_div_fixup_f64 v[5:6], v[7:8], v[5:6], 1.0
	v_mul_f64 v[9:10], v[11:12], v[5:6]
	v_mul_f64 v[11:12], v[1:2], v[5:6]
	s_branch .LBB218_102
.LBB218_109:
	s_mov_b64 s[14:15], 0
.LBB218_110:
	s_andn2_b64 vcc, exec, s[14:15]
	s_cbranch_vccnz .LBB218_142
; %bb.111:
	v_mov_b32_e32 v1, 0x1000
	v_lshl_or_b32 v25, v0, 4, v1
	s_cmp_lt_i32 s24, 4
	s_mov_b32 s13, 0
	s_cbranch_scc1 .LBB218_133
; %bb.112:
	s_mov_b32 s10, 0
	s_mov_b32 s11, 0
.LBB218_113:                            ; =>This Loop Header: Depth=1
                                        ;     Child Loop BB218_114 Depth 2
	s_or_b32 s13, s11, 2
	s_or_b32 s8, s11, 3
	v_lshl_add_u32 v29, s11, 8, v25
	s_or_b32 s9, s11, 1
	v_lshl_add_u32 v27, s13, 8, v25
	v_lshl_add_u32 v28, s9, 8, v25
	ds_read_b128 v[17:20], v29
	ds_read_b128 v[13:16], v28
	v_lshl_add_u32 v26, s8, 8, v25
	ds_read_b128 v[5:8], v27
	ds_read_b128 v[1:4], v26
	s_cmp_eq_u32 s11, 0
	s_mov_b32 s14, s10
	v_mov_b32_e32 v9, v25
	s_mov_b32 s15, s11
	s_cbranch_scc1 .LBB218_115
.LBB218_114:                            ;   Parent Loop BB218_113 Depth=1
                                        ; =>  This Inner Loop Header: Depth=2
	v_mov_b32_e32 v10, s14
	ds_read_b128 v[21:24], v9
	ds_read_b128 v[30:33], v10
	ds_read_b128 v[34:37], v10 offset:256
	ds_read_b128 v[38:41], v10 offset:512
	;; [unrolled: 1-line block ×3, first 2 shown]
	s_add_i32 s15, s15, -1
	s_add_i32 s14, s14, 16
	s_cmp_eq_u32 s15, 0
	s_waitcnt lgkmcnt(3)
	v_mul_f64 v[10:11], v[23:24], v[32:33]
	v_mul_f64 v[32:33], v[21:22], v[32:33]
	s_waitcnt lgkmcnt(2)
	v_mul_f64 v[46:47], v[23:24], v[36:37]
	v_mul_f64 v[36:37], v[21:22], v[36:37]
	;; [unrolled: 3-line block ×4, first 2 shown]
	v_fma_f64 v[10:11], v[21:22], v[30:31], -v[10:11]
	v_fma_f64 v[30:31], v[23:24], v[30:31], v[32:33]
	v_fma_f64 v[32:33], v[21:22], v[34:35], -v[46:47]
	v_fma_f64 v[34:35], v[23:24], v[34:35], v[36:37]
	;; [unrolled: 2-line block ×4, first 2 shown]
	v_add_f64 v[17:18], v[17:18], -v[10:11]
	v_add_f64 v[19:20], v[19:20], -v[30:31]
	;; [unrolled: 1-line block ×8, first 2 shown]
	v_add_u32_e32 v9, 0x100, v9
	s_cbranch_scc0 .LBB218_114
.LBB218_115:                            ;   in Loop: Header=BB218_113 Depth=1
	s_lshl_b32 s15, s13, 4
	s_lshl_b32 s13, s8, 4
	s_mul_i32 s8, s11, 0x110
	v_mov_b32_e32 v9, s8
	ds_read_b128 v[21:24], v9
	s_lshl_b32 s16, s9, 4
	s_mov_b64 s[8:9], -1
                                        ; implicit-def: $vgpr11_vgpr12
	s_waitcnt lgkmcnt(0)
	v_cmp_ngt_f64_e64 s[18:19], |v[21:22]|, |v[23:24]|
	s_and_b64 vcc, exec, s[18:19]
	s_cbranch_vccz .LBB218_117
; %bb.116:                              ;   in Loop: Header=BB218_113 Depth=1
	v_div_scale_f64 v[9:10], s[8:9], v[23:24], v[23:24], v[21:22]
	v_rcp_f64_e32 v[11:12], v[9:10]
	v_fma_f64 v[30:31], -v[9:10], v[11:12], 1.0
	v_fma_f64 v[11:12], v[11:12], v[30:31], v[11:12]
	v_div_scale_f64 v[30:31], vcc, v[21:22], v[23:24], v[21:22]
	v_fma_f64 v[32:33], -v[9:10], v[11:12], 1.0
	v_fma_f64 v[11:12], v[11:12], v[32:33], v[11:12]
	v_mul_f64 v[32:33], v[30:31], v[11:12]
	v_fma_f64 v[9:10], -v[9:10], v[32:33], v[30:31]
	v_div_fmas_f64 v[9:10], v[9:10], v[11:12], v[32:33]
	v_div_fixup_f64 v[9:10], v[9:10], v[23:24], v[21:22]
	v_fma_f64 v[11:12], v[21:22], v[9:10], v[23:24]
	v_div_scale_f64 v[30:31], s[8:9], v[11:12], v[11:12], 1.0
	s_mov_b64 s[8:9], 0
	v_rcp_f64_e32 v[32:33], v[30:31]
	v_fma_f64 v[34:35], -v[30:31], v[32:33], 1.0
	v_fma_f64 v[32:33], v[32:33], v[34:35], v[32:33]
	v_div_scale_f64 v[34:35], vcc, 1.0, v[11:12], 1.0
	v_fma_f64 v[36:37], -v[30:31], v[32:33], 1.0
	v_fma_f64 v[32:33], v[32:33], v[36:37], v[32:33]
	v_mul_f64 v[36:37], v[34:35], v[32:33]
	v_fma_f64 v[30:31], -v[30:31], v[36:37], v[34:35]
	v_div_fmas_f64 v[30:31], v[30:31], v[32:33], v[36:37]
	v_fma_f64 v[32:33], v[17:18], v[9:10], v[19:20]
	v_div_fixup_f64 v[11:12], v[30:31], v[11:12], 1.0
	v_fma_f64 v[30:31], v[19:20], v[9:10], -v[17:18]
	v_mul_f64 v[9:10], v[32:33], v[11:12]
	v_mul_f64 v[11:12], v[30:31], v[11:12]
.LBB218_117:                            ;   in Loop: Header=BB218_113 Depth=1
	s_andn2_b64 vcc, exec, s[8:9]
	s_cbranch_vccnz .LBB218_119
; %bb.118:                              ;   in Loop: Header=BB218_113 Depth=1
	v_div_scale_f64 v[9:10], s[8:9], v[21:22], v[21:22], v[23:24]
	v_rcp_f64_e32 v[11:12], v[9:10]
	v_fma_f64 v[30:31], -v[9:10], v[11:12], 1.0
	v_fma_f64 v[11:12], v[11:12], v[30:31], v[11:12]
	v_div_scale_f64 v[30:31], vcc, v[23:24], v[21:22], v[23:24]
	v_fma_f64 v[32:33], -v[9:10], v[11:12], 1.0
	v_fma_f64 v[11:12], v[11:12], v[32:33], v[11:12]
	v_mul_f64 v[32:33], v[30:31], v[11:12]
	v_fma_f64 v[9:10], -v[9:10], v[32:33], v[30:31]
	v_div_fmas_f64 v[9:10], v[9:10], v[11:12], v[32:33]
	v_div_fixup_f64 v[9:10], v[9:10], v[21:22], v[23:24]
	v_fma_f64 v[11:12], v[23:24], v[9:10], v[21:22]
	v_div_scale_f64 v[21:22], s[8:9], v[11:12], v[11:12], 1.0
	v_rcp_f64_e32 v[23:24], v[21:22]
	v_fma_f64 v[30:31], -v[21:22], v[23:24], 1.0
	v_fma_f64 v[23:24], v[23:24], v[30:31], v[23:24]
	v_div_scale_f64 v[30:31], vcc, 1.0, v[11:12], 1.0
	v_fma_f64 v[32:33], -v[21:22], v[23:24], 1.0
	v_fma_f64 v[23:24], v[23:24], v[32:33], v[23:24]
	v_mul_f64 v[32:33], v[30:31], v[23:24]
	v_fma_f64 v[21:22], -v[21:22], v[32:33], v[30:31]
	v_div_fmas_f64 v[21:22], v[21:22], v[23:24], v[32:33]
	v_fma_f64 v[23:24], v[19:20], v[9:10], v[17:18]
	v_fma_f64 v[17:18], -v[17:18], v[9:10], v[19:20]
	v_div_fixup_f64 v[11:12], v[21:22], v[11:12], 1.0
	v_mul_f64 v[9:10], v[23:24], v[11:12]
	v_mul_f64 v[11:12], v[17:18], v[11:12]
.LBB218_119:                            ;   in Loop: Header=BB218_113 Depth=1
	s_lshl_b32 s8, s16, 4
	s_lshl_b32 s14, s11, 4
	s_add_i32 s9, s8, s14
	v_mov_b32_e32 v17, s9
	ds_read_b128 v[21:24], v17
	s_add_i32 s8, s8, s16
	v_mov_b32_e32 v17, s8
	ds_read_b128 v[17:20], v17
	s_mov_b64 s[8:9], -1
	s_waitcnt lgkmcnt(1)
	v_mul_f64 v[30:31], v[11:12], v[23:24]
	v_mul_f64 v[23:24], v[9:10], v[23:24]
	ds_write_b128 v29, v[9:12]
	s_waitcnt lgkmcnt(1)
	v_cmp_ngt_f64_e64 s[16:17], |v[17:18]|, |v[19:20]|
	v_fma_f64 v[30:31], v[9:10], v[21:22], -v[30:31]
	v_fma_f64 v[23:24], v[11:12], v[21:22], v[23:24]
	s_and_b64 vcc, exec, s[16:17]
	v_add_f64 v[21:22], v[13:14], -v[30:31]
	v_add_f64 v[23:24], v[15:16], -v[23:24]
                                        ; implicit-def: $vgpr15_vgpr16
	s_cbranch_vccz .LBB218_121
; %bb.120:                              ;   in Loop: Header=BB218_113 Depth=1
	v_div_scale_f64 v[13:14], s[8:9], v[19:20], v[19:20], v[17:18]
	v_rcp_f64_e32 v[15:16], v[13:14]
	v_fma_f64 v[29:30], -v[13:14], v[15:16], 1.0
	v_fma_f64 v[15:16], v[15:16], v[29:30], v[15:16]
	v_div_scale_f64 v[29:30], vcc, v[17:18], v[19:20], v[17:18]
	v_fma_f64 v[31:32], -v[13:14], v[15:16], 1.0
	v_fma_f64 v[15:16], v[15:16], v[31:32], v[15:16]
	v_mul_f64 v[31:32], v[29:30], v[15:16]
	v_fma_f64 v[13:14], -v[13:14], v[31:32], v[29:30]
	v_div_fmas_f64 v[13:14], v[13:14], v[15:16], v[31:32]
	v_div_fixup_f64 v[13:14], v[13:14], v[19:20], v[17:18]
	v_fma_f64 v[15:16], v[17:18], v[13:14], v[19:20]
	v_div_scale_f64 v[29:30], s[8:9], v[15:16], v[15:16], 1.0
	s_mov_b64 s[8:9], 0
	v_rcp_f64_e32 v[31:32], v[29:30]
	v_fma_f64 v[33:34], -v[29:30], v[31:32], 1.0
	v_fma_f64 v[31:32], v[31:32], v[33:34], v[31:32]
	v_div_scale_f64 v[33:34], vcc, 1.0, v[15:16], 1.0
	v_fma_f64 v[35:36], -v[29:30], v[31:32], 1.0
	v_fma_f64 v[31:32], v[31:32], v[35:36], v[31:32]
	v_mul_f64 v[35:36], v[33:34], v[31:32]
	v_fma_f64 v[29:30], -v[29:30], v[35:36], v[33:34]
	v_div_fmas_f64 v[29:30], v[29:30], v[31:32], v[35:36]
	v_fma_f64 v[31:32], v[13:14], v[21:22], v[23:24]
	v_div_fixup_f64 v[15:16], v[29:30], v[15:16], 1.0
	v_fma_f64 v[29:30], v[13:14], v[23:24], -v[21:22]
	v_mul_f64 v[13:14], v[31:32], v[15:16]
	v_mul_f64 v[15:16], v[29:30], v[15:16]
.LBB218_121:                            ;   in Loop: Header=BB218_113 Depth=1
	s_andn2_b64 vcc, exec, s[8:9]
	s_cbranch_vccnz .LBB218_123
; %bb.122:                              ;   in Loop: Header=BB218_113 Depth=1
	v_div_scale_f64 v[13:14], s[8:9], v[17:18], v[17:18], v[19:20]
	v_rcp_f64_e32 v[15:16], v[13:14]
	v_fma_f64 v[29:30], -v[13:14], v[15:16], 1.0
	v_fma_f64 v[15:16], v[15:16], v[29:30], v[15:16]
	v_div_scale_f64 v[29:30], vcc, v[19:20], v[17:18], v[19:20]
	v_fma_f64 v[31:32], -v[13:14], v[15:16], 1.0
	v_fma_f64 v[15:16], v[15:16], v[31:32], v[15:16]
	v_mul_f64 v[31:32], v[29:30], v[15:16]
	v_fma_f64 v[13:14], -v[13:14], v[31:32], v[29:30]
	v_div_fmas_f64 v[13:14], v[13:14], v[15:16], v[31:32]
	v_div_fixup_f64 v[13:14], v[13:14], v[17:18], v[19:20]
	v_fma_f64 v[15:16], v[19:20], v[13:14], v[17:18]
	v_div_scale_f64 v[17:18], s[8:9], v[15:16], v[15:16], 1.0
	v_rcp_f64_e32 v[19:20], v[17:18]
	v_fma_f64 v[29:30], -v[17:18], v[19:20], 1.0
	v_fma_f64 v[19:20], v[19:20], v[29:30], v[19:20]
	v_div_scale_f64 v[29:30], vcc, 1.0, v[15:16], 1.0
	v_fma_f64 v[31:32], -v[17:18], v[19:20], 1.0
	v_fma_f64 v[19:20], v[19:20], v[31:32], v[19:20]
	v_mul_f64 v[31:32], v[29:30], v[19:20]
	v_fma_f64 v[17:18], -v[17:18], v[31:32], v[29:30]
	v_div_fmas_f64 v[17:18], v[17:18], v[19:20], v[31:32]
	v_fma_f64 v[19:20], v[13:14], v[23:24], v[21:22]
	v_div_fixup_f64 v[15:16], v[17:18], v[15:16], 1.0
	v_fma_f64 v[17:18], -v[13:14], v[21:22], v[23:24]
	v_mul_f64 v[13:14], v[19:20], v[15:16]
	v_mul_f64 v[15:16], v[17:18], v[15:16]
.LBB218_123:                            ;   in Loop: Header=BB218_113 Depth=1
	s_lshl_b32 s8, s15, 4
	s_add_i32 s9, s8, s14
	v_mov_b32_e32 v21, s9
	ds_read_b128 v[17:20], v21
	ds_read_b128 v[21:24], v21 offset:16
	s_add_i32 s8, s8, s15
	ds_write_b128 v28, v[13:16]
	s_waitcnt lgkmcnt(2)
	v_mul_f64 v[29:30], v[11:12], v[19:20]
	v_mul_f64 v[19:20], v[9:10], v[19:20]
	s_waitcnt lgkmcnt(1)
	v_mul_f64 v[31:32], v[15:16], v[23:24]
	v_mul_f64 v[23:24], v[13:14], v[23:24]
	v_fma_f64 v[29:30], v[9:10], v[17:18], -v[29:30]
	v_fma_f64 v[33:34], v[11:12], v[17:18], v[19:20]
	v_fma_f64 v[31:32], v[13:14], v[21:22], -v[31:32]
	v_fma_f64 v[23:24], v[15:16], v[21:22], v[23:24]
	v_mov_b32_e32 v17, s8
	ds_read_b128 v[17:20], v17
	s_mov_b64 s[8:9], -1
	v_add_f64 v[5:6], v[5:6], -v[29:30]
	v_add_f64 v[7:8], v[7:8], -v[33:34]
	s_waitcnt lgkmcnt(0)
	v_cmp_ngt_f64_e64 s[16:17], |v[17:18]|, |v[19:20]|
	v_add_f64 v[21:22], v[5:6], -v[31:32]
	v_add_f64 v[23:24], v[7:8], -v[23:24]
	s_and_b64 vcc, exec, s[16:17]
                                        ; implicit-def: $vgpr7_vgpr8
	s_cbranch_vccz .LBB218_125
; %bb.124:                              ;   in Loop: Header=BB218_113 Depth=1
	v_div_scale_f64 v[5:6], s[8:9], v[19:20], v[19:20], v[17:18]
	v_rcp_f64_e32 v[7:8], v[5:6]
	v_fma_f64 v[28:29], -v[5:6], v[7:8], 1.0
	v_fma_f64 v[7:8], v[7:8], v[28:29], v[7:8]
	v_div_scale_f64 v[28:29], vcc, v[17:18], v[19:20], v[17:18]
	v_fma_f64 v[30:31], -v[5:6], v[7:8], 1.0
	v_fma_f64 v[7:8], v[7:8], v[30:31], v[7:8]
	v_mul_f64 v[30:31], v[28:29], v[7:8]
	v_fma_f64 v[5:6], -v[5:6], v[30:31], v[28:29]
	v_div_fmas_f64 v[5:6], v[5:6], v[7:8], v[30:31]
	v_div_fixup_f64 v[5:6], v[5:6], v[19:20], v[17:18]
	v_fma_f64 v[7:8], v[17:18], v[5:6], v[19:20]
	v_div_scale_f64 v[28:29], s[8:9], v[7:8], v[7:8], 1.0
	s_mov_b64 s[8:9], 0
	v_rcp_f64_e32 v[30:31], v[28:29]
	v_fma_f64 v[32:33], -v[28:29], v[30:31], 1.0
	v_fma_f64 v[30:31], v[30:31], v[32:33], v[30:31]
	v_div_scale_f64 v[32:33], vcc, 1.0, v[7:8], 1.0
	v_fma_f64 v[34:35], -v[28:29], v[30:31], 1.0
	v_fma_f64 v[30:31], v[30:31], v[34:35], v[30:31]
	v_mul_f64 v[34:35], v[32:33], v[30:31]
	v_fma_f64 v[28:29], -v[28:29], v[34:35], v[32:33]
	v_div_fmas_f64 v[28:29], v[28:29], v[30:31], v[34:35]
	v_fma_f64 v[30:31], v[5:6], v[21:22], v[23:24]
	v_div_fixup_f64 v[7:8], v[28:29], v[7:8], 1.0
	v_fma_f64 v[28:29], v[5:6], v[23:24], -v[21:22]
	v_mul_f64 v[5:6], v[30:31], v[7:8]
	v_mul_f64 v[7:8], v[28:29], v[7:8]
.LBB218_125:                            ;   in Loop: Header=BB218_113 Depth=1
	s_andn2_b64 vcc, exec, s[8:9]
	s_cbranch_vccnz .LBB218_127
; %bb.126:                              ;   in Loop: Header=BB218_113 Depth=1
	v_div_scale_f64 v[5:6], s[8:9], v[17:18], v[17:18], v[19:20]
	v_rcp_f64_e32 v[7:8], v[5:6]
	v_fma_f64 v[28:29], -v[5:6], v[7:8], 1.0
	v_fma_f64 v[7:8], v[7:8], v[28:29], v[7:8]
	v_div_scale_f64 v[28:29], vcc, v[19:20], v[17:18], v[19:20]
	v_fma_f64 v[30:31], -v[5:6], v[7:8], 1.0
	v_fma_f64 v[7:8], v[7:8], v[30:31], v[7:8]
	v_mul_f64 v[30:31], v[28:29], v[7:8]
	v_fma_f64 v[5:6], -v[5:6], v[30:31], v[28:29]
	v_div_fmas_f64 v[5:6], v[5:6], v[7:8], v[30:31]
	v_div_fixup_f64 v[5:6], v[5:6], v[17:18], v[19:20]
	v_fma_f64 v[7:8], v[19:20], v[5:6], v[17:18]
	v_div_scale_f64 v[17:18], s[8:9], v[7:8], v[7:8], 1.0
	v_rcp_f64_e32 v[19:20], v[17:18]
	v_fma_f64 v[28:29], -v[17:18], v[19:20], 1.0
	v_fma_f64 v[19:20], v[19:20], v[28:29], v[19:20]
	v_div_scale_f64 v[28:29], vcc, 1.0, v[7:8], 1.0
	v_fma_f64 v[30:31], -v[17:18], v[19:20], 1.0
	v_fma_f64 v[19:20], v[19:20], v[30:31], v[19:20]
	v_mul_f64 v[30:31], v[28:29], v[19:20]
	v_fma_f64 v[17:18], -v[17:18], v[30:31], v[28:29]
	v_div_fmas_f64 v[17:18], v[17:18], v[19:20], v[30:31]
	v_fma_f64 v[19:20], v[5:6], v[23:24], v[21:22]
	v_div_fixup_f64 v[7:8], v[17:18], v[7:8], 1.0
	v_fma_f64 v[17:18], -v[5:6], v[21:22], v[23:24]
	v_mul_f64 v[5:6], v[19:20], v[7:8]
	v_mul_f64 v[7:8], v[17:18], v[7:8]
.LBB218_127:                            ;   in Loop: Header=BB218_113 Depth=1
	s_lshl_b32 s8, s13, 4
	s_add_i32 s9, s8, s14
	v_mov_b32_e32 v28, s9
	ds_read_b128 v[17:20], v28
	ds_read_b128 v[21:24], v28 offset:16
	ds_read_b128 v[28:31], v28 offset:32
	s_add_i32 s8, s8, s13
	ds_write_b128 v27, v[5:8]
	s_waitcnt lgkmcnt(3)
	v_mul_f64 v[32:33], v[11:12], v[19:20]
	v_mul_f64 v[19:20], v[9:10], v[19:20]
	s_waitcnt lgkmcnt(2)
	v_mul_f64 v[34:35], v[15:16], v[23:24]
	v_mul_f64 v[23:24], v[13:14], v[23:24]
	v_fma_f64 v[32:33], v[9:10], v[17:18], -v[32:33]
	v_fma_f64 v[17:18], v[11:12], v[17:18], v[19:20]
	v_mov_b32_e32 v9, s8
	ds_read_b128 v[9:12], v9
	s_waitcnt lgkmcnt(2)
	v_mul_f64 v[19:20], v[7:8], v[30:31]
	v_mul_f64 v[30:31], v[5:6], v[30:31]
	v_fma_f64 v[13:14], v[13:14], v[21:22], -v[34:35]
	v_fma_f64 v[15:16], v[15:16], v[21:22], v[23:24]
	v_add_f64 v[1:2], v[1:2], -v[32:33]
	v_add_f64 v[3:4], v[3:4], -v[17:18]
	s_waitcnt lgkmcnt(0)
	v_cmp_ngt_f64_e64 s[14:15], |v[9:10]|, |v[11:12]|
	s_mov_b64 s[8:9], -1
	v_fma_f64 v[17:18], v[5:6], v[28:29], -v[19:20]
	v_fma_f64 v[19:20], v[7:8], v[28:29], v[30:31]
	v_add_f64 v[1:2], v[1:2], -v[13:14]
	v_add_f64 v[3:4], v[3:4], -v[15:16]
	s_and_b64 vcc, exec, s[14:15]
	v_add_f64 v[13:14], v[1:2], -v[17:18]
	v_add_f64 v[15:16], v[3:4], -v[19:20]
                                        ; implicit-def: $vgpr3_vgpr4
	s_cbranch_vccz .LBB218_129
; %bb.128:                              ;   in Loop: Header=BB218_113 Depth=1
	v_div_scale_f64 v[1:2], s[8:9], v[11:12], v[11:12], v[9:10]
	v_rcp_f64_e32 v[3:4], v[1:2]
	v_fma_f64 v[5:6], -v[1:2], v[3:4], 1.0
	v_fma_f64 v[3:4], v[3:4], v[5:6], v[3:4]
	v_div_scale_f64 v[5:6], vcc, v[9:10], v[11:12], v[9:10]
	v_fma_f64 v[7:8], -v[1:2], v[3:4], 1.0
	v_fma_f64 v[3:4], v[3:4], v[7:8], v[3:4]
	v_mul_f64 v[7:8], v[5:6], v[3:4]
	v_fma_f64 v[1:2], -v[1:2], v[7:8], v[5:6]
	v_div_fmas_f64 v[1:2], v[1:2], v[3:4], v[7:8]
	v_div_fixup_f64 v[1:2], v[1:2], v[11:12], v[9:10]
	v_fma_f64 v[3:4], v[9:10], v[1:2], v[11:12]
	v_div_scale_f64 v[5:6], s[8:9], v[3:4], v[3:4], 1.0
	s_mov_b64 s[8:9], 0
	v_rcp_f64_e32 v[7:8], v[5:6]
	v_fma_f64 v[17:18], -v[5:6], v[7:8], 1.0
	v_fma_f64 v[7:8], v[7:8], v[17:18], v[7:8]
	v_div_scale_f64 v[17:18], vcc, 1.0, v[3:4], 1.0
	v_fma_f64 v[19:20], -v[5:6], v[7:8], 1.0
	v_fma_f64 v[7:8], v[7:8], v[19:20], v[7:8]
	v_mul_f64 v[19:20], v[17:18], v[7:8]
	v_fma_f64 v[5:6], -v[5:6], v[19:20], v[17:18]
	v_div_fmas_f64 v[5:6], v[5:6], v[7:8], v[19:20]
	v_fma_f64 v[7:8], v[1:2], v[13:14], v[15:16]
	v_div_fixup_f64 v[3:4], v[5:6], v[3:4], 1.0
	v_fma_f64 v[5:6], v[1:2], v[15:16], -v[13:14]
	v_mul_f64 v[1:2], v[7:8], v[3:4]
	v_mul_f64 v[3:4], v[5:6], v[3:4]
.LBB218_129:                            ;   in Loop: Header=BB218_113 Depth=1
	s_andn2_b64 vcc, exec, s[8:9]
	s_cbranch_vccnz .LBB218_131
; %bb.130:                              ;   in Loop: Header=BB218_113 Depth=1
	v_div_scale_f64 v[1:2], s[8:9], v[9:10], v[9:10], v[11:12]
	v_rcp_f64_e32 v[3:4], v[1:2]
	v_fma_f64 v[5:6], -v[1:2], v[3:4], 1.0
	v_fma_f64 v[3:4], v[3:4], v[5:6], v[3:4]
	v_div_scale_f64 v[5:6], vcc, v[11:12], v[9:10], v[11:12]
	v_fma_f64 v[7:8], -v[1:2], v[3:4], 1.0
	v_fma_f64 v[3:4], v[3:4], v[7:8], v[3:4]
	v_mul_f64 v[7:8], v[5:6], v[3:4]
	v_fma_f64 v[1:2], -v[1:2], v[7:8], v[5:6]
	v_div_fmas_f64 v[1:2], v[1:2], v[3:4], v[7:8]
	v_div_fixup_f64 v[1:2], v[1:2], v[9:10], v[11:12]
	v_fma_f64 v[3:4], v[11:12], v[1:2], v[9:10]
	v_div_scale_f64 v[5:6], s[8:9], v[3:4], v[3:4], 1.0
	v_rcp_f64_e32 v[7:8], v[5:6]
	v_fma_f64 v[9:10], -v[5:6], v[7:8], 1.0
	v_fma_f64 v[7:8], v[7:8], v[9:10], v[7:8]
	v_div_scale_f64 v[9:10], vcc, 1.0, v[3:4], 1.0
	v_fma_f64 v[11:12], -v[5:6], v[7:8], 1.0
	v_fma_f64 v[7:8], v[7:8], v[11:12], v[7:8]
	v_mul_f64 v[11:12], v[9:10], v[7:8]
	v_fma_f64 v[5:6], -v[5:6], v[11:12], v[9:10]
	v_div_fmas_f64 v[5:6], v[5:6], v[7:8], v[11:12]
	v_fma_f64 v[7:8], v[1:2], v[15:16], v[13:14]
	v_div_fixup_f64 v[3:4], v[5:6], v[3:4], 1.0
	v_fma_f64 v[5:6], -v[1:2], v[13:14], v[15:16]
	v_mul_f64 v[1:2], v[7:8], v[3:4]
	v_mul_f64 v[3:4], v[5:6], v[3:4]
.LBB218_131:                            ;   in Loop: Header=BB218_113 Depth=1
	s_add_i32 s13, s11, 4
	s_add_i32 s8, s11, 7
	s_addk_i32 s10, 0x400
	s_cmp_ge_i32 s8, s25
	ds_write_b128 v26, v[1:4]
	s_cbranch_scc1 .LBB218_133
; %bb.132:                              ;   in Loop: Header=BB218_113 Depth=1
	s_mov_b32 s11, s13
	s_branch .LBB218_113
.LBB218_133:
	s_cmp_ge_i32 s13, s25
	s_cbranch_scc1 .LBB218_142
; %bb.134:
	v_mov_b32_e32 v1, 0x1000
	v_lshl_or_b32 v13, v0, 4, v1
	s_lshl_b32 s10, s13, 8
	s_branch .LBB218_136
.LBB218_135:                            ;   in Loop: Header=BB218_136 Depth=1
	s_add_i32 s13, s13, 1
	s_addk_i32 s10, 0x100
	s_cmp_ge_i32 s13, s25
	ds_write_b128 v14, v[9:12]
	s_cbranch_scc1 .LBB218_142
.LBB218_136:                            ; =>This Loop Header: Depth=1
                                        ;     Child Loop BB218_137 Depth 2
	v_lshl_add_u32 v14, s13, 8, v25
	ds_read_b128 v[1:4], v14
	s_cmp_eq_u32 s13, 0
	s_mov_b32 s8, s10
	v_mov_b32_e32 v5, v13
	s_mov_b32 s9, s13
	s_cbranch_scc1 .LBB218_138
.LBB218_137:                            ;   Parent Loop BB218_136 Depth=1
                                        ; =>  This Inner Loop Header: Depth=2
	v_mov_b32_e32 v10, s8
	ds_read_b128 v[6:9], v5
	ds_read_b128 v[15:18], v10
	s_add_i32 s9, s9, -1
	s_add_i32 s8, s8, 16
	s_cmp_eq_u32 s9, 0
	v_add_u32_e32 v5, 0x100, v5
	s_waitcnt lgkmcnt(0)
	v_mul_f64 v[10:11], v[17:18], v[8:9]
	v_mul_f64 v[8:9], v[15:16], v[8:9]
	v_fma_f64 v[10:11], v[15:16], v[6:7], -v[10:11]
	v_fma_f64 v[6:7], v[17:18], v[6:7], v[8:9]
	v_add_f64 v[1:2], v[1:2], -v[10:11]
	v_add_f64 v[3:4], v[3:4], -v[6:7]
	s_cbranch_scc0 .LBB218_137
.LBB218_138:                            ;   in Loop: Header=BB218_136 Depth=1
	s_mul_i32 s8, s13, 0x110
	v_mov_b32_e32 v5, s8
	ds_read_b128 v[5:8], v5
	s_mov_b64 s[8:9], -1
                                        ; implicit-def: $vgpr9_vgpr10
	s_waitcnt lgkmcnt(0)
	v_cmp_ngt_f64_e64 s[14:15], |v[5:6]|, |v[7:8]|
	s_and_b64 vcc, exec, s[14:15]
	s_cbranch_vccz .LBB218_140
; %bb.139:                              ;   in Loop: Header=BB218_136 Depth=1
	v_div_scale_f64 v[9:10], s[8:9], v[7:8], v[7:8], v[5:6]
	v_rcp_f64_e32 v[11:12], v[9:10]
	v_fma_f64 v[15:16], -v[9:10], v[11:12], 1.0
	v_fma_f64 v[11:12], v[11:12], v[15:16], v[11:12]
	v_div_scale_f64 v[15:16], vcc, v[5:6], v[7:8], v[5:6]
	v_fma_f64 v[17:18], -v[9:10], v[11:12], 1.0
	v_fma_f64 v[11:12], v[11:12], v[17:18], v[11:12]
	v_mul_f64 v[17:18], v[15:16], v[11:12]
	v_fma_f64 v[9:10], -v[9:10], v[17:18], v[15:16]
	v_div_fmas_f64 v[9:10], v[9:10], v[11:12], v[17:18]
	v_div_fixup_f64 v[9:10], v[9:10], v[7:8], v[5:6]
	v_fma_f64 v[11:12], v[5:6], v[9:10], v[7:8]
	v_div_scale_f64 v[15:16], s[8:9], v[11:12], v[11:12], 1.0
	s_mov_b64 s[8:9], 0
	v_rcp_f64_e32 v[17:18], v[15:16]
	v_fma_f64 v[19:20], -v[15:16], v[17:18], 1.0
	v_fma_f64 v[17:18], v[17:18], v[19:20], v[17:18]
	v_div_scale_f64 v[19:20], vcc, 1.0, v[11:12], 1.0
	v_fma_f64 v[21:22], -v[15:16], v[17:18], 1.0
	v_fma_f64 v[17:18], v[17:18], v[21:22], v[17:18]
	v_mul_f64 v[21:22], v[19:20], v[17:18]
	v_fma_f64 v[15:16], -v[15:16], v[21:22], v[19:20]
	v_div_fmas_f64 v[15:16], v[15:16], v[17:18], v[21:22]
	v_fma_f64 v[17:18], v[1:2], v[9:10], v[3:4]
	v_div_fixup_f64 v[11:12], v[15:16], v[11:12], 1.0
	v_fma_f64 v[15:16], v[3:4], v[9:10], -v[1:2]
	v_mul_f64 v[9:10], v[17:18], v[11:12]
	v_mul_f64 v[11:12], v[15:16], v[11:12]
.LBB218_140:                            ;   in Loop: Header=BB218_136 Depth=1
	s_andn2_b64 vcc, exec, s[8:9]
	s_cbranch_vccnz .LBB218_135
; %bb.141:                              ;   in Loop: Header=BB218_136 Depth=1
	v_div_scale_f64 v[9:10], s[8:9], v[5:6], v[5:6], v[7:8]
	v_rcp_f64_e32 v[11:12], v[9:10]
	v_fma_f64 v[15:16], -v[9:10], v[11:12], 1.0
	v_fma_f64 v[11:12], v[11:12], v[15:16], v[11:12]
	v_div_scale_f64 v[15:16], vcc, v[7:8], v[5:6], v[7:8]
	v_fma_f64 v[17:18], -v[9:10], v[11:12], 1.0
	v_fma_f64 v[11:12], v[11:12], v[17:18], v[11:12]
	v_mul_f64 v[17:18], v[15:16], v[11:12]
	v_fma_f64 v[9:10], -v[9:10], v[17:18], v[15:16]
	v_div_fmas_f64 v[9:10], v[9:10], v[11:12], v[17:18]
	v_div_fixup_f64 v[9:10], v[9:10], v[5:6], v[7:8]
	v_fma_f64 v[5:6], v[7:8], v[9:10], v[5:6]
	v_div_scale_f64 v[7:8], s[8:9], v[5:6], v[5:6], 1.0
	v_rcp_f64_e32 v[11:12], v[7:8]
	v_fma_f64 v[15:16], -v[7:8], v[11:12], 1.0
	v_fma_f64 v[11:12], v[11:12], v[15:16], v[11:12]
	v_div_scale_f64 v[15:16], vcc, 1.0, v[5:6], 1.0
	v_fma_f64 v[17:18], -v[7:8], v[11:12], 1.0
	v_fma_f64 v[11:12], v[11:12], v[17:18], v[11:12]
	v_mul_f64 v[17:18], v[15:16], v[11:12]
	v_fma_f64 v[7:8], -v[7:8], v[17:18], v[15:16]
	v_div_fmas_f64 v[7:8], v[7:8], v[11:12], v[17:18]
	v_fma_f64 v[11:12], v[3:4], v[9:10], v[1:2]
	v_fma_f64 v[1:2], -v[1:2], v[9:10], v[3:4]
	v_div_fixup_f64 v[5:6], v[7:8], v[5:6], 1.0
	v_mul_f64 v[9:10], v[11:12], v[5:6]
	v_mul_f64 v[11:12], v[1:2], v[5:6]
	s_branch .LBB218_135
.LBB218_142:
	s_and_saveexec_b64 s[8:9], s[0:1]
	s_cbranch_execz .LBB218_146
; %bb.143:
	s_cmp_lt_i32 s24, 1
	s_cbranch_scc1 .LBB218_146
; %bb.144:
	s_lshl_b64 s[0:1], s[4:5], 4
	s_add_u32 s2, s2, s0
	s_addc_u32 s3, s3, s1
	s_lshl_b64 s[0:1], s[20:21], 4
	s_add_u32 s0, s2, s0
	s_addc_u32 s1, s3, s1
	s_add_u32 s0, s0, s6
	s_addc_u32 s1, s1, s7
	s_ashr_i32 s13, s12, 31
	v_lshlrev_b32_e32 v2, 4, v0
	v_mov_b32_e32 v1, s1
	v_add_co_u32_e32 v0, vcc, s0, v2
	s_lshl_b64 s[0:1], s[12:13], 4
	v_addc_co_u32_e32 v1, vcc, 0, v1, vcc
	v_or_b32_e32 v2, 0x1000, v2
	v_mov_b32_e32 v3, s1
.LBB218_145:                            ; =>This Inner Loop Header: Depth=1
	ds_read2_b64 v[4:7], v2 offset1:1
	s_add_i32 s24, s24, -1
	v_add_u32_e32 v2, 0x100, v2
	s_cmp_lg_u32 s24, 0
	s_waitcnt lgkmcnt(0)
	global_store_dwordx4 v[0:1], v[4:7], off
	v_add_co_u32_e32 v0, vcc, s0, v0
	v_addc_co_u32_e32 v1, vcc, v1, v3, vcc
	s_cbranch_scc1 .LBB218_145
.LBB218_146:
	s_endpgm
	.section	.rodata,"a",@progbits
	.p2align	6, 0x0
	.amdhsa_kernel _ZL31rocblas_trsm_small_right_deviceI19rocblas_complex_numIdES1_PKS1_PS1_Li16EEv13rocblas_fill_18rocblas_operation_17rocblas_diagonal_iiT0_T1_lilT2_lili
		.amdhsa_group_segment_fixed_size 8192
		.amdhsa_private_segment_fixed_size 0
		.amdhsa_kernarg_size 368
		.amdhsa_user_sgpr_count 6
		.amdhsa_user_sgpr_private_segment_buffer 1
		.amdhsa_user_sgpr_dispatch_ptr 0
		.amdhsa_user_sgpr_queue_ptr 0
		.amdhsa_user_sgpr_kernarg_segment_ptr 1
		.amdhsa_user_sgpr_dispatch_id 0
		.amdhsa_user_sgpr_flat_scratch_init 0
		.amdhsa_user_sgpr_private_segment_size 0
		.amdhsa_uses_dynamic_stack 0
		.amdhsa_system_sgpr_private_segment_wavefront_offset 0
		.amdhsa_system_sgpr_workgroup_id_x 1
		.amdhsa_system_sgpr_workgroup_id_y 0
		.amdhsa_system_sgpr_workgroup_id_z 1
		.amdhsa_system_sgpr_workgroup_info 0
		.amdhsa_system_vgpr_workitem_id 0
		.amdhsa_next_free_vgpr 85
		.amdhsa_next_free_sgpr 98
		.amdhsa_reserve_vcc 1
		.amdhsa_reserve_flat_scratch 0
		.amdhsa_float_round_mode_32 0
		.amdhsa_float_round_mode_16_64 0
		.amdhsa_float_denorm_mode_32 3
		.amdhsa_float_denorm_mode_16_64 3
		.amdhsa_dx10_clamp 1
		.amdhsa_ieee_mode 1
		.amdhsa_fp16_overflow 0
		.amdhsa_exception_fp_ieee_invalid_op 0
		.amdhsa_exception_fp_denorm_src 0
		.amdhsa_exception_fp_ieee_div_zero 0
		.amdhsa_exception_fp_ieee_overflow 0
		.amdhsa_exception_fp_ieee_underflow 0
		.amdhsa_exception_fp_ieee_inexact 0
		.amdhsa_exception_int_div_zero 0
	.end_amdhsa_kernel
	.section	.text._ZL31rocblas_trsm_small_right_deviceI19rocblas_complex_numIdES1_PKS1_PS1_Li16EEv13rocblas_fill_18rocblas_operation_17rocblas_diagonal_iiT0_T1_lilT2_lili,"axG",@progbits,_ZL31rocblas_trsm_small_right_deviceI19rocblas_complex_numIdES1_PKS1_PS1_Li16EEv13rocblas_fill_18rocblas_operation_17rocblas_diagonal_iiT0_T1_lilT2_lili,comdat
.Lfunc_end218:
	.size	_ZL31rocblas_trsm_small_right_deviceI19rocblas_complex_numIdES1_PKS1_PS1_Li16EEv13rocblas_fill_18rocblas_operation_17rocblas_diagonal_iiT0_T1_lilT2_lili, .Lfunc_end218-_ZL31rocblas_trsm_small_right_deviceI19rocblas_complex_numIdES1_PKS1_PS1_Li16EEv13rocblas_fill_18rocblas_operation_17rocblas_diagonal_iiT0_T1_lilT2_lili
                                        ; -- End function
	.set _ZL31rocblas_trsm_small_right_deviceI19rocblas_complex_numIdES1_PKS1_PS1_Li16EEv13rocblas_fill_18rocblas_operation_17rocblas_diagonal_iiT0_T1_lilT2_lili.num_vgpr, 53
	.set _ZL31rocblas_trsm_small_right_deviceI19rocblas_complex_numIdES1_PKS1_PS1_Li16EEv13rocblas_fill_18rocblas_operation_17rocblas_diagonal_iiT0_T1_lilT2_lili.num_agpr, 0
	.set _ZL31rocblas_trsm_small_right_deviceI19rocblas_complex_numIdES1_PKS1_PS1_Li16EEv13rocblas_fill_18rocblas_operation_17rocblas_diagonal_iiT0_T1_lilT2_lili.numbered_sgpr, 30
	.set _ZL31rocblas_trsm_small_right_deviceI19rocblas_complex_numIdES1_PKS1_PS1_Li16EEv13rocblas_fill_18rocblas_operation_17rocblas_diagonal_iiT0_T1_lilT2_lili.num_named_barrier, 0
	.set _ZL31rocblas_trsm_small_right_deviceI19rocblas_complex_numIdES1_PKS1_PS1_Li16EEv13rocblas_fill_18rocblas_operation_17rocblas_diagonal_iiT0_T1_lilT2_lili.private_seg_size, 0
	.set _ZL31rocblas_trsm_small_right_deviceI19rocblas_complex_numIdES1_PKS1_PS1_Li16EEv13rocblas_fill_18rocblas_operation_17rocblas_diagonal_iiT0_T1_lilT2_lili.uses_vcc, 1
	.set _ZL31rocblas_trsm_small_right_deviceI19rocblas_complex_numIdES1_PKS1_PS1_Li16EEv13rocblas_fill_18rocblas_operation_17rocblas_diagonal_iiT0_T1_lilT2_lili.uses_flat_scratch, 0
	.set _ZL31rocblas_trsm_small_right_deviceI19rocblas_complex_numIdES1_PKS1_PS1_Li16EEv13rocblas_fill_18rocblas_operation_17rocblas_diagonal_iiT0_T1_lilT2_lili.has_dyn_sized_stack, 0
	.set _ZL31rocblas_trsm_small_right_deviceI19rocblas_complex_numIdES1_PKS1_PS1_Li16EEv13rocblas_fill_18rocblas_operation_17rocblas_diagonal_iiT0_T1_lilT2_lili.has_recursion, 0
	.set _ZL31rocblas_trsm_small_right_deviceI19rocblas_complex_numIdES1_PKS1_PS1_Li16EEv13rocblas_fill_18rocblas_operation_17rocblas_diagonal_iiT0_T1_lilT2_lili.has_indirect_call, 0
	.section	.AMDGPU.csdata,"",@progbits
; Kernel info:
; codeLenInByte = 14628
; TotalNumSgprs: 34
; NumVgprs: 53
; ScratchSize: 0
; MemoryBound: 0
; FloatMode: 240
; IeeeMode: 1
; LDSByteSize: 8192 bytes/workgroup (compile time only)
; SGPRBlocks: 12
; VGPRBlocks: 21
; NumSGPRsForWavesPerEU: 102
; NumVGPRsForWavesPerEU: 85
; Occupancy: 2
; WaveLimiterHint : 0
; COMPUTE_PGM_RSRC2:SCRATCH_EN: 0
; COMPUTE_PGM_RSRC2:USER_SGPR: 6
; COMPUTE_PGM_RSRC2:TRAP_HANDLER: 0
; COMPUTE_PGM_RSRC2:TGID_X_EN: 1
; COMPUTE_PGM_RSRC2:TGID_Y_EN: 0
; COMPUTE_PGM_RSRC2:TGID_Z_EN: 1
; COMPUTE_PGM_RSRC2:TIDIG_COMP_CNT: 0
	.section	.text._ZL38rocblas_trsm_small_left_device_sharedBILi20ELi20ELb0E19rocblas_complex_numIdES1_PKS1_PS1_Ev13rocblas_fill_18rocblas_operation_17rocblas_diagonal_iiT3_T4_lilT5_lili,"axG",@progbits,_ZL38rocblas_trsm_small_left_device_sharedBILi20ELi20ELb0E19rocblas_complex_numIdES1_PKS1_PS1_Ev13rocblas_fill_18rocblas_operation_17rocblas_diagonal_iiT3_T4_lilT5_lili,comdat
	.globl	_ZL38rocblas_trsm_small_left_device_sharedBILi20ELi20ELb0E19rocblas_complex_numIdES1_PKS1_PS1_Ev13rocblas_fill_18rocblas_operation_17rocblas_diagonal_iiT3_T4_lilT5_lili ; -- Begin function _ZL38rocblas_trsm_small_left_device_sharedBILi20ELi20ELb0E19rocblas_complex_numIdES1_PKS1_PS1_Ev13rocblas_fill_18rocblas_operation_17rocblas_diagonal_iiT3_T4_lilT5_lili
	.p2align	8
	.type	_ZL38rocblas_trsm_small_left_device_sharedBILi20ELi20ELb0E19rocblas_complex_numIdES1_PKS1_PS1_Ev13rocblas_fill_18rocblas_operation_17rocblas_diagonal_iiT3_T4_lilT5_lili,@function
_ZL38rocblas_trsm_small_left_device_sharedBILi20ELi20ELb0E19rocblas_complex_numIdES1_PKS1_PS1_Ev13rocblas_fill_18rocblas_operation_17rocblas_diagonal_iiT3_T4_lilT5_lili: ; @_ZL38rocblas_trsm_small_left_device_sharedBILi20ELi20ELb0E19rocblas_complex_numIdES1_PKS1_PS1_Ev13rocblas_fill_18rocblas_operation_17rocblas_diagonal_iiT3_T4_lilT5_lili
; %bb.0:
	s_add_u32 s0, s0, s8
	s_load_dwordx4 s[20:23], s[4:5], 0x4
	s_load_dwordx8 s[12:19], s[4:5], 0x18
	s_load_dwordx4 s[8:11], s[4:5], 0x40
	s_load_dwordx2 s[24:25], s[4:5], 0x50
	s_load_dword s29, s[4:5], 0x70
	s_addc_u32 s1, s1, 0
	s_waitcnt lgkmcnt(0)
	s_min_i32 s28, s22, 20
	v_cmp_gt_i32_e32 vcc, s28, v0
	s_and_saveexec_b64 s[26:27], vcc
	s_cbranch_execz .LBB219_11
; %bb.1:
	s_load_dword s30, s[4:5], 0x38
	s_mul_i32 s9, s9, s7
	s_mul_hi_u32 s33, s8, s7
	s_mul_i32 s8, s8, s7
	v_lshlrev_b32_e32 v3, 4, v0
	s_waitcnt lgkmcnt(0)
	s_ashr_i32 s31, s30, 31
	s_cmpk_eq_i32 s20, 0x71
	s_cselect_b64 vcc, -1, 0
	s_add_i32 s9, s33, s9
	s_lshl_b64 s[8:9], s[8:9], 4
	s_lshl_b64 s[18:19], s[18:19], 4
	s_add_u32 s8, s8, s18
	s_addc_u32 s9, s9, s19
	s_add_u32 s8, s16, s8
	s_addc_u32 s9, s17, s9
	v_mov_b32_e32 v1, s9
	v_add_co_u32_e64 v2, s[8:9], s8, v3
	v_addc_co_u32_e64 v4, s[8:9], 0, v1, s[8:9]
	v_add_co_u32_e64 v1, s[8:9], 8, v2
	s_lshl_b64 s[16:17], s[30:31], 4
	v_addc_co_u32_e64 v2, s[8:9], 0, v4, s[8:9]
	v_mov_b32_e32 v4, s17
	v_mov_b32_e32 v5, v3
	s_mov_b32 s17, s28
.LBB219_2:                              ; =>This Inner Loop Header: Depth=1
	global_load_dwordx4 v[6:9], v[1:2], off offset:-8
	s_add_i32 s17, s17, -1
	v_add_co_u32_e64 v1, s[8:9], s16, v1
	v_addc_co_u32_e64 v2, s[8:9], v2, v4, s[8:9]
	s_cmp_eq_u32 s17, 0
	s_waitcnt vmcnt(0)
	v_xor_b32_e32 v10, 0x80000000, v9
	v_cndmask_b32_e32 v9, v9, v10, vcc
	ds_write_b128 v5, v[6:9]
	v_add_u32_e32 v5, 0x140, v5
	s_cbranch_scc0 .LBB219_2
; %bb.3:
	v_mul_u32_u24_e32 v1, 0x140, v0
	s_cmpk_lg_i32 s21, 0x84
	v_add_u32_e32 v9, v3, v1
	s_cbranch_scc0 .LBB219_9
; %bb.4:
	ds_read_b128 v[1:4], v9
                                        ; implicit-def: $vgpr7_vgpr8
	s_waitcnt lgkmcnt(0)
	v_cmp_ngt_f64_e64 s[8:9], |v[1:2]|, |v[3:4]|
	s_and_saveexec_b64 s[16:17], s[8:9]
	s_xor_b64 s[8:9], exec, s[16:17]
	s_cbranch_execz .LBB219_6
; %bb.5:
	v_div_scale_f64 v[5:6], s[16:17], v[3:4], v[3:4], v[1:2]
	v_rcp_f64_e32 v[7:8], v[5:6]
	v_fma_f64 v[10:11], -v[5:6], v[7:8], 1.0
	v_fma_f64 v[7:8], v[7:8], v[10:11], v[7:8]
	v_div_scale_f64 v[10:11], vcc, v[1:2], v[3:4], v[1:2]
	v_fma_f64 v[12:13], -v[5:6], v[7:8], 1.0
	v_fma_f64 v[7:8], v[7:8], v[12:13], v[7:8]
	v_mul_f64 v[12:13], v[10:11], v[7:8]
	v_fma_f64 v[5:6], -v[5:6], v[12:13], v[10:11]
	v_div_fmas_f64 v[5:6], v[5:6], v[7:8], v[12:13]
	v_div_fixup_f64 v[5:6], v[5:6], v[3:4], v[1:2]
	v_fma_f64 v[1:2], v[1:2], v[5:6], v[3:4]
	v_div_scale_f64 v[3:4], s[16:17], v[1:2], v[1:2], 1.0
	v_rcp_f64_e32 v[7:8], v[3:4]
	v_fma_f64 v[10:11], -v[3:4], v[7:8], 1.0
	v_fma_f64 v[7:8], v[7:8], v[10:11], v[7:8]
	v_div_scale_f64 v[10:11], vcc, 1.0, v[1:2], 1.0
	v_fma_f64 v[12:13], -v[3:4], v[7:8], 1.0
	v_fma_f64 v[7:8], v[7:8], v[12:13], v[7:8]
	v_mul_f64 v[12:13], v[10:11], v[7:8]
	v_fma_f64 v[3:4], -v[3:4], v[12:13], v[10:11]
	v_div_fmas_f64 v[3:4], v[3:4], v[7:8], v[12:13]
	v_add_f64 v[7:8], v[5:6], 0
	v_div_fixup_f64 v[1:2], v[3:4], v[1:2], 1.0
	v_fma_f64 v[3:4], v[5:6], 0, -1.0
	v_mul_f64 v[5:6], v[7:8], v[1:2]
	v_mul_f64 v[7:8], v[3:4], v[1:2]
                                        ; implicit-def: $vgpr1_vgpr2
.LBB219_6:
	s_andn2_saveexec_b64 s[8:9], s[8:9]
	s_cbranch_execz .LBB219_8
; %bb.7:
	v_div_scale_f64 v[5:6], s[16:17], v[1:2], v[1:2], v[3:4]
	v_rcp_f64_e32 v[7:8], v[5:6]
	v_fma_f64 v[10:11], -v[5:6], v[7:8], 1.0
	v_fma_f64 v[7:8], v[7:8], v[10:11], v[7:8]
	v_div_scale_f64 v[10:11], vcc, v[3:4], v[1:2], v[3:4]
	v_fma_f64 v[12:13], -v[5:6], v[7:8], 1.0
	v_fma_f64 v[7:8], v[7:8], v[12:13], v[7:8]
	v_mul_f64 v[12:13], v[10:11], v[7:8]
	v_fma_f64 v[5:6], -v[5:6], v[12:13], v[10:11]
	v_div_fmas_f64 v[5:6], v[5:6], v[7:8], v[12:13]
	v_div_fixup_f64 v[5:6], v[5:6], v[1:2], v[3:4]
	v_fma_f64 v[1:2], v[3:4], v[5:6], v[1:2]
	v_div_scale_f64 v[3:4], s[16:17], v[1:2], v[1:2], 1.0
	v_rcp_f64_e32 v[7:8], v[3:4]
	v_fma_f64 v[10:11], -v[3:4], v[7:8], 1.0
	v_fma_f64 v[7:8], v[7:8], v[10:11], v[7:8]
	v_div_scale_f64 v[10:11], vcc, 1.0, v[1:2], 1.0
	v_fma_f64 v[12:13], -v[3:4], v[7:8], 1.0
	v_fma_f64 v[7:8], v[7:8], v[12:13], v[7:8]
	v_mul_f64 v[12:13], v[10:11], v[7:8]
	v_fma_f64 v[3:4], -v[3:4], v[12:13], v[10:11]
	v_div_fmas_f64 v[3:4], v[3:4], v[7:8], v[12:13]
	v_fma_f64 v[7:8], v[5:6], 0, 1.0
	v_div_fixup_f64 v[1:2], v[3:4], v[1:2], 1.0
	v_add_f64 v[3:4], -v[5:6], 0
	v_mul_f64 v[5:6], v[7:8], v[1:2]
	v_mul_f64 v[7:8], v[3:4], v[1:2]
.LBB219_8:
	s_or_b64 exec, exec, s[8:9]
	s_branch .LBB219_10
.LBB219_9:
	v_mov_b32_e32 v7, 0
	v_mov_b32_e32 v5, 0
	;; [unrolled: 1-line block ×4, first 2 shown]
.LBB219_10:
	ds_write_b128 v9, v[5:8]
.LBB219_11:
	s_or_b64 exec, exec, s[26:27]
	s_load_dword s21, s[4:5], 0x58
	s_load_dwordx2 s[8:9], s[4:5], 0x60
	s_add_i32 s29, s29, -1
	s_waitcnt lgkmcnt(0)
	s_ashr_i32 s26, s21, 31
	s_mul_i32 s4, s9, s7
	s_mul_hi_u32 s5, s8, s7
	s_add_i32 s9, s5, s4
	s_mul_i32 s4, s6, 0xffffffec
	s_add_i32 s4, s23, s4
	s_cmp_ge_u32 s6, s29
	s_mul_i32 s6, s6, 20
	s_mul_i32 s8, s8, s7
	s_cselect_b32 s4, s4, 20
	s_ashr_i32 s7, s6, 31
	s_cmp_gt_i32 s22, 0
	v_cmp_gt_i32_e64 s[4:5], s4, v0
	s_cselect_b64 s[16:17], -1, 0
	s_and_b64 s[22:23], s[4:5], s[16:17]
	s_and_saveexec_b64 s[18:19], s[22:23]
	s_cbranch_execz .LBB219_14
; %bb.12:
	v_lshlrev_b32_e32 v3, 4, v0
	s_lshl_b64 s[30:31], s[6:7], 4
	s_lshl_b64 s[22:23], s[8:9], 4
	v_mov_b32_e32 v1, s31
	v_add_co_u32_e32 v4, vcc, s30, v3
	s_lshl_b64 s[30:31], s[24:25], 4
	s_add_u32 s7, s10, s30
	s_addc_u32 s27, s11, s31
	s_add_u32 s22, s7, s22
	v_addc_co_u32_e32 v5, vcc, 0, v1, vcc
	s_addc_u32 s23, s27, s23
	v_mov_b32_e32 v1, s22
	v_mov_b32_e32 v2, s23
	v_mad_u64_u32 v[1:2], s[22:23], v4, s21, v[1:2]
	v_mul_lo_u32 v4, v4, s26
	v_mul_lo_u32 v5, v5, s21
	v_add_co_u32_e32 v1, vcc, 8, v1
	v_add_u32_e32 v3, 0x1900, v3
	v_add3_u32 v2, v5, v2, v4
	v_addc_co_u32_e32 v2, vcc, 0, v2, vcc
	s_mov_b32 s7, s28
.LBB219_13:                             ; =>This Inner Loop Header: Depth=1
	global_load_dwordx4 v[4:7], v[1:2], off offset:-8
	s_add_i32 s7, s7, -1
	v_add_co_u32_e32 v1, vcc, 16, v1
	v_addc_co_u32_e32 v2, vcc, 0, v2, vcc
	s_cmp_lg_u32 s7, 0
	s_waitcnt vmcnt(0)
	v_mul_f64 v[8:9], s[14:15], v[6:7]
	v_mul_f64 v[10:11], s[12:13], v[6:7]
	v_fma_f64 v[6:7], s[12:13], v[4:5], -v[8:9]
	v_fma_f64 v[8:9], s[14:15], v[4:5], v[10:11]
	ds_write_b128 v3, v[6:9]
	v_add_u32_e32 v3, 0x140, v3
	s_cbranch_scc1 .LBB219_13
.LBB219_14:
	s_or_b64 exec, exec, s[18:19]
	v_mov_b32_e32 v1, 0x1900
	s_cmpk_eq_i32 s20, 0x6f
	v_lshl_add_u32 v5, v0, 4, v1
	s_mov_b64 s[12:13], -1
	s_waitcnt lgkmcnt(0)
	; wave barrier
	s_cbranch_scc1 .LBB219_36
; %bb.15:
	s_mov_b32 s13, 0
	s_mov_b32 s12, s13
	;; [unrolled: 1-line block ×3, first 2 shown]
	s_branch .LBB219_17
.LBB219_16:                             ;   in Loop: Header=BB219_17 Depth=1
	s_cmp_ge_i32 s7, s28
	s_cselect_b64 s[14:15], -1, 0
	s_add_i32 s12, s12, 1
	s_cmp_eq_u32 s12, 3
	s_cselect_b64 s[18:19], -1, 0
	s_or_b64 s[14:15], s[14:15], s[18:19]
	s_andn2_b64 vcc, exec, s[14:15]
	s_cbranch_vccz .LBB219_35
.LBB219_17:                             ; =>This Loop Header: Depth=1
                                        ;     Child Loop BB219_20 Depth 2
                                        ;       Child Loop BB219_21 Depth 3
                                        ;       Child Loop BB219_24 Depth 3
                                        ;         Child Loop BB219_25 Depth 4
                                        ;       Child Loop BB219_29 Depth 3
                                        ;         Child Loop BB219_31 Depth 4
	s_lshl_b64 s[14:15], s[12:13], 2
	s_getpc_b64 s[18:19]
	s_add_u32 s18, s18, __const._ZL38rocblas_trsm_small_left_device_sharedBILi20ELi20ELb0E19rocblas_complex_numIdES1_PKS1_PS1_Ev13rocblas_fill_18rocblas_operation_17rocblas_diagonal_iiT3_T4_lilT5_lili.step_sizes@rel32@lo+4
	s_addc_u32 s19, s19, __const._ZL38rocblas_trsm_small_left_device_sharedBILi20ELi20ELb0E19rocblas_complex_numIdES1_PKS1_PS1_Ev13rocblas_fill_18rocblas_operation_17rocblas_diagonal_iiT3_T4_lilT5_lili.step_sizes@rel32@hi+12
	s_add_u32 s14, s18, s14
	s_addc_u32 s15, s19, s15
	s_load_dword s18, s[14:15], 0x0
	s_waitcnt lgkmcnt(0)
	s_add_i32 s19, s18, -1
	s_add_i32 s14, s19, s7
	s_cmp_ge_i32 s14, s28
	s_cbranch_scc1 .LBB219_16
; %bb.18:                               ;   in Loop: Header=BB219_17 Depth=1
	s_mul_i32 s22, s7, 0x140
	s_max_i32 s20, s18, 1
	v_add_u32_e32 v6, s22, v5
	s_mul_i32 s23, s18, 0x140
	s_mul_i32 s26, s7, 0x150
	;; [unrolled: 1-line block ×3, first 2 shown]
	s_branch .LBB219_20
.LBB219_19:                             ;   in Loop: Header=BB219_20 Depth=2
	s_add_i32 s7, s7, s18
	s_add_i32 s14, s19, s7
	s_add_i32 s22, s22, s23
	s_add_i32 s26, s26, s27
	s_cmp_ge_i32 s14, s28
	v_add_u32_e32 v6, s23, v6
	s_cbranch_scc1 .LBB219_16
.LBB219_20:                             ;   Parent Loop BB219_17 Depth=1
                                        ; =>  This Loop Header: Depth=2
                                        ;       Child Loop BB219_21 Depth 3
                                        ;       Child Loop BB219_24 Depth 3
                                        ;         Child Loop BB219_25 Depth 4
                                        ;       Child Loop BB219_29 Depth 3
                                        ;         Child Loop BB219_31 Depth 4
	s_mov_b32 s14, 0
	v_mov_b32_e32 v1, v6
	s_mov_b32 s15, s20
.LBB219_21:                             ;   Parent Loop BB219_17 Depth=1
                                        ;     Parent Loop BB219_20 Depth=2
                                        ; =>    This Inner Loop Header: Depth=3
	ds_read_b128 v[7:10], v1
	v_mov_b32_e32 v2, s14
	s_add_i32 s15, s15, -1
	s_add_i32 s14, s14, 16
	v_add_u32_e32 v1, 0x140, v1
	s_cmp_eq_u32 s15, 0
	s_waitcnt lgkmcnt(0)
	buffer_store_dword v10, v2, s[0:3], 0 offen offset:12
	buffer_store_dword v9, v2, s[0:3], 0 offen offset:8
	buffer_store_dword v8, v2, s[0:3], 0 offen offset:4
	buffer_store_dword v7, v2, s[0:3], 0 offen
	s_cbranch_scc0 .LBB219_21
; %bb.22:                               ;   in Loop: Header=BB219_20 Depth=2
	s_cmp_lt_i32 s7, 1
	s_cbranch_scc1 .LBB219_27
; %bb.23:                               ;   in Loop: Header=BB219_20 Depth=2
	s_mov_b32 s14, 0
	s_mov_b32 s15, s22
.LBB219_24:                             ;   Parent Loop BB219_17 Depth=1
                                        ;     Parent Loop BB219_20 Depth=2
                                        ; =>    This Loop Header: Depth=3
                                        ;         Child Loop BB219_25 Depth 4
	s_mul_i32 s29, s14, 0x140
	v_add_u32_e32 v1, s29, v5
	ds_read_b128 v[1:4], v1
	s_mov_b32 s29, 0
	s_mov_b32 s30, s15
	;; [unrolled: 1-line block ×3, first 2 shown]
.LBB219_25:                             ;   Parent Loop BB219_17 Depth=1
                                        ;     Parent Loop BB219_20 Depth=2
                                        ;       Parent Loop BB219_24 Depth=3
                                        ; =>      This Inner Loop Header: Depth=4
	v_mov_b32_e32 v17, s29
	buffer_load_dword v11, v17, s[0:3], 0 offen
	buffer_load_dword v12, v17, s[0:3], 0 offen offset:4
	buffer_load_dword v13, v17, s[0:3], 0 offen offset:8
	;; [unrolled: 1-line block ×3, first 2 shown]
	v_mov_b32_e32 v7, s30
	ds_read_b128 v[7:10], v7
	s_add_i32 s31, s31, -1
	s_addk_i32 s30, 0x140
	s_add_i32 s29, s29, 16
	s_cmp_eq_u32 s31, 0
	s_waitcnt lgkmcnt(0)
	v_mul_f64 v[15:16], v[3:4], v[9:10]
	v_mul_f64 v[9:10], v[1:2], v[9:10]
	v_fma_f64 v[15:16], v[1:2], v[7:8], -v[15:16]
	v_fma_f64 v[7:8], v[3:4], v[7:8], v[9:10]
	s_waitcnt vmcnt(2)
	v_add_f64 v[9:10], v[11:12], -v[15:16]
	s_waitcnt vmcnt(0)
	v_add_f64 v[7:8], v[13:14], -v[7:8]
	buffer_store_dword v9, v17, s[0:3], 0 offen
	buffer_store_dword v10, v17, s[0:3], 0 offen offset:4
	buffer_store_dword v7, v17, s[0:3], 0 offen offset:8
	;; [unrolled: 1-line block ×3, first 2 shown]
	s_cbranch_scc0 .LBB219_25
; %bb.26:                               ;   in Loop: Header=BB219_24 Depth=3
	s_add_i32 s14, s14, 1
	s_add_i32 s15, s15, 16
	s_cmp_eq_u32 s14, s7
	s_cbranch_scc0 .LBB219_24
.LBB219_27:                             ;   in Loop: Header=BB219_20 Depth=2
	s_mul_i32 s29, s7, 0x140
	s_mov_b32 s30, 0
	s_mov_b32 s31, s26
	s_branch .LBB219_29
.LBB219_28:                             ;   in Loop: Header=BB219_29 Depth=3
	s_mul_i32 s14, s34, 0x150
	v_mov_b32_e32 v7, s14
	ds_read_b128 v[7:10], v7
	s_lshl_b32 s14, s30, 4
	s_add_i32 s30, s30, 1
	s_addk_i32 s31, 0x140
	s_cmp_eq_u32 s30, s20
	s_waitcnt vmcnt(0) lgkmcnt(0)
	v_mul_f64 v[11:12], v[9:10], v[3:4]
	v_mul_f64 v[3:4], v[7:8], v[3:4]
	v_fma_f64 v[7:8], v[7:8], v[1:2], -v[11:12]
	v_fma_f64 v[9:10], v[9:10], v[1:2], v[3:4]
	v_add_u32_e32 v1, s33, v5
	v_mov_b32_e32 v2, s14
	buffer_store_dword v8, v2, s[0:3], 0 offen offset:4
	buffer_store_dword v7, v2, s[0:3], 0 offen
	buffer_store_dword v10, v2, s[0:3], 0 offen offset:12
	buffer_store_dword v9, v2, s[0:3], 0 offen offset:8
	ds_write_b128 v1, v[7:10]
	s_cbranch_scc1 .LBB219_19
.LBB219_29:                             ;   Parent Loop BB219_17 Depth=1
                                        ;     Parent Loop BB219_20 Depth=2
                                        ; =>    This Loop Header: Depth=3
                                        ;         Child Loop BB219_31 Depth 4
	s_cmp_lg_u32 s30, 0
	s_cbranch_scc0 .LBB219_33
; %bb.30:                               ;   in Loop: Header=BB219_29 Depth=3
	s_lshl_b32 s14, s30, 4
	v_mov_b32_e32 v7, s14
	buffer_load_dword v1, v7, s[0:3], 0 offen
	buffer_load_dword v2, v7, s[0:3], 0 offen offset:4
	buffer_load_dword v3, v7, s[0:3], 0 offen offset:8
	;; [unrolled: 1-line block ×3, first 2 shown]
	s_add_i32 s34, s30, s7
	s_mul_i32 s33, s34, 0x140
	s_mov_b32 s14, 0
	s_mov_b32 s15, s31
	s_mov_b32 s35, s30
.LBB219_31:                             ;   Parent Loop BB219_17 Depth=1
                                        ;     Parent Loop BB219_20 Depth=2
                                        ;       Parent Loop BB219_29 Depth=3
                                        ; =>      This Inner Loop Header: Depth=4
	v_mov_b32_e32 v8, s14
	buffer_load_dword v12, v8, s[0:3], 0 offen offset:8
	buffer_load_dword v13, v8, s[0:3], 0 offen offset:12
	buffer_load_dword v14, v8, s[0:3], 0 offen
	buffer_load_dword v15, v8, s[0:3], 0 offen offset:4
	v_mov_b32_e32 v8, s15
	ds_read_b128 v[8:11], v8
	s_add_i32 s35, s35, -1
	s_add_i32 s14, s14, 16
	s_add_i32 s15, s15, 16
	s_cmp_eq_u32 s35, 0
	s_waitcnt vmcnt(2) lgkmcnt(0)
	v_mul_f64 v[16:17], v[10:11], v[12:13]
	v_mul_f64 v[12:13], v[8:9], v[12:13]
	s_waitcnt vmcnt(0)
	v_fma_f64 v[8:9], v[8:9], v[14:15], -v[16:17]
	v_fma_f64 v[10:11], v[10:11], v[14:15], v[12:13]
	v_add_f64 v[1:2], v[1:2], -v[8:9]
	v_add_f64 v[3:4], v[3:4], -v[10:11]
	buffer_store_dword v1, v7, s[0:3], 0 offen
	buffer_store_dword v2, v7, s[0:3], 0 offen offset:4
	buffer_store_dword v3, v7, s[0:3], 0 offen offset:8
	buffer_store_dword v4, v7, s[0:3], 0 offen offset:12
	s_cbranch_scc0 .LBB219_31
; %bb.32:                               ;   in Loop: Header=BB219_29 Depth=3
	s_branch .LBB219_28
.LBB219_33:                             ;   in Loop: Header=BB219_29 Depth=3
                                        ; implicit-def: $vgpr1_vgpr2
                                        ; implicit-def: $vgpr3_vgpr4
                                        ; implicit-def: $sgpr34
                                        ; implicit-def: $sgpr33
	s_cbranch_execz .LBB219_28
; %bb.34:                               ;   in Loop: Header=BB219_29 Depth=3
	buffer_load_dword v1, off, s[0:3], 0
	buffer_load_dword v2, off, s[0:3], 0 offset:4
	buffer_load_dword v3, off, s[0:3], 0 offset:8
	buffer_load_dword v4, off, s[0:3], 0 offset:12
	s_mov_b32 s33, s29
	s_mov_b32 s34, s7
	s_branch .LBB219_28
.LBB219_35:
	s_mov_b64 s[12:13], 0
.LBB219_36:
	s_and_b64 vcc, exec, s[12:13]
	s_cbranch_vccz .LBB219_56
; %bb.37:
	s_add_i32 s7, s28, -1
	v_mov_b32_e32 v1, 0x1900
	s_mul_i32 s18, s28, 0x140
	s_mov_b32 s13, 0
	v_lshl_add_u32 v6, v0, 4, v1
	s_addk_i32 s18, 0xfec0
	s_mov_b32 s12, s13
	s_mov_b32 s19, s7
	s_branch .LBB219_39
.LBB219_38:                             ;   in Loop: Header=BB219_39 Depth=1
	s_cmp_lt_i32 s19, 0
	s_cselect_b64 s[14:15], -1, 0
	s_add_i32 s12, s12, 1
	s_cmp_eq_u32 s12, 3
	s_cselect_b64 s[22:23], -1, 0
	s_or_b64 s[14:15], s[14:15], s[22:23]
	s_and_b64 vcc, exec, s[14:15]
	s_cbranch_vccnz .LBB219_56
.LBB219_39:                             ; =>This Loop Header: Depth=1
                                        ;     Child Loop BB219_42 Depth 2
                                        ;       Child Loop BB219_43 Depth 3
                                        ;       Child Loop BB219_45 Depth 3
                                        ;         Child Loop BB219_46 Depth 4
                                        ;       Child Loop BB219_50 Depth 3
                                        ;         Child Loop BB219_52 Depth 4
	s_lshl_b64 s[14:15], s[12:13], 2
	s_getpc_b64 s[22:23]
	s_add_u32 s22, s22, __const._ZL38rocblas_trsm_small_left_device_sharedBILi20ELi20ELb0E19rocblas_complex_numIdES1_PKS1_PS1_Ev13rocblas_fill_18rocblas_operation_17rocblas_diagonal_iiT3_T4_lilT5_lili.step_sizes@rel32@lo+4
	s_addc_u32 s23, s23, __const._ZL38rocblas_trsm_small_left_device_sharedBILi20ELi20ELb0E19rocblas_complex_numIdES1_PKS1_PS1_Ev13rocblas_fill_18rocblas_operation_17rocblas_diagonal_iiT3_T4_lilT5_lili.step_sizes@rel32@hi+12
	s_add_u32 s14, s22, s14
	s_addc_u32 s15, s23, s15
	s_load_dword s20, s[14:15], 0x0
	s_waitcnt lgkmcnt(0)
	s_add_i32 s22, s20, -1
	s_cmp_lt_i32 s19, s22
	s_cbranch_scc1 .LBB219_38
; %bb.40:                               ;   in Loop: Header=BB219_39 Depth=1
	s_mul_i32 s14, s19, 0x140
	v_add_u32_e32 v7, s14, v6
	s_lshl_b32 s14, s19, 4
	s_add_i32 s27, s18, s14
	s_lshl_b32 s14, s20, 4
	s_max_i32 s23, s20, 1
	s_mul_i32 s26, s20, 0xfffffec0
	s_sub_i32 s29, 0, s14
	s_mul_i32 s30, s19, 0x150
	s_mul_i32 s31, s20, 0xfffffeb0
	s_branch .LBB219_42
.LBB219_41:                             ;   in Loop: Header=BB219_42 Depth=2
	s_sub_i32 s19, s19, s20
	s_add_i32 s27, s27, s29
	s_add_i32 s30, s30, s31
	s_cmp_lt_i32 s19, s22
	v_add_u32_e32 v7, s26, v7
	s_cbranch_scc1 .LBB219_38
.LBB219_42:                             ;   Parent Loop BB219_39 Depth=1
                                        ; =>  This Loop Header: Depth=2
                                        ;       Child Loop BB219_43 Depth 3
                                        ;       Child Loop BB219_45 Depth 3
                                        ;         Child Loop BB219_46 Depth 4
                                        ;       Child Loop BB219_50 Depth 3
                                        ;         Child Loop BB219_52 Depth 4
	s_mov_b32 s14, 0
	v_mov_b32_e32 v1, v7
	s_mov_b32 s15, s23
.LBB219_43:                             ;   Parent Loop BB219_39 Depth=1
                                        ;     Parent Loop BB219_42 Depth=2
                                        ; =>    This Inner Loop Header: Depth=3
	ds_read_b128 v[8:11], v1
	v_mov_b32_e32 v2, s14
	s_add_i32 s15, s15, -1
	s_add_i32 s14, s14, 16
	v_add_u32_e32 v1, 0xfffffec0, v1
	s_cmp_eq_u32 s15, 0
	s_waitcnt lgkmcnt(0)
	buffer_store_dword v11, v2, s[0:3], 0 offen offset:12
	buffer_store_dword v10, v2, s[0:3], 0 offen offset:8
	;; [unrolled: 1-line block ×3, first 2 shown]
	buffer_store_dword v8, v2, s[0:3], 0 offen
	s_cbranch_scc0 .LBB219_43
; %bb.44:                               ;   in Loop: Header=BB219_42 Depth=2
	s_cmp_le_i32 s7, s19
	s_mov_b32 s14, s27
	s_mov_b32 s15, s7
	s_cbranch_scc1 .LBB219_48
.LBB219_45:                             ;   Parent Loop BB219_39 Depth=1
                                        ;     Parent Loop BB219_42 Depth=2
                                        ; =>    This Loop Header: Depth=3
                                        ;         Child Loop BB219_46 Depth 4
	s_mul_i32 s33, s15, 0x140
	v_add_u32_e32 v1, s33, v5
	ds_read_b128 v[1:4], v1
	s_mov_b32 s33, 0
	s_mov_b32 s34, s14
	;; [unrolled: 1-line block ×3, first 2 shown]
.LBB219_46:                             ;   Parent Loop BB219_39 Depth=1
                                        ;     Parent Loop BB219_42 Depth=2
                                        ;       Parent Loop BB219_45 Depth=3
                                        ; =>      This Inner Loop Header: Depth=4
	v_mov_b32_e32 v18, s33
	buffer_load_dword v12, v18, s[0:3], 0 offen
	buffer_load_dword v13, v18, s[0:3], 0 offen offset:4
	buffer_load_dword v14, v18, s[0:3], 0 offen offset:8
	;; [unrolled: 1-line block ×3, first 2 shown]
	v_mov_b32_e32 v8, s34
	ds_read_b128 v[8:11], v8
	s_add_i32 s35, s35, -1
	s_add_i32 s34, s34, -16
	s_add_i32 s33, s33, 16
	s_cmp_eq_u32 s35, 0
	s_waitcnt lgkmcnt(0)
	v_mul_f64 v[16:17], v[3:4], v[10:11]
	v_mul_f64 v[10:11], v[1:2], v[10:11]
	v_fma_f64 v[16:17], v[1:2], v[8:9], -v[16:17]
	v_fma_f64 v[8:9], v[3:4], v[8:9], v[10:11]
	s_waitcnt vmcnt(2)
	v_add_f64 v[10:11], v[12:13], -v[16:17]
	s_waitcnt vmcnt(0)
	v_add_f64 v[8:9], v[14:15], -v[8:9]
	buffer_store_dword v10, v18, s[0:3], 0 offen
	buffer_store_dword v11, v18, s[0:3], 0 offen offset:4
	buffer_store_dword v8, v18, s[0:3], 0 offen offset:8
	;; [unrolled: 1-line block ×3, first 2 shown]
	s_cbranch_scc0 .LBB219_46
; %bb.47:                               ;   in Loop: Header=BB219_45 Depth=3
	s_add_i32 s15, s15, -1
	s_addk_i32 s14, 0xfec0
	s_cmp_le_i32 s15, s19
	s_cbranch_scc0 .LBB219_45
.LBB219_48:                             ;   in Loop: Header=BB219_42 Depth=2
	s_mov_b32 s33, 0
	s_mov_b32 s34, s30
	s_branch .LBB219_50
.LBB219_49:                             ;   in Loop: Header=BB219_50 Depth=3
	s_mul_i32 s14, s35, 0x150
	v_mov_b32_e32 v8, s14
	ds_read_b128 v[8:11], v8
	s_lshl_b32 s14, s33, 4
	s_mul_i32 s15, s35, 0x140
	s_add_i32 s33, s33, 1
	s_add_i32 s34, s34, -16
	s_waitcnt vmcnt(0) lgkmcnt(0)
	v_mul_f64 v[12:13], v[10:11], v[3:4]
	v_mul_f64 v[3:4], v[8:9], v[3:4]
	s_cmp_eq_u32 s33, s23
	v_fma_f64 v[8:9], v[8:9], v[1:2], -v[12:13]
	v_fma_f64 v[10:11], v[10:11], v[1:2], v[3:4]
	v_mov_b32_e32 v1, s14
	v_add_u32_e32 v2, s15, v5
	buffer_store_dword v9, v1, s[0:3], 0 offen offset:4
	buffer_store_dword v8, v1, s[0:3], 0 offen
	buffer_store_dword v11, v1, s[0:3], 0 offen offset:12
	buffer_store_dword v10, v1, s[0:3], 0 offen offset:8
	ds_write_b128 v2, v[8:11]
	s_cbranch_scc1 .LBB219_41
.LBB219_50:                             ;   Parent Loop BB219_39 Depth=1
                                        ;     Parent Loop BB219_42 Depth=2
                                        ; =>    This Loop Header: Depth=3
                                        ;         Child Loop BB219_52 Depth 4
	s_cmp_lg_u32 s33, 0
	s_cbranch_scc0 .LBB219_54
; %bb.51:                               ;   in Loop: Header=BB219_50 Depth=3
	s_lshl_b32 s14, s33, 4
	v_mov_b32_e32 v8, s14
	buffer_load_dword v1, v8, s[0:3], 0 offen
	buffer_load_dword v2, v8, s[0:3], 0 offen offset:4
	buffer_load_dword v3, v8, s[0:3], 0 offen offset:8
	;; [unrolled: 1-line block ×3, first 2 shown]
	s_sub_i32 s35, s19, s33
	s_mov_b32 s14, 0
	s_mov_b32 s15, s34
	;; [unrolled: 1-line block ×3, first 2 shown]
.LBB219_52:                             ;   Parent Loop BB219_39 Depth=1
                                        ;     Parent Loop BB219_42 Depth=2
                                        ;       Parent Loop BB219_50 Depth=3
                                        ; =>      This Inner Loop Header: Depth=4
	v_mov_b32_e32 v9, s14
	buffer_load_dword v13, v9, s[0:3], 0 offen offset:8
	buffer_load_dword v14, v9, s[0:3], 0 offen offset:12
	buffer_load_dword v15, v9, s[0:3], 0 offen
	buffer_load_dword v16, v9, s[0:3], 0 offen offset:4
	v_mov_b32_e32 v9, s15
	ds_read_b128 v[9:12], v9
	s_add_i32 s36, s36, -1
	s_addk_i32 s15, 0xfec0
	s_add_i32 s14, s14, 16
	s_cmp_eq_u32 s36, 0
	s_waitcnt vmcnt(2) lgkmcnt(0)
	v_mul_f64 v[17:18], v[11:12], v[13:14]
	v_mul_f64 v[13:14], v[9:10], v[13:14]
	s_waitcnt vmcnt(0)
	v_fma_f64 v[9:10], v[9:10], v[15:16], -v[17:18]
	v_fma_f64 v[11:12], v[11:12], v[15:16], v[13:14]
	v_add_f64 v[1:2], v[1:2], -v[9:10]
	v_add_f64 v[3:4], v[3:4], -v[11:12]
	buffer_store_dword v1, v8, s[0:3], 0 offen
	buffer_store_dword v2, v8, s[0:3], 0 offen offset:4
	buffer_store_dword v3, v8, s[0:3], 0 offen offset:8
	;; [unrolled: 1-line block ×3, first 2 shown]
	s_cbranch_scc0 .LBB219_52
; %bb.53:                               ;   in Loop: Header=BB219_50 Depth=3
	s_branch .LBB219_49
.LBB219_54:                             ;   in Loop: Header=BB219_50 Depth=3
                                        ; implicit-def: $vgpr1_vgpr2
                                        ; implicit-def: $vgpr3_vgpr4
                                        ; implicit-def: $sgpr35
	s_cbranch_execz .LBB219_49
; %bb.55:                               ;   in Loop: Header=BB219_50 Depth=3
	buffer_load_dword v1, off, s[0:3], 0
	buffer_load_dword v2, off, s[0:3], 0 offset:4
	buffer_load_dword v3, off, s[0:3], 0 offset:8
	;; [unrolled: 1-line block ×3, first 2 shown]
	s_mov_b32 s35, s19
	s_branch .LBB219_49
.LBB219_56:
	s_waitcnt lgkmcnt(0)
	; wave barrier
	s_and_saveexec_b64 s[12:13], s[4:5]
	s_cbranch_execz .LBB219_60
; %bb.57:
	s_andn2_b64 vcc, exec, s[16:17]
	s_cbranch_vccnz .LBB219_60
; %bb.58:
	s_lshl_b64 s[4:5], s[8:9], 4
	s_add_u32 s7, s10, s4
	s_addc_u32 s8, s11, s5
	s_lshl_b64 s[4:5], s[24:25], 4
	s_add_u32 s9, s7, s4
	s_addc_u32 s8, s8, s5
	s_mul_hi_i32 s5, s21, s6
	s_mul_i32 s4, s21, s6
	v_mad_i64_i32 v[1:2], s[6:7], s21, v0, 0
	s_lshl_b64 s[4:5], s[4:5], 4
	s_add_u32 s4, s9, s4
	v_lshlrev_b64 v[1:2], 4, v[1:2]
	s_addc_u32 s5, s8, s5
	v_mov_b32_e32 v3, s5
	v_add_co_u32_e32 v1, vcc, s4, v1
	v_addc_co_u32_e32 v2, vcc, v3, v2, vcc
	v_mov_b32_e32 v3, 0x1900
	v_lshl_add_u32 v0, v0, 4, v3
.LBB219_59:                             ; =>This Inner Loop Header: Depth=1
	ds_read2_b64 v[3:6], v0 offset1:1
	s_add_i32 s28, s28, -1
	v_add_u32_e32 v0, 0x140, v0
	s_cmp_lg_u32 s28, 0
	s_waitcnt lgkmcnt(0)
	global_store_dwordx4 v[1:2], v[3:6], off
	v_add_co_u32_e32 v1, vcc, 16, v1
	v_addc_co_u32_e32 v2, vcc, 0, v2, vcc
	s_cbranch_scc1 .LBB219_59
.LBB219_60:
	s_endpgm
	.section	.rodata,"a",@progbits
	.p2align	6, 0x0
	.amdhsa_kernel _ZL38rocblas_trsm_small_left_device_sharedBILi20ELi20ELb0E19rocblas_complex_numIdES1_PKS1_PS1_Ev13rocblas_fill_18rocblas_operation_17rocblas_diagonal_iiT3_T4_lilT5_lili
		.amdhsa_group_segment_fixed_size 12800
		.amdhsa_private_segment_fixed_size 336
		.amdhsa_kernarg_size 368
		.amdhsa_user_sgpr_count 6
		.amdhsa_user_sgpr_private_segment_buffer 1
		.amdhsa_user_sgpr_dispatch_ptr 0
		.amdhsa_user_sgpr_queue_ptr 0
		.amdhsa_user_sgpr_kernarg_segment_ptr 1
		.amdhsa_user_sgpr_dispatch_id 0
		.amdhsa_user_sgpr_flat_scratch_init 0
		.amdhsa_user_sgpr_private_segment_size 0
		.amdhsa_uses_dynamic_stack 0
		.amdhsa_system_sgpr_private_segment_wavefront_offset 1
		.amdhsa_system_sgpr_workgroup_id_x 1
		.amdhsa_system_sgpr_workgroup_id_y 0
		.amdhsa_system_sgpr_workgroup_id_z 1
		.amdhsa_system_sgpr_workgroup_info 0
		.amdhsa_system_vgpr_workitem_id 0
		.amdhsa_next_free_vgpr 85
		.amdhsa_next_free_sgpr 98
		.amdhsa_reserve_vcc 1
		.amdhsa_reserve_flat_scratch 0
		.amdhsa_float_round_mode_32 0
		.amdhsa_float_round_mode_16_64 0
		.amdhsa_float_denorm_mode_32 3
		.amdhsa_float_denorm_mode_16_64 3
		.amdhsa_dx10_clamp 1
		.amdhsa_ieee_mode 1
		.amdhsa_fp16_overflow 0
		.amdhsa_exception_fp_ieee_invalid_op 0
		.amdhsa_exception_fp_denorm_src 0
		.amdhsa_exception_fp_ieee_div_zero 0
		.amdhsa_exception_fp_ieee_overflow 0
		.amdhsa_exception_fp_ieee_underflow 0
		.amdhsa_exception_fp_ieee_inexact 0
		.amdhsa_exception_int_div_zero 0
	.end_amdhsa_kernel
	.section	.text._ZL38rocblas_trsm_small_left_device_sharedBILi20ELi20ELb0E19rocblas_complex_numIdES1_PKS1_PS1_Ev13rocblas_fill_18rocblas_operation_17rocblas_diagonal_iiT3_T4_lilT5_lili,"axG",@progbits,_ZL38rocblas_trsm_small_left_device_sharedBILi20ELi20ELb0E19rocblas_complex_numIdES1_PKS1_PS1_Ev13rocblas_fill_18rocblas_operation_17rocblas_diagonal_iiT3_T4_lilT5_lili,comdat
.Lfunc_end219:
	.size	_ZL38rocblas_trsm_small_left_device_sharedBILi20ELi20ELb0E19rocblas_complex_numIdES1_PKS1_PS1_Ev13rocblas_fill_18rocblas_operation_17rocblas_diagonal_iiT3_T4_lilT5_lili, .Lfunc_end219-_ZL38rocblas_trsm_small_left_device_sharedBILi20ELi20ELb0E19rocblas_complex_numIdES1_PKS1_PS1_Ev13rocblas_fill_18rocblas_operation_17rocblas_diagonal_iiT3_T4_lilT5_lili
                                        ; -- End function
	.set _ZL38rocblas_trsm_small_left_device_sharedBILi20ELi20ELb0E19rocblas_complex_numIdES1_PKS1_PS1_Ev13rocblas_fill_18rocblas_operation_17rocblas_diagonal_iiT3_T4_lilT5_lili.num_vgpr, 19
	.set _ZL38rocblas_trsm_small_left_device_sharedBILi20ELi20ELb0E19rocblas_complex_numIdES1_PKS1_PS1_Ev13rocblas_fill_18rocblas_operation_17rocblas_diagonal_iiT3_T4_lilT5_lili.num_agpr, 0
	.set _ZL38rocblas_trsm_small_left_device_sharedBILi20ELi20ELb0E19rocblas_complex_numIdES1_PKS1_PS1_Ev13rocblas_fill_18rocblas_operation_17rocblas_diagonal_iiT3_T4_lilT5_lili.numbered_sgpr, 37
	.set _ZL38rocblas_trsm_small_left_device_sharedBILi20ELi20ELb0E19rocblas_complex_numIdES1_PKS1_PS1_Ev13rocblas_fill_18rocblas_operation_17rocblas_diagonal_iiT3_T4_lilT5_lili.num_named_barrier, 0
	.set _ZL38rocblas_trsm_small_left_device_sharedBILi20ELi20ELb0E19rocblas_complex_numIdES1_PKS1_PS1_Ev13rocblas_fill_18rocblas_operation_17rocblas_diagonal_iiT3_T4_lilT5_lili.private_seg_size, 336
	.set _ZL38rocblas_trsm_small_left_device_sharedBILi20ELi20ELb0E19rocblas_complex_numIdES1_PKS1_PS1_Ev13rocblas_fill_18rocblas_operation_17rocblas_diagonal_iiT3_T4_lilT5_lili.uses_vcc, 1
	.set _ZL38rocblas_trsm_small_left_device_sharedBILi20ELi20ELb0E19rocblas_complex_numIdES1_PKS1_PS1_Ev13rocblas_fill_18rocblas_operation_17rocblas_diagonal_iiT3_T4_lilT5_lili.uses_flat_scratch, 0
	.set _ZL38rocblas_trsm_small_left_device_sharedBILi20ELi20ELb0E19rocblas_complex_numIdES1_PKS1_PS1_Ev13rocblas_fill_18rocblas_operation_17rocblas_diagonal_iiT3_T4_lilT5_lili.has_dyn_sized_stack, 0
	.set _ZL38rocblas_trsm_small_left_device_sharedBILi20ELi20ELb0E19rocblas_complex_numIdES1_PKS1_PS1_Ev13rocblas_fill_18rocblas_operation_17rocblas_diagonal_iiT3_T4_lilT5_lili.has_recursion, 0
	.set _ZL38rocblas_trsm_small_left_device_sharedBILi20ELi20ELb0E19rocblas_complex_numIdES1_PKS1_PS1_Ev13rocblas_fill_18rocblas_operation_17rocblas_diagonal_iiT3_T4_lilT5_lili.has_indirect_call, 0
	.section	.AMDGPU.csdata,"",@progbits
; Kernel info:
; codeLenInByte = 3116
; TotalNumSgprs: 41
; NumVgprs: 19
; ScratchSize: 336
; MemoryBound: 0
; FloatMode: 240
; IeeeMode: 1
; LDSByteSize: 12800 bytes/workgroup (compile time only)
; SGPRBlocks: 12
; VGPRBlocks: 21
; NumSGPRsForWavesPerEU: 102
; NumVGPRsForWavesPerEU: 85
; Occupancy: 2
; WaveLimiterHint : 0
; COMPUTE_PGM_RSRC2:SCRATCH_EN: 1
; COMPUTE_PGM_RSRC2:USER_SGPR: 6
; COMPUTE_PGM_RSRC2:TRAP_HANDLER: 0
; COMPUTE_PGM_RSRC2:TGID_X_EN: 1
; COMPUTE_PGM_RSRC2:TGID_Y_EN: 0
; COMPUTE_PGM_RSRC2:TGID_Z_EN: 1
; COMPUTE_PGM_RSRC2:TIDIG_COMP_CNT: 0
	.section	.text._ZL30rocblas_trsm_small_left_deviceILi20ELi20ELb0E19rocblas_complex_numIdES1_PKS1_PS1_Ev13rocblas_fill_18rocblas_operation_17rocblas_diagonal_iiT3_T4_lilT5_lili,"axG",@progbits,_ZL30rocblas_trsm_small_left_deviceILi20ELi20ELb0E19rocblas_complex_numIdES1_PKS1_PS1_Ev13rocblas_fill_18rocblas_operation_17rocblas_diagonal_iiT3_T4_lilT5_lili,comdat
	.globl	_ZL30rocblas_trsm_small_left_deviceILi20ELi20ELb0E19rocblas_complex_numIdES1_PKS1_PS1_Ev13rocblas_fill_18rocblas_operation_17rocblas_diagonal_iiT3_T4_lilT5_lili ; -- Begin function _ZL30rocblas_trsm_small_left_deviceILi20ELi20ELb0E19rocblas_complex_numIdES1_PKS1_PS1_Ev13rocblas_fill_18rocblas_operation_17rocblas_diagonal_iiT3_T4_lilT5_lili
	.p2align	8
	.type	_ZL30rocblas_trsm_small_left_deviceILi20ELi20ELb0E19rocblas_complex_numIdES1_PKS1_PS1_Ev13rocblas_fill_18rocblas_operation_17rocblas_diagonal_iiT3_T4_lilT5_lili,@function
_ZL30rocblas_trsm_small_left_deviceILi20ELi20ELb0E19rocblas_complex_numIdES1_PKS1_PS1_Ev13rocblas_fill_18rocblas_operation_17rocblas_diagonal_iiT3_T4_lilT5_lili: ; @_ZL30rocblas_trsm_small_left_deviceILi20ELi20ELb0E19rocblas_complex_numIdES1_PKS1_PS1_Ev13rocblas_fill_18rocblas_operation_17rocblas_diagonal_iiT3_T4_lilT5_lili
; %bb.0:
	s_add_u32 s0, s0, s8
	s_load_dwordx4 s[20:23], s[4:5], 0x4
	s_load_dwordx8 s[12:19], s[4:5], 0x18
	s_load_dwordx4 s[8:11], s[4:5], 0x40
	s_load_dwordx2 s[24:25], s[4:5], 0x50
	s_load_dword s29, s[4:5], 0x70
	s_addc_u32 s1, s1, 0
	s_waitcnt lgkmcnt(0)
	s_min_i32 s28, s22, 20
	v_cmp_gt_i32_e32 vcc, s28, v0
	s_and_saveexec_b64 s[26:27], vcc
	s_cbranch_execz .LBB220_11
; %bb.1:
	s_load_dword s30, s[4:5], 0x38
	s_mul_i32 s9, s9, s7
	s_mul_hi_u32 s22, s8, s7
	s_mul_i32 s8, s8, s7
	v_lshlrev_b32_e32 v3, 4, v0
	s_waitcnt lgkmcnt(0)
	s_ashr_i32 s31, s30, 31
	s_cmpk_eq_i32 s20, 0x71
	s_cselect_b64 vcc, -1, 0
	s_add_i32 s9, s22, s9
	s_lshl_b64 s[8:9], s[8:9], 4
	s_lshl_b64 s[18:19], s[18:19], 4
	s_add_u32 s8, s8, s18
	s_addc_u32 s9, s9, s19
	s_add_u32 s8, s16, s8
	s_addc_u32 s9, s17, s9
	v_mov_b32_e32 v1, s9
	v_add_co_u32_e64 v2, s[8:9], s8, v3
	v_addc_co_u32_e64 v4, s[8:9], 0, v1, s[8:9]
	v_add_co_u32_e64 v1, s[8:9], 8, v2
	s_lshl_b64 s[16:17], s[30:31], 4
	v_addc_co_u32_e64 v2, s[8:9], 0, v4, s[8:9]
	v_mov_b32_e32 v4, s17
	v_mov_b32_e32 v5, v3
	s_mov_b32 s17, s28
.LBB220_2:                              ; =>This Inner Loop Header: Depth=1
	global_load_dwordx4 v[6:9], v[1:2], off offset:-8
	s_add_i32 s17, s17, -1
	v_add_co_u32_e64 v1, s[8:9], s16, v1
	v_addc_co_u32_e64 v2, s[8:9], v2, v4, s[8:9]
	s_cmp_eq_u32 s17, 0
	s_waitcnt vmcnt(0)
	v_xor_b32_e32 v10, 0x80000000, v9
	v_cndmask_b32_e32 v9, v9, v10, vcc
	ds_write_b128 v5, v[6:9]
	v_add_u32_e32 v5, 0x140, v5
	s_cbranch_scc0 .LBB220_2
; %bb.3:
	v_mul_u32_u24_e32 v1, 0x140, v0
	s_cmpk_lg_i32 s21, 0x84
	v_add_u32_e32 v9, v3, v1
	s_cbranch_scc0 .LBB220_9
; %bb.4:
	ds_read_b128 v[1:4], v9
                                        ; implicit-def: $vgpr7_vgpr8
	s_waitcnt lgkmcnt(0)
	v_cmp_ngt_f64_e64 s[8:9], |v[1:2]|, |v[3:4]|
	s_and_saveexec_b64 s[16:17], s[8:9]
	s_xor_b64 s[8:9], exec, s[16:17]
	s_cbranch_execz .LBB220_6
; %bb.5:
	v_div_scale_f64 v[5:6], s[16:17], v[3:4], v[3:4], v[1:2]
	v_rcp_f64_e32 v[7:8], v[5:6]
	v_fma_f64 v[10:11], -v[5:6], v[7:8], 1.0
	v_fma_f64 v[7:8], v[7:8], v[10:11], v[7:8]
	v_div_scale_f64 v[10:11], vcc, v[1:2], v[3:4], v[1:2]
	v_fma_f64 v[12:13], -v[5:6], v[7:8], 1.0
	v_fma_f64 v[7:8], v[7:8], v[12:13], v[7:8]
	v_mul_f64 v[12:13], v[10:11], v[7:8]
	v_fma_f64 v[5:6], -v[5:6], v[12:13], v[10:11]
	v_div_fmas_f64 v[5:6], v[5:6], v[7:8], v[12:13]
	v_div_fixup_f64 v[5:6], v[5:6], v[3:4], v[1:2]
	v_fma_f64 v[1:2], v[1:2], v[5:6], v[3:4]
	v_div_scale_f64 v[3:4], s[16:17], v[1:2], v[1:2], 1.0
	v_rcp_f64_e32 v[7:8], v[3:4]
	v_fma_f64 v[10:11], -v[3:4], v[7:8], 1.0
	v_fma_f64 v[7:8], v[7:8], v[10:11], v[7:8]
	v_div_scale_f64 v[10:11], vcc, 1.0, v[1:2], 1.0
	v_fma_f64 v[12:13], -v[3:4], v[7:8], 1.0
	v_fma_f64 v[7:8], v[7:8], v[12:13], v[7:8]
	v_mul_f64 v[12:13], v[10:11], v[7:8]
	v_fma_f64 v[3:4], -v[3:4], v[12:13], v[10:11]
	v_div_fmas_f64 v[3:4], v[3:4], v[7:8], v[12:13]
	v_add_f64 v[7:8], v[5:6], 0
	v_div_fixup_f64 v[1:2], v[3:4], v[1:2], 1.0
	v_fma_f64 v[3:4], v[5:6], 0, -1.0
	v_mul_f64 v[5:6], v[7:8], v[1:2]
	v_mul_f64 v[7:8], v[3:4], v[1:2]
                                        ; implicit-def: $vgpr1_vgpr2
.LBB220_6:
	s_andn2_saveexec_b64 s[8:9], s[8:9]
	s_cbranch_execz .LBB220_8
; %bb.7:
	v_div_scale_f64 v[5:6], s[16:17], v[1:2], v[1:2], v[3:4]
	v_rcp_f64_e32 v[7:8], v[5:6]
	v_fma_f64 v[10:11], -v[5:6], v[7:8], 1.0
	v_fma_f64 v[7:8], v[7:8], v[10:11], v[7:8]
	v_div_scale_f64 v[10:11], vcc, v[3:4], v[1:2], v[3:4]
	v_fma_f64 v[12:13], -v[5:6], v[7:8], 1.0
	v_fma_f64 v[7:8], v[7:8], v[12:13], v[7:8]
	v_mul_f64 v[12:13], v[10:11], v[7:8]
	v_fma_f64 v[5:6], -v[5:6], v[12:13], v[10:11]
	v_div_fmas_f64 v[5:6], v[5:6], v[7:8], v[12:13]
	v_div_fixup_f64 v[5:6], v[5:6], v[1:2], v[3:4]
	v_fma_f64 v[1:2], v[3:4], v[5:6], v[1:2]
	v_div_scale_f64 v[3:4], s[16:17], v[1:2], v[1:2], 1.0
	v_rcp_f64_e32 v[7:8], v[3:4]
	v_fma_f64 v[10:11], -v[3:4], v[7:8], 1.0
	v_fma_f64 v[7:8], v[7:8], v[10:11], v[7:8]
	v_div_scale_f64 v[10:11], vcc, 1.0, v[1:2], 1.0
	v_fma_f64 v[12:13], -v[3:4], v[7:8], 1.0
	v_fma_f64 v[7:8], v[7:8], v[12:13], v[7:8]
	v_mul_f64 v[12:13], v[10:11], v[7:8]
	v_fma_f64 v[3:4], -v[3:4], v[12:13], v[10:11]
	v_div_fmas_f64 v[3:4], v[3:4], v[7:8], v[12:13]
	v_fma_f64 v[7:8], v[5:6], 0, 1.0
	v_div_fixup_f64 v[1:2], v[3:4], v[1:2], 1.0
	v_add_f64 v[3:4], -v[5:6], 0
	v_mul_f64 v[5:6], v[7:8], v[1:2]
	v_mul_f64 v[7:8], v[3:4], v[1:2]
.LBB220_8:
	s_or_b64 exec, exec, s[8:9]
	s_branch .LBB220_10
.LBB220_9:
	v_mov_b32_e32 v7, 0
	v_mov_b32_e32 v5, 0
	v_mov_b32_e32 v8, 0
	v_mov_b32_e32 v6, 0x3ff00000
.LBB220_10:
	ds_write_b128 v9, v[5:8]
.LBB220_11:
	s_or_b64 exec, exec, s[26:27]
	s_mul_i32 s8, s6, 0xffffffec
	s_add_i32 s29, s29, -1
	s_add_i32 s8, s23, s8
	s_cmp_ge_u32 s6, s29
	s_cselect_b32 s8, s8, 20
	v_cmp_gt_i32_e32 vcc, s8, v0
	s_waitcnt lgkmcnt(0)
	; wave barrier
	s_and_saveexec_b64 s[8:9], vcc
	s_cbranch_execz .LBB220_54
; %bb.12:
	s_load_dwordx2 s[8:9], s[4:5], 0x60
	s_load_dword s16, s[4:5], 0x58
	s_waitcnt lgkmcnt(0)
	s_mul_i32 s5, s9, s7
	s_mul_hi_u32 s9, s8, s7
	s_mul_i32 s4, s8, s7
	v_mad_u64_u32 v[0:1], s[6:7], s6, 20, v[0:1]
	s_add_i32 s5, s9, s5
	s_lshl_b64 s[4:5], s[4:5], 4
	v_mad_i64_i32 v[0:1], s[6:7], s16, v0, 0
	s_add_u32 s8, s10, s4
	s_addc_u32 s9, s11, s5
	s_lshl_b64 s[6:7], s[24:25], 4
	s_add_u32 s8, s8, s6
	v_lshlrev_b64 v[4:5], 4, v[0:1]
	s_addc_u32 s9, s9, s7
	v_mov_b32_e32 v0, s9
	v_add_co_u32_e32 v8, vcc, s8, v4
	v_addc_co_u32_e32 v9, vcc, v0, v5, vcc
	s_cmpk_eq_i32 s20, 0x6f
	s_mov_b64 s[8:9], -1
	s_cbranch_scc1 .LBB220_34
; %bb.13:
	s_add_u32 s8, s10, s6
	s_addc_u32 s9, s11, s7
	s_add_u32 s8, s8, s4
	s_addc_u32 s9, s9, s5
	v_mov_b32_e32 v0, s9
	v_add_co_u32_e32 v1, vcc, s8, v4
	v_addc_co_u32_e32 v0, vcc, v0, v5, vcc
	v_add_co_u32_e32 v10, vcc, 8, v1
	s_mov_b32 s9, 0
	v_addc_co_u32_e32 v11, vcc, 0, v0, vcc
	s_mov_b32 s16, s9
	s_mov_b32 s18, s9
	s_branch .LBB220_15
.LBB220_14:                             ;   in Loop: Header=BB220_15 Depth=1
	s_cmp_ge_i32 s18, s28
	s_cselect_b64 s[20:21], -1, 0
	s_add_i32 s16, s16, 1
	s_cmp_eq_u32 s16, 3
	s_cselect_b64 s[22:23], -1, 0
	s_or_b64 s[20:21], s[20:21], s[22:23]
	s_andn2_b64 vcc, exec, s[20:21]
	s_cbranch_vccz .LBB220_33
.LBB220_15:                             ; =>This Loop Header: Depth=1
                                        ;     Child Loop BB220_18 Depth 2
                                        ;       Child Loop BB220_19 Depth 3
                                        ;       Child Loop BB220_22 Depth 3
                                        ;         Child Loop BB220_23 Depth 4
                                        ;       Child Loop BB220_27 Depth 3
                                        ;         Child Loop BB220_29 Depth 4
	s_mov_b32 s17, s9
	s_lshl_b64 s[20:21], s[16:17], 2
	s_getpc_b64 s[22:23]
	s_add_u32 s22, s22, __const._ZL30rocblas_trsm_small_left_deviceILi20ELi20ELb0E19rocblas_complex_numIdES1_PKS1_PS1_Ev13rocblas_fill_18rocblas_operation_17rocblas_diagonal_iiT3_T4_lilT5_lili.step_sizes@rel32@lo+4
	s_addc_u32 s23, s23, __const._ZL30rocblas_trsm_small_left_deviceILi20ELi20ELb0E19rocblas_complex_numIdES1_PKS1_PS1_Ev13rocblas_fill_18rocblas_operation_17rocblas_diagonal_iiT3_T4_lilT5_lili.step_sizes@rel32@hi+12
	s_add_u32 s20, s22, s20
	s_addc_u32 s21, s23, s21
	s_load_dword s20, s[20:21], 0x0
	s_waitcnt lgkmcnt(0)
	s_add_i32 s17, s20, -1
	s_add_i32 s8, s17, s18
	s_cmp_ge_i32 s8, s28
	s_cbranch_scc1 .LBB220_14
; %bb.16:                               ;   in Loop: Header=BB220_15 Depth=1
	s_ashr_i32 s19, s18, 31
	s_lshl_b64 s[22:23], s[18:19], 4
	s_ashr_i32 s21, s20, 31
	v_mov_b32_e32 v0, s23
	v_add_co_u32_e32 v6, vcc, s22, v10
	s_lshl_b64 s[22:23], s[20:21], 4
	s_max_i32 s29, s20, 1
	v_addc_co_u32_e32 v7, vcc, v11, v0, vcc
	s_mul_i32 s19, s18, 0x140
	s_mul_i32 s21, s20, 0x140
	s_mul_i32 s30, s18, 0x150
	s_mul_i32 s31, s20, 0x150
	v_mov_b32_e32 v12, s23
	s_branch .LBB220_18
.LBB220_17:                             ;   in Loop: Header=BB220_18 Depth=2
	s_add_i32 s18, s18, s20
	s_add_i32 s8, s17, s18
	;; [unrolled: 1-line block ×4, first 2 shown]
	v_add_co_u32_e32 v6, vcc, s22, v6
	s_cmp_ge_i32 s8, s28
	v_addc_co_u32_e32 v7, vcc, v7, v12, vcc
	s_cbranch_scc1 .LBB220_14
.LBB220_18:                             ;   Parent Loop BB220_15 Depth=1
                                        ; =>  This Loop Header: Depth=2
                                        ;       Child Loop BB220_19 Depth 3
                                        ;       Child Loop BB220_22 Depth 3
                                        ;         Child Loop BB220_23 Depth 4
                                        ;       Child Loop BB220_27 Depth 3
                                        ;         Child Loop BB220_29 Depth 4
	v_mov_b32_e32 v0, v6
	s_mov_b32 s8, 0
	v_mov_b32_e32 v1, v7
	s_mov_b32 s23, s29
.LBB220_19:                             ;   Parent Loop BB220_15 Depth=1
                                        ;     Parent Loop BB220_18 Depth=2
                                        ; =>    This Inner Loop Header: Depth=3
	global_load_dwordx4 v[13:16], v[0:1], off offset:-8
	v_mov_b32_e32 v17, s8
	s_add_i32 s23, s23, -1
	v_add_co_u32_e32 v0, vcc, 16, v0
	s_add_i32 s8, s8, 16
	v_addc_co_u32_e32 v1, vcc, 0, v1, vcc
	s_cmp_eq_u32 s23, 0
	s_waitcnt vmcnt(0)
	v_mul_f64 v[2:3], s[14:15], v[15:16]
	v_mul_f64 v[15:16], s[12:13], v[15:16]
	v_fma_f64 v[2:3], s[12:13], v[13:14], -v[2:3]
	v_fma_f64 v[13:14], s[14:15], v[13:14], v[15:16]
	buffer_store_dword v3, v17, s[0:3], 0 offen offset:4
	buffer_store_dword v2, v17, s[0:3], 0 offen
	buffer_store_dword v14, v17, s[0:3], 0 offen offset:12
	buffer_store_dword v13, v17, s[0:3], 0 offen offset:8
	s_cbranch_scc0 .LBB220_19
; %bb.20:                               ;   in Loop: Header=BB220_18 Depth=2
	s_cmp_lt_i32 s18, 1
	s_cbranch_scc1 .LBB220_25
; %bb.21:                               ;   in Loop: Header=BB220_18 Depth=2
	s_mov_b32 s8, 0
	s_mov_b32 s23, s19
.LBB220_22:                             ;   Parent Loop BB220_15 Depth=1
                                        ;     Parent Loop BB220_18 Depth=2
                                        ; =>    This Loop Header: Depth=3
                                        ;         Child Loop BB220_23 Depth 4
	s_lshl_b64 s[24:25], s[8:9], 4
	v_mov_b32_e32 v1, s25
	v_add_co_u32_e32 v0, vcc, s24, v8
	v_addc_co_u32_e32 v1, vcc, v9, v1, vcc
	global_load_dwordx4 v[0:3], v[0:1], off
	s_mov_b32 s24, 0
	s_mov_b32 s25, s23
	s_mov_b32 s26, s29
.LBB220_23:                             ;   Parent Loop BB220_15 Depth=1
                                        ;     Parent Loop BB220_18 Depth=2
                                        ;       Parent Loop BB220_22 Depth=3
                                        ; =>      This Inner Loop Header: Depth=4
	v_mov_b32_e32 v23, s24
	buffer_load_dword v17, v23, s[0:3], 0 offen
	buffer_load_dword v18, v23, s[0:3], 0 offen offset:4
	buffer_load_dword v19, v23, s[0:3], 0 offen offset:8
	;; [unrolled: 1-line block ×3, first 2 shown]
	v_mov_b32_e32 v13, s25
	ds_read_b128 v[13:16], v13
	s_add_i32 s26, s26, -1
	s_addk_i32 s25, 0x140
	s_add_i32 s24, s24, 16
	s_cmp_eq_u32 s26, 0
	s_waitcnt vmcnt(4) lgkmcnt(0)
	v_mul_f64 v[21:22], v[2:3], v[15:16]
	v_mul_f64 v[15:16], v[0:1], v[15:16]
	v_fma_f64 v[21:22], v[0:1], v[13:14], -v[21:22]
	v_fma_f64 v[13:14], v[2:3], v[13:14], v[15:16]
	s_waitcnt vmcnt(2)
	v_add_f64 v[15:16], v[17:18], -v[21:22]
	s_waitcnt vmcnt(0)
	v_add_f64 v[13:14], v[19:20], -v[13:14]
	buffer_store_dword v15, v23, s[0:3], 0 offen
	buffer_store_dword v16, v23, s[0:3], 0 offen offset:4
	buffer_store_dword v13, v23, s[0:3], 0 offen offset:8
	;; [unrolled: 1-line block ×3, first 2 shown]
	s_cbranch_scc0 .LBB220_23
; %bb.24:                               ;   in Loop: Header=BB220_22 Depth=3
	s_add_i32 s8, s8, 1
	s_add_i32 s23, s23, 16
	s_cmp_eq_u32 s8, s18
	s_cbranch_scc0 .LBB220_22
.LBB220_25:                             ;   in Loop: Header=BB220_18 Depth=2
	s_mov_b32 s8, 0
	s_mov_b32 s23, s30
	s_branch .LBB220_27
.LBB220_26:                             ;   in Loop: Header=BB220_27 Depth=3
	s_mul_i32 s25, s24, 0x150
	v_mov_b32_e32 v13, s25
	ds_read_b128 v[13:16], v13
	s_ashr_i32 s25, s24, 31
	s_lshl_b64 s[24:25], s[24:25], 4
	s_lshl_b32 s26, s8, 4
	s_add_i32 s8, s8, 1
	s_waitcnt vmcnt(0) lgkmcnt(0)
	v_mul_f64 v[17:18], v[15:16], v[2:3]
	v_mul_f64 v[2:3], v[13:14], v[2:3]
	s_addk_i32 s23, 0x140
	v_mov_b32_e32 v19, s26
	s_cmp_eq_u32 s8, s29
	v_fma_f64 v[13:14], v[13:14], v[0:1], -v[17:18]
	v_fma_f64 v[15:16], v[15:16], v[0:1], v[2:3]
	v_mov_b32_e32 v17, s25
	v_add_co_u32_e32 v0, vcc, s24, v8
	v_addc_co_u32_e32 v1, vcc, v9, v17, vcc
	buffer_store_dword v14, v19, s[0:3], 0 offen offset:4
	buffer_store_dword v13, v19, s[0:3], 0 offen
	buffer_store_dword v16, v19, s[0:3], 0 offen offset:12
	buffer_store_dword v15, v19, s[0:3], 0 offen offset:8
	global_store_dwordx4 v[0:1], v[13:16], off
	s_cbranch_scc1 .LBB220_17
.LBB220_27:                             ;   Parent Loop BB220_15 Depth=1
                                        ;     Parent Loop BB220_18 Depth=2
                                        ; =>    This Loop Header: Depth=3
                                        ;         Child Loop BB220_29 Depth 4
	s_cmp_lg_u32 s8, 0
	s_cbranch_scc0 .LBB220_31
; %bb.28:                               ;   in Loop: Header=BB220_27 Depth=3
	s_lshl_b32 s24, s8, 4
	v_mov_b32_e32 v13, s24
	buffer_load_dword v0, v13, s[0:3], 0 offen
	buffer_load_dword v1, v13, s[0:3], 0 offen offset:4
	buffer_load_dword v2, v13, s[0:3], 0 offen offset:8
	;; [unrolled: 1-line block ×3, first 2 shown]
	s_add_i32 s24, s8, s18
	s_mov_b32 s25, 0
	s_mov_b32 s26, s23
	;; [unrolled: 1-line block ×3, first 2 shown]
.LBB220_29:                             ;   Parent Loop BB220_15 Depth=1
                                        ;     Parent Loop BB220_18 Depth=2
                                        ;       Parent Loop BB220_27 Depth=3
                                        ; =>      This Inner Loop Header: Depth=4
	v_mov_b32_e32 v14, s25
	buffer_load_dword v18, v14, s[0:3], 0 offen offset:8
	buffer_load_dword v19, v14, s[0:3], 0 offen offset:12
	buffer_load_dword v20, v14, s[0:3], 0 offen
	buffer_load_dword v21, v14, s[0:3], 0 offen offset:4
	v_mov_b32_e32 v14, s26
	ds_read_b128 v[14:17], v14
	s_add_i32 s27, s27, -1
	s_add_i32 s25, s25, 16
	s_add_i32 s26, s26, 16
	s_cmp_eq_u32 s27, 0
	s_waitcnt vmcnt(2) lgkmcnt(0)
	v_mul_f64 v[22:23], v[16:17], v[18:19]
	v_mul_f64 v[18:19], v[14:15], v[18:19]
	s_waitcnt vmcnt(0)
	v_fma_f64 v[14:15], v[14:15], v[20:21], -v[22:23]
	v_fma_f64 v[16:17], v[16:17], v[20:21], v[18:19]
	v_add_f64 v[0:1], v[0:1], -v[14:15]
	v_add_f64 v[2:3], v[2:3], -v[16:17]
	buffer_store_dword v0, v13, s[0:3], 0 offen
	buffer_store_dword v1, v13, s[0:3], 0 offen offset:4
	buffer_store_dword v2, v13, s[0:3], 0 offen offset:8
	;; [unrolled: 1-line block ×3, first 2 shown]
	s_cbranch_scc0 .LBB220_29
; %bb.30:                               ;   in Loop: Header=BB220_27 Depth=3
	s_branch .LBB220_26
.LBB220_31:                             ;   in Loop: Header=BB220_27 Depth=3
                                        ; implicit-def: $vgpr0_vgpr1
                                        ; implicit-def: $vgpr2_vgpr3
                                        ; implicit-def: $sgpr24
	s_cbranch_execz .LBB220_26
; %bb.32:                               ;   in Loop: Header=BB220_27 Depth=3
	buffer_load_dword v0, off, s[0:3], 0
	buffer_load_dword v1, off, s[0:3], 0 offset:4
	buffer_load_dword v2, off, s[0:3], 0 offset:8
	;; [unrolled: 1-line block ×3, first 2 shown]
	s_mov_b32 s24, s18
	s_branch .LBB220_26
.LBB220_33:
	s_mov_b64 s[8:9], 0
.LBB220_34:
	s_and_b64 vcc, exec, s[8:9]
	s_cbranch_vccz .LBB220_54
; %bb.35:
	s_add_i32 s18, s28, -1
	s_add_u32 s6, s10, s6
	s_addc_u32 s7, s11, s7
	s_add_u32 s4, s6, s4
	s_addc_u32 s5, s7, s5
	v_mov_b32_e32 v0, s5
	v_add_co_u32_e32 v1, vcc, s4, v4
	v_addc_co_u32_e32 v0, vcc, v0, v5, vcc
	v_add_co_u32_e32 v4, vcc, 8, v1
	s_mul_i32 s19, s28, 0x140
	s_mov_b32 s5, 0
	v_addc_co_u32_e32 v5, vcc, 0, v0, vcc
	s_addk_i32 s19, 0xfec0
	s_mov_b32 s6, s18
	s_mov_b32 s4, s5
	s_branch .LBB220_37
.LBB220_36:                             ;   in Loop: Header=BB220_37 Depth=1
	s_cmp_lt_i32 s6, 0
	s_cselect_b64 s[8:9], -1, 0
	s_add_i32 s4, s4, 1
	s_cmp_eq_u32 s4, 3
	s_cselect_b64 s[10:11], -1, 0
	s_or_b64 s[8:9], s[8:9], s[10:11]
	s_and_b64 vcc, exec, s[8:9]
	s_cbranch_vccnz .LBB220_54
.LBB220_37:                             ; =>This Loop Header: Depth=1
                                        ;     Child Loop BB220_40 Depth 2
                                        ;       Child Loop BB220_41 Depth 3
                                        ;       Child Loop BB220_43 Depth 3
                                        ;         Child Loop BB220_44 Depth 4
                                        ;       Child Loop BB220_48 Depth 3
                                        ;         Child Loop BB220_50 Depth 4
	s_lshl_b64 s[8:9], s[4:5], 2
	s_getpc_b64 s[10:11]
	s_add_u32 s10, s10, __const._ZL30rocblas_trsm_small_left_deviceILi20ELi20ELb0E19rocblas_complex_numIdES1_PKS1_PS1_Ev13rocblas_fill_18rocblas_operation_17rocblas_diagonal_iiT3_T4_lilT5_lili.step_sizes@rel32@lo+4
	s_addc_u32 s11, s11, __const._ZL30rocblas_trsm_small_left_deviceILi20ELi20ELb0E19rocblas_complex_numIdES1_PKS1_PS1_Ev13rocblas_fill_18rocblas_operation_17rocblas_diagonal_iiT3_T4_lilT5_lili.step_sizes@rel32@hi+12
	s_add_u32 s8, s10, s8
	s_addc_u32 s9, s11, s9
	s_load_dword s20, s[8:9], 0x0
	s_waitcnt lgkmcnt(0)
	s_add_i32 s21, s20, -1
	s_cmp_lt_i32 s6, s21
	s_cbranch_scc1 .LBB220_36
; %bb.38:                               ;   in Loop: Header=BB220_37 Depth=1
	s_lshl_b32 s7, s6, 4
	s_add_i32 s23, s19, s7
	s_lshl_b32 s7, s20, 4
	s_max_i32 s22, s20, 1
	s_sub_i32 s24, 0, s7
	s_mul_i32 s25, s6, 0x150
	s_mul_i32 s26, s20, 0xfffffeb0
	s_branch .LBB220_40
.LBB220_39:                             ;   in Loop: Header=BB220_40 Depth=2
	s_sub_i32 s6, s6, s20
	s_add_i32 s23, s23, s24
	s_add_i32 s25, s25, s26
	s_cmp_lt_i32 s6, s21
	s_cbranch_scc1 .LBB220_36
.LBB220_40:                             ;   Parent Loop BB220_37 Depth=1
                                        ; =>  This Loop Header: Depth=2
                                        ;       Child Loop BB220_41 Depth 3
                                        ;       Child Loop BB220_43 Depth 3
                                        ;         Child Loop BB220_44 Depth 4
                                        ;       Child Loop BB220_48 Depth 3
                                        ;         Child Loop BB220_50 Depth 4
	s_ashr_i32 s7, s6, 31
	s_lshl_b64 s[8:9], s[6:7], 4
	v_mov_b32_e32 v1, s9
	v_add_co_u32_e32 v0, vcc, s8, v4
	v_addc_co_u32_e32 v1, vcc, v5, v1, vcc
	s_mov_b32 s8, 0
	s_mov_b32 s9, s22
.LBB220_41:                             ;   Parent Loop BB220_37 Depth=1
                                        ;     Parent Loop BB220_40 Depth=2
                                        ; =>    This Inner Loop Header: Depth=3
	global_load_dwordx4 v[10:13], v[0:1], off offset:-8
	s_add_i32 s9, s9, -1
	v_add_co_u32_e32 v0, vcc, -16, v0
	v_addc_co_u32_e32 v1, vcc, -1, v1, vcc
	s_waitcnt vmcnt(0)
	v_mul_f64 v[2:3], s[14:15], v[12:13]
	v_mul_f64 v[6:7], s[12:13], v[12:13]
	v_mov_b32_e32 v12, s8
	s_add_i32 s8, s8, 16
	s_cmp_eq_u32 s9, 0
	v_fma_f64 v[2:3], s[12:13], v[10:11], -v[2:3]
	v_fma_f64 v[6:7], s[14:15], v[10:11], v[6:7]
	buffer_store_dword v3, v12, s[0:3], 0 offen offset:4
	buffer_store_dword v2, v12, s[0:3], 0 offen
	buffer_store_dword v7, v12, s[0:3], 0 offen offset:12
	buffer_store_dword v6, v12, s[0:3], 0 offen offset:8
	s_cbranch_scc0 .LBB220_41
; %bb.42:                               ;   in Loop: Header=BB220_40 Depth=2
	s_cmp_le_i32 s18, s6
	s_mov_b32 s10, s23
	s_mov_b32 s8, s18
	s_cbranch_scc1 .LBB220_46
.LBB220_43:                             ;   Parent Loop BB220_37 Depth=1
                                        ;     Parent Loop BB220_40 Depth=2
                                        ; =>    This Loop Header: Depth=3
                                        ;         Child Loop BB220_44 Depth 4
	s_ashr_i32 s9, s8, 31
	s_lshl_b64 s[16:17], s[8:9], 4
	v_mov_b32_e32 v1, s17
	v_add_co_u32_e32 v0, vcc, s16, v8
	v_addc_co_u32_e32 v1, vcc, v9, v1, vcc
	global_load_dwordx4 v[0:3], v[0:1], off
	s_mov_b32 s9, 0
	s_mov_b32 s11, s10
	;; [unrolled: 1-line block ×3, first 2 shown]
.LBB220_44:                             ;   Parent Loop BB220_37 Depth=1
                                        ;     Parent Loop BB220_40 Depth=2
                                        ;       Parent Loop BB220_43 Depth=3
                                        ; =>      This Inner Loop Header: Depth=4
	v_mov_b32_e32 v18, s9
	buffer_load_dword v6, v18, s[0:3], 0 offen
	buffer_load_dword v7, v18, s[0:3], 0 offen offset:4
	buffer_load_dword v14, v18, s[0:3], 0 offen offset:8
	;; [unrolled: 1-line block ×3, first 2 shown]
	v_mov_b32_e32 v10, s11
	ds_read_b128 v[10:13], v10
	s_add_i32 s16, s16, -1
	s_add_i32 s11, s11, -16
	s_add_i32 s9, s9, 16
	s_cmp_eq_u32 s16, 0
	s_waitcnt vmcnt(4) lgkmcnt(0)
	v_mul_f64 v[16:17], v[2:3], v[12:13]
	v_mul_f64 v[12:13], v[0:1], v[12:13]
	v_fma_f64 v[16:17], v[0:1], v[10:11], -v[16:17]
	v_fma_f64 v[10:11], v[2:3], v[10:11], v[12:13]
	s_waitcnt vmcnt(2)
	v_add_f64 v[6:7], v[6:7], -v[16:17]
	s_waitcnt vmcnt(0)
	v_add_f64 v[10:11], v[14:15], -v[10:11]
	buffer_store_dword v6, v18, s[0:3], 0 offen
	buffer_store_dword v7, v18, s[0:3], 0 offen offset:4
	buffer_store_dword v10, v18, s[0:3], 0 offen offset:8
	;; [unrolled: 1-line block ×3, first 2 shown]
	s_cbranch_scc0 .LBB220_44
; %bb.45:                               ;   in Loop: Header=BB220_43 Depth=3
	s_add_i32 s8, s8, -1
	s_addk_i32 s10, 0xfec0
	s_cmp_le_i32 s8, s6
	s_cbranch_scc0 .LBB220_43
.LBB220_46:                             ;   in Loop: Header=BB220_40 Depth=2
	s_mov_b32 s27, 0
	s_mov_b32 s28, s25
	s_branch .LBB220_48
.LBB220_47:                             ;   in Loop: Header=BB220_48 Depth=3
	s_mulk_i32 s10, 0x150
	v_mov_b32_e32 v6, s10
	ds_read_b128 v[10:13], v6
	s_lshl_b64 s[8:9], s[8:9], 4
	s_lshl_b32 s10, s27, 4
	s_add_i32 s27, s27, 1
	s_add_i32 s28, s28, -16
	s_waitcnt vmcnt(0) lgkmcnt(0)
	v_mul_f64 v[6:7], v[12:13], v[2:3]
	v_mul_f64 v[2:3], v[10:11], v[2:3]
	v_mov_b32_e32 v14, s10
	s_cmp_eq_u32 s27, s22
	v_fma_f64 v[10:11], v[10:11], v[0:1], -v[6:7]
	v_fma_f64 v[12:13], v[12:13], v[0:1], v[2:3]
	v_mov_b32_e32 v6, s9
	v_add_co_u32_e32 v0, vcc, s8, v8
	v_addc_co_u32_e32 v1, vcc, v9, v6, vcc
	buffer_store_dword v11, v14, s[0:3], 0 offen offset:4
	buffer_store_dword v10, v14, s[0:3], 0 offen
	buffer_store_dword v13, v14, s[0:3], 0 offen offset:12
	buffer_store_dword v12, v14, s[0:3], 0 offen offset:8
	global_store_dwordx4 v[0:1], v[10:13], off
	s_cbranch_scc1 .LBB220_39
.LBB220_48:                             ;   Parent Loop BB220_37 Depth=1
                                        ;     Parent Loop BB220_40 Depth=2
                                        ; =>    This Loop Header: Depth=3
                                        ;         Child Loop BB220_50 Depth 4
	s_cmp_lg_u32 s27, 0
	s_cbranch_scc0 .LBB220_52
; %bb.49:                               ;   in Loop: Header=BB220_48 Depth=3
	s_lshl_b32 s8, s27, 4
	v_mov_b32_e32 v6, s8
	buffer_load_dword v0, v6, s[0:3], 0 offen
	buffer_load_dword v1, v6, s[0:3], 0 offen offset:4
	buffer_load_dword v2, v6, s[0:3], 0 offen offset:8
	;; [unrolled: 1-line block ×3, first 2 shown]
	s_mov_b32 s8, 0
	s_mov_b32 s9, s28
	;; [unrolled: 1-line block ×3, first 2 shown]
.LBB220_50:                             ;   Parent Loop BB220_37 Depth=1
                                        ;     Parent Loop BB220_40 Depth=2
                                        ;       Parent Loop BB220_48 Depth=3
                                        ; =>      This Inner Loop Header: Depth=4
	v_mov_b32_e32 v7, s8
	buffer_load_dword v14, v7, s[0:3], 0 offen offset:8
	buffer_load_dword v15, v7, s[0:3], 0 offen offset:12
	buffer_load_dword v16, v7, s[0:3], 0 offen
	buffer_load_dword v17, v7, s[0:3], 0 offen offset:4
	v_mov_b32_e32 v7, s9
	ds_read_b128 v[10:13], v7
	s_add_i32 s10, s10, -1
	s_addk_i32 s9, 0xfec0
	s_add_i32 s8, s8, 16
	s_cmp_eq_u32 s10, 0
	s_waitcnt vmcnt(2) lgkmcnt(0)
	v_mul_f64 v[18:19], v[12:13], v[14:15]
	v_mul_f64 v[14:15], v[10:11], v[14:15]
	s_waitcnt vmcnt(0)
	v_fma_f64 v[10:11], v[10:11], v[16:17], -v[18:19]
	v_fma_f64 v[12:13], v[12:13], v[16:17], v[14:15]
	v_add_f64 v[0:1], v[0:1], -v[10:11]
	v_add_f64 v[2:3], v[2:3], -v[12:13]
	buffer_store_dword v0, v6, s[0:3], 0 offen
	buffer_store_dword v1, v6, s[0:3], 0 offen offset:4
	buffer_store_dword v2, v6, s[0:3], 0 offen offset:8
	;; [unrolled: 1-line block ×3, first 2 shown]
	s_cbranch_scc0 .LBB220_50
; %bb.51:                               ;   in Loop: Header=BB220_48 Depth=3
	s_sub_i32 s10, s6, s27
	s_ashr_i32 s11, s10, 31
	s_mov_b64 s[8:9], s[10:11]
	s_branch .LBB220_47
.LBB220_52:                             ;   in Loop: Header=BB220_48 Depth=3
                                        ; implicit-def: $vgpr0_vgpr1
                                        ; implicit-def: $vgpr2_vgpr3
                                        ; implicit-def: $sgpr10
                                        ; implicit-def: $sgpr8_sgpr9
	s_cbranch_execz .LBB220_47
; %bb.53:                               ;   in Loop: Header=BB220_48 Depth=3
	buffer_load_dword v0, off, s[0:3], 0
	buffer_load_dword v1, off, s[0:3], 0 offset:4
	buffer_load_dword v2, off, s[0:3], 0 offset:8
	;; [unrolled: 1-line block ×3, first 2 shown]
	s_mov_b64 s[8:9], s[6:7]
	s_mov_b32 s10, s6
	s_branch .LBB220_47
.LBB220_54:
	s_endpgm
	.section	.rodata,"a",@progbits
	.p2align	6, 0x0
	.amdhsa_kernel _ZL30rocblas_trsm_small_left_deviceILi20ELi20ELb0E19rocblas_complex_numIdES1_PKS1_PS1_Ev13rocblas_fill_18rocblas_operation_17rocblas_diagonal_iiT3_T4_lilT5_lili
		.amdhsa_group_segment_fixed_size 6400
		.amdhsa_private_segment_fixed_size 336
		.amdhsa_kernarg_size 368
		.amdhsa_user_sgpr_count 6
		.amdhsa_user_sgpr_private_segment_buffer 1
		.amdhsa_user_sgpr_dispatch_ptr 0
		.amdhsa_user_sgpr_queue_ptr 0
		.amdhsa_user_sgpr_kernarg_segment_ptr 1
		.amdhsa_user_sgpr_dispatch_id 0
		.amdhsa_user_sgpr_flat_scratch_init 0
		.amdhsa_user_sgpr_private_segment_size 0
		.amdhsa_uses_dynamic_stack 0
		.amdhsa_system_sgpr_private_segment_wavefront_offset 1
		.amdhsa_system_sgpr_workgroup_id_x 1
		.amdhsa_system_sgpr_workgroup_id_y 0
		.amdhsa_system_sgpr_workgroup_id_z 1
		.amdhsa_system_sgpr_workgroup_info 0
		.amdhsa_system_vgpr_workitem_id 0
		.amdhsa_next_free_vgpr 65
		.amdhsa_next_free_sgpr 98
		.amdhsa_reserve_vcc 1
		.amdhsa_reserve_flat_scratch 0
		.amdhsa_float_round_mode_32 0
		.amdhsa_float_round_mode_16_64 0
		.amdhsa_float_denorm_mode_32 3
		.amdhsa_float_denorm_mode_16_64 3
		.amdhsa_dx10_clamp 1
		.amdhsa_ieee_mode 1
		.amdhsa_fp16_overflow 0
		.amdhsa_exception_fp_ieee_invalid_op 0
		.amdhsa_exception_fp_denorm_src 0
		.amdhsa_exception_fp_ieee_div_zero 0
		.amdhsa_exception_fp_ieee_overflow 0
		.amdhsa_exception_fp_ieee_underflow 0
		.amdhsa_exception_fp_ieee_inexact 0
		.amdhsa_exception_int_div_zero 0
	.end_amdhsa_kernel
	.section	.text._ZL30rocblas_trsm_small_left_deviceILi20ELi20ELb0E19rocblas_complex_numIdES1_PKS1_PS1_Ev13rocblas_fill_18rocblas_operation_17rocblas_diagonal_iiT3_T4_lilT5_lili,"axG",@progbits,_ZL30rocblas_trsm_small_left_deviceILi20ELi20ELb0E19rocblas_complex_numIdES1_PKS1_PS1_Ev13rocblas_fill_18rocblas_operation_17rocblas_diagonal_iiT3_T4_lilT5_lili,comdat
.Lfunc_end220:
	.size	_ZL30rocblas_trsm_small_left_deviceILi20ELi20ELb0E19rocblas_complex_numIdES1_PKS1_PS1_Ev13rocblas_fill_18rocblas_operation_17rocblas_diagonal_iiT3_T4_lilT5_lili, .Lfunc_end220-_ZL30rocblas_trsm_small_left_deviceILi20ELi20ELb0E19rocblas_complex_numIdES1_PKS1_PS1_Ev13rocblas_fill_18rocblas_operation_17rocblas_diagonal_iiT3_T4_lilT5_lili
                                        ; -- End function
	.set _ZL30rocblas_trsm_small_left_deviceILi20ELi20ELb0E19rocblas_complex_numIdES1_PKS1_PS1_Ev13rocblas_fill_18rocblas_operation_17rocblas_diagonal_iiT3_T4_lilT5_lili.num_vgpr, 24
	.set _ZL30rocblas_trsm_small_left_deviceILi20ELi20ELb0E19rocblas_complex_numIdES1_PKS1_PS1_Ev13rocblas_fill_18rocblas_operation_17rocblas_diagonal_iiT3_T4_lilT5_lili.num_agpr, 0
	.set _ZL30rocblas_trsm_small_left_deviceILi20ELi20ELb0E19rocblas_complex_numIdES1_PKS1_PS1_Ev13rocblas_fill_18rocblas_operation_17rocblas_diagonal_iiT3_T4_lilT5_lili.numbered_sgpr, 32
	.set _ZL30rocblas_trsm_small_left_deviceILi20ELi20ELb0E19rocblas_complex_numIdES1_PKS1_PS1_Ev13rocblas_fill_18rocblas_operation_17rocblas_diagonal_iiT3_T4_lilT5_lili.num_named_barrier, 0
	.set _ZL30rocblas_trsm_small_left_deviceILi20ELi20ELb0E19rocblas_complex_numIdES1_PKS1_PS1_Ev13rocblas_fill_18rocblas_operation_17rocblas_diagonal_iiT3_T4_lilT5_lili.private_seg_size, 336
	.set _ZL30rocblas_trsm_small_left_deviceILi20ELi20ELb0E19rocblas_complex_numIdES1_PKS1_PS1_Ev13rocblas_fill_18rocblas_operation_17rocblas_diagonal_iiT3_T4_lilT5_lili.uses_vcc, 1
	.set _ZL30rocblas_trsm_small_left_deviceILi20ELi20ELb0E19rocblas_complex_numIdES1_PKS1_PS1_Ev13rocblas_fill_18rocblas_operation_17rocblas_diagonal_iiT3_T4_lilT5_lili.uses_flat_scratch, 0
	.set _ZL30rocblas_trsm_small_left_deviceILi20ELi20ELb0E19rocblas_complex_numIdES1_PKS1_PS1_Ev13rocblas_fill_18rocblas_operation_17rocblas_diagonal_iiT3_T4_lilT5_lili.has_dyn_sized_stack, 0
	.set _ZL30rocblas_trsm_small_left_deviceILi20ELi20ELb0E19rocblas_complex_numIdES1_PKS1_PS1_Ev13rocblas_fill_18rocblas_operation_17rocblas_diagonal_iiT3_T4_lilT5_lili.has_recursion, 0
	.set _ZL30rocblas_trsm_small_left_deviceILi20ELi20ELb0E19rocblas_complex_numIdES1_PKS1_PS1_Ev13rocblas_fill_18rocblas_operation_17rocblas_diagonal_iiT3_T4_lilT5_lili.has_indirect_call, 0
	.section	.AMDGPU.csdata,"",@progbits
; Kernel info:
; codeLenInByte = 2960
; TotalNumSgprs: 36
; NumVgprs: 24
; ScratchSize: 336
; MemoryBound: 0
; FloatMode: 240
; IeeeMode: 1
; LDSByteSize: 6400 bytes/workgroup (compile time only)
; SGPRBlocks: 12
; VGPRBlocks: 16
; NumSGPRsForWavesPerEU: 102
; NumVGPRsForWavesPerEU: 65
; Occupancy: 3
; WaveLimiterHint : 0
; COMPUTE_PGM_RSRC2:SCRATCH_EN: 1
; COMPUTE_PGM_RSRC2:USER_SGPR: 6
; COMPUTE_PGM_RSRC2:TRAP_HANDLER: 0
; COMPUTE_PGM_RSRC2:TGID_X_EN: 1
; COMPUTE_PGM_RSRC2:TGID_Y_EN: 0
; COMPUTE_PGM_RSRC2:TGID_Z_EN: 1
; COMPUTE_PGM_RSRC2:TIDIG_COMP_CNT: 0
	.section	.text._ZL38rocblas_trsm_small_left_device_sharedBILi20ELi20ELb1E19rocblas_complex_numIdES1_PKS1_PS1_Ev13rocblas_fill_18rocblas_operation_17rocblas_diagonal_iiT3_T4_lilT5_lili,"axG",@progbits,_ZL38rocblas_trsm_small_left_device_sharedBILi20ELi20ELb1E19rocblas_complex_numIdES1_PKS1_PS1_Ev13rocblas_fill_18rocblas_operation_17rocblas_diagonal_iiT3_T4_lilT5_lili,comdat
	.globl	_ZL38rocblas_trsm_small_left_device_sharedBILi20ELi20ELb1E19rocblas_complex_numIdES1_PKS1_PS1_Ev13rocblas_fill_18rocblas_operation_17rocblas_diagonal_iiT3_T4_lilT5_lili ; -- Begin function _ZL38rocblas_trsm_small_left_device_sharedBILi20ELi20ELb1E19rocblas_complex_numIdES1_PKS1_PS1_Ev13rocblas_fill_18rocblas_operation_17rocblas_diagonal_iiT3_T4_lilT5_lili
	.p2align	8
	.type	_ZL38rocblas_trsm_small_left_device_sharedBILi20ELi20ELb1E19rocblas_complex_numIdES1_PKS1_PS1_Ev13rocblas_fill_18rocblas_operation_17rocblas_diagonal_iiT3_T4_lilT5_lili,@function
_ZL38rocblas_trsm_small_left_device_sharedBILi20ELi20ELb1E19rocblas_complex_numIdES1_PKS1_PS1_Ev13rocblas_fill_18rocblas_operation_17rocblas_diagonal_iiT3_T4_lilT5_lili: ; @_ZL38rocblas_trsm_small_left_device_sharedBILi20ELi20ELb1E19rocblas_complex_numIdES1_PKS1_PS1_Ev13rocblas_fill_18rocblas_operation_17rocblas_diagonal_iiT3_T4_lilT5_lili
; %bb.0:
	s_add_u32 s0, s0, s8
	s_load_dwordx4 s[20:23], s[4:5], 0x4
	s_load_dwordx8 s[12:19], s[4:5], 0x18
	s_load_dwordx4 s[8:11], s[4:5], 0x40
	s_load_dwordx2 s[24:25], s[4:5], 0x50
	s_load_dword s29, s[4:5], 0x70
	s_addc_u32 s1, s1, 0
	s_waitcnt lgkmcnt(0)
	s_min_i32 s28, s22, 20
	v_cmp_gt_i32_e32 vcc, s28, v0
	s_and_saveexec_b64 s[26:27], vcc
	s_cbranch_execz .LBB221_11
; %bb.1:
	s_load_dword s30, s[4:5], 0x38
	s_mul_i32 s9, s9, s7
	s_mul_hi_u32 s33, s8, s7
	s_mul_i32 s8, s8, s7
	v_lshlrev_b32_e32 v3, 4, v0
	s_waitcnt lgkmcnt(0)
	s_ashr_i32 s31, s30, 31
	s_cmpk_eq_i32 s20, 0x71
	s_cselect_b64 vcc, -1, 0
	s_add_i32 s9, s33, s9
	s_lshl_b64 s[8:9], s[8:9], 4
	s_lshl_b64 s[18:19], s[18:19], 4
	s_add_u32 s8, s8, s18
	s_addc_u32 s9, s9, s19
	s_add_u32 s8, s16, s8
	s_addc_u32 s9, s17, s9
	v_mov_b32_e32 v1, s9
	v_add_co_u32_e64 v2, s[8:9], s8, v3
	v_addc_co_u32_e64 v4, s[8:9], 0, v1, s[8:9]
	v_add_co_u32_e64 v1, s[8:9], 8, v2
	s_lshl_b64 s[16:17], s[30:31], 4
	v_addc_co_u32_e64 v2, s[8:9], 0, v4, s[8:9]
	v_mov_b32_e32 v4, s17
	v_mov_b32_e32 v5, v3
	s_mov_b32 s17, s28
.LBB221_2:                              ; =>This Inner Loop Header: Depth=1
	global_load_dwordx4 v[6:9], v[1:2], off offset:-8
	s_add_i32 s17, s17, -1
	v_add_co_u32_e64 v1, s[8:9], s16, v1
	v_addc_co_u32_e64 v2, s[8:9], v2, v4, s[8:9]
	s_cmp_eq_u32 s17, 0
	s_waitcnt vmcnt(0)
	v_xor_b32_e32 v10, 0x80000000, v9
	v_cndmask_b32_e32 v9, v9, v10, vcc
	ds_write_b128 v5, v[6:9]
	v_add_u32_e32 v5, 0x140, v5
	s_cbranch_scc0 .LBB221_2
; %bb.3:
	v_mul_u32_u24_e32 v1, 0x140, v0
	s_cmpk_lg_i32 s21, 0x84
	v_add_u32_e32 v9, v3, v1
	s_cbranch_scc0 .LBB221_9
; %bb.4:
	ds_read_b128 v[1:4], v9
                                        ; implicit-def: $vgpr7_vgpr8
	s_waitcnt lgkmcnt(0)
	v_cmp_ngt_f64_e64 s[8:9], |v[1:2]|, |v[3:4]|
	s_and_saveexec_b64 s[16:17], s[8:9]
	s_xor_b64 s[8:9], exec, s[16:17]
	s_cbranch_execz .LBB221_6
; %bb.5:
	v_div_scale_f64 v[5:6], s[16:17], v[3:4], v[3:4], v[1:2]
	v_rcp_f64_e32 v[7:8], v[5:6]
	v_fma_f64 v[10:11], -v[5:6], v[7:8], 1.0
	v_fma_f64 v[7:8], v[7:8], v[10:11], v[7:8]
	v_div_scale_f64 v[10:11], vcc, v[1:2], v[3:4], v[1:2]
	v_fma_f64 v[12:13], -v[5:6], v[7:8], 1.0
	v_fma_f64 v[7:8], v[7:8], v[12:13], v[7:8]
	v_mul_f64 v[12:13], v[10:11], v[7:8]
	v_fma_f64 v[5:6], -v[5:6], v[12:13], v[10:11]
	v_div_fmas_f64 v[5:6], v[5:6], v[7:8], v[12:13]
	v_div_fixup_f64 v[5:6], v[5:6], v[3:4], v[1:2]
	v_fma_f64 v[1:2], v[1:2], v[5:6], v[3:4]
	v_div_scale_f64 v[3:4], s[16:17], v[1:2], v[1:2], 1.0
	v_rcp_f64_e32 v[7:8], v[3:4]
	v_fma_f64 v[10:11], -v[3:4], v[7:8], 1.0
	v_fma_f64 v[7:8], v[7:8], v[10:11], v[7:8]
	v_div_scale_f64 v[10:11], vcc, 1.0, v[1:2], 1.0
	v_fma_f64 v[12:13], -v[3:4], v[7:8], 1.0
	v_fma_f64 v[7:8], v[7:8], v[12:13], v[7:8]
	v_mul_f64 v[12:13], v[10:11], v[7:8]
	v_fma_f64 v[3:4], -v[3:4], v[12:13], v[10:11]
	v_div_fmas_f64 v[3:4], v[3:4], v[7:8], v[12:13]
	v_add_f64 v[7:8], v[5:6], 0
	v_div_fixup_f64 v[1:2], v[3:4], v[1:2], 1.0
	v_fma_f64 v[3:4], v[5:6], 0, -1.0
	v_mul_f64 v[5:6], v[7:8], v[1:2]
	v_mul_f64 v[7:8], v[3:4], v[1:2]
                                        ; implicit-def: $vgpr1_vgpr2
.LBB221_6:
	s_andn2_saveexec_b64 s[8:9], s[8:9]
	s_cbranch_execz .LBB221_8
; %bb.7:
	v_div_scale_f64 v[5:6], s[16:17], v[1:2], v[1:2], v[3:4]
	v_rcp_f64_e32 v[7:8], v[5:6]
	v_fma_f64 v[10:11], -v[5:6], v[7:8], 1.0
	v_fma_f64 v[7:8], v[7:8], v[10:11], v[7:8]
	v_div_scale_f64 v[10:11], vcc, v[3:4], v[1:2], v[3:4]
	v_fma_f64 v[12:13], -v[5:6], v[7:8], 1.0
	v_fma_f64 v[7:8], v[7:8], v[12:13], v[7:8]
	v_mul_f64 v[12:13], v[10:11], v[7:8]
	v_fma_f64 v[5:6], -v[5:6], v[12:13], v[10:11]
	v_div_fmas_f64 v[5:6], v[5:6], v[7:8], v[12:13]
	v_div_fixup_f64 v[5:6], v[5:6], v[1:2], v[3:4]
	v_fma_f64 v[1:2], v[3:4], v[5:6], v[1:2]
	v_div_scale_f64 v[3:4], s[16:17], v[1:2], v[1:2], 1.0
	v_rcp_f64_e32 v[7:8], v[3:4]
	v_fma_f64 v[10:11], -v[3:4], v[7:8], 1.0
	v_fma_f64 v[7:8], v[7:8], v[10:11], v[7:8]
	v_div_scale_f64 v[10:11], vcc, 1.0, v[1:2], 1.0
	v_fma_f64 v[12:13], -v[3:4], v[7:8], 1.0
	v_fma_f64 v[7:8], v[7:8], v[12:13], v[7:8]
	v_mul_f64 v[12:13], v[10:11], v[7:8]
	v_fma_f64 v[3:4], -v[3:4], v[12:13], v[10:11]
	v_div_fmas_f64 v[3:4], v[3:4], v[7:8], v[12:13]
	v_fma_f64 v[7:8], v[5:6], 0, 1.0
	v_div_fixup_f64 v[1:2], v[3:4], v[1:2], 1.0
	v_add_f64 v[3:4], -v[5:6], 0
	v_mul_f64 v[5:6], v[7:8], v[1:2]
	v_mul_f64 v[7:8], v[3:4], v[1:2]
.LBB221_8:
	s_or_b64 exec, exec, s[8:9]
	s_branch .LBB221_10
.LBB221_9:
	v_mov_b32_e32 v7, 0
	v_mov_b32_e32 v5, 0
	;; [unrolled: 1-line block ×4, first 2 shown]
.LBB221_10:
	ds_write_b128 v9, v[5:8]
.LBB221_11:
	s_or_b64 exec, exec, s[26:27]
	s_load_dword s21, s[4:5], 0x58
	s_load_dwordx2 s[8:9], s[4:5], 0x60
	s_add_i32 s29, s29, -1
	s_waitcnt lgkmcnt(0)
	s_ashr_i32 s26, s21, 31
	s_mul_i32 s4, s9, s7
	s_mul_hi_u32 s5, s8, s7
	s_add_i32 s9, s5, s4
	s_mul_i32 s4, s6, 0xffffffec
	s_add_i32 s4, s23, s4
	s_cmp_ge_u32 s6, s29
	s_mul_i32 s6, s6, 20
	s_mul_i32 s8, s8, s7
	s_cselect_b32 s4, s4, 20
	s_ashr_i32 s7, s6, 31
	s_cmp_gt_i32 s22, 0
	v_cmp_gt_i32_e64 s[4:5], s4, v0
	s_cselect_b64 s[16:17], -1, 0
	s_and_b64 s[22:23], s[4:5], s[16:17]
	s_and_saveexec_b64 s[18:19], s[22:23]
	s_cbranch_execz .LBB221_14
; %bb.12:
	v_lshlrev_b32_e32 v3, 4, v0
	s_lshl_b64 s[30:31], s[6:7], 4
	s_lshl_b64 s[22:23], s[8:9], 4
	v_mov_b32_e32 v1, s31
	v_add_co_u32_e32 v4, vcc, s30, v3
	s_lshl_b64 s[30:31], s[24:25], 4
	s_add_u32 s7, s10, s30
	s_addc_u32 s27, s11, s31
	s_add_u32 s22, s7, s22
	v_addc_co_u32_e32 v5, vcc, 0, v1, vcc
	s_addc_u32 s23, s27, s23
	v_mov_b32_e32 v1, s22
	v_mov_b32_e32 v2, s23
	v_mad_u64_u32 v[1:2], s[22:23], v4, s21, v[1:2]
	v_mul_lo_u32 v4, v4, s26
	v_mul_lo_u32 v5, v5, s21
	v_add_co_u32_e32 v1, vcc, 8, v1
	v_add_u32_e32 v3, 0x1900, v3
	v_add3_u32 v2, v5, v2, v4
	v_addc_co_u32_e32 v2, vcc, 0, v2, vcc
	s_mov_b32 s7, s28
.LBB221_13:                             ; =>This Inner Loop Header: Depth=1
	global_load_dwordx4 v[4:7], v[1:2], off offset:-8
	s_add_i32 s7, s7, -1
	v_add_co_u32_e32 v1, vcc, 16, v1
	v_addc_co_u32_e32 v2, vcc, 0, v2, vcc
	s_cmp_lg_u32 s7, 0
	s_waitcnt vmcnt(0)
	v_mul_f64 v[8:9], s[14:15], v[6:7]
	v_mul_f64 v[10:11], s[12:13], v[6:7]
	v_fma_f64 v[6:7], s[12:13], v[4:5], -v[8:9]
	v_fma_f64 v[8:9], s[14:15], v[4:5], v[10:11]
	ds_write_b128 v3, v[6:9]
	v_add_u32_e32 v3, 0x140, v3
	s_cbranch_scc1 .LBB221_13
.LBB221_14:
	s_or_b64 exec, exec, s[18:19]
	v_mov_b32_e32 v1, 0x1900
	s_cmpk_eq_i32 s20, 0x6f
	v_lshl_add_u32 v5, v0, 4, v1
	s_mov_b64 s[12:13], -1
	s_waitcnt lgkmcnt(0)
	; wave barrier
	s_cbranch_scc1 .LBB221_35
; %bb.15:
	s_add_i32 s7, s28, -1
	s_lshl_b32 s18, s28, 4
	s_mov_b32 s13, 0
	s_add_i32 s18, s18, -16
	s_mov_b32 s12, s13
	s_mov_b32 s19, s7
	s_branch .LBB221_17
.LBB221_16:                             ;   in Loop: Header=BB221_17 Depth=1
	s_cmp_lt_i32 s19, 0
	s_cselect_b64 s[14:15], -1, 0
	s_add_i32 s12, s12, 1
	s_cmp_eq_u32 s12, 3
	s_cselect_b64 s[22:23], -1, 0
	s_or_b64 s[14:15], s[14:15], s[22:23]
	s_andn2_b64 vcc, exec, s[14:15]
	s_cbranch_vccz .LBB221_34
.LBB221_17:                             ; =>This Loop Header: Depth=1
                                        ;     Child Loop BB221_20 Depth 2
                                        ;       Child Loop BB221_21 Depth 3
                                        ;       Child Loop BB221_23 Depth 3
                                        ;         Child Loop BB221_24 Depth 4
                                        ;       Child Loop BB221_28 Depth 3
                                        ;         Child Loop BB221_30 Depth 4
	s_lshl_b64 s[14:15], s[12:13], 2
	s_getpc_b64 s[22:23]
	s_add_u32 s22, s22, __const._ZL38rocblas_trsm_small_left_device_sharedBILi20ELi20ELb1E19rocblas_complex_numIdES1_PKS1_PS1_Ev13rocblas_fill_18rocblas_operation_17rocblas_diagonal_iiT3_T4_lilT5_lili.step_sizes@rel32@lo+4
	s_addc_u32 s23, s23, __const._ZL38rocblas_trsm_small_left_device_sharedBILi20ELi20ELb1E19rocblas_complex_numIdES1_PKS1_PS1_Ev13rocblas_fill_18rocblas_operation_17rocblas_diagonal_iiT3_T4_lilT5_lili.step_sizes@rel32@hi+12
	s_add_u32 s14, s22, s14
	s_addc_u32 s15, s23, s15
	s_load_dword s20, s[14:15], 0x0
	s_waitcnt lgkmcnt(0)
	s_add_i32 s22, s20, -1
	s_cmp_lt_i32 s19, s22
	s_cbranch_scc1 .LBB221_16
; %bb.18:                               ;   in Loop: Header=BB221_17 Depth=1
	s_mul_i32 s14, s19, 0x140
	s_max_i32 s23, s20, 1
	v_add_u32_e32 v6, s14, v5
	s_mul_i32 s26, s20, 0xfffffec0
	s_add_i32 s27, s18, s14
	s_mul_i32 s29, s19, 0x150
	s_mul_i32 s30, s20, 0xfffffeb0
	s_branch .LBB221_20
.LBB221_19:                             ;   in Loop: Header=BB221_20 Depth=2
	s_sub_i32 s19, s19, s20
	s_add_i32 s27, s27, s26
	s_add_i32 s29, s29, s30
	s_cmp_lt_i32 s19, s22
	v_add_u32_e32 v6, s26, v6
	s_cbranch_scc1 .LBB221_16
.LBB221_20:                             ;   Parent Loop BB221_17 Depth=1
                                        ; =>  This Loop Header: Depth=2
                                        ;       Child Loop BB221_21 Depth 3
                                        ;       Child Loop BB221_23 Depth 3
                                        ;         Child Loop BB221_24 Depth 4
                                        ;       Child Loop BB221_28 Depth 3
                                        ;         Child Loop BB221_30 Depth 4
	s_mov_b32 s14, 0
	v_mov_b32_e32 v1, v6
	s_mov_b32 s15, s23
.LBB221_21:                             ;   Parent Loop BB221_17 Depth=1
                                        ;     Parent Loop BB221_20 Depth=2
                                        ; =>    This Inner Loop Header: Depth=3
	ds_read_b128 v[7:10], v1
	v_mov_b32_e32 v2, s14
	s_add_i32 s15, s15, -1
	s_add_i32 s14, s14, 16
	v_add_u32_e32 v1, 0xfffffec0, v1
	s_cmp_eq_u32 s15, 0
	s_waitcnt lgkmcnt(0)
	buffer_store_dword v10, v2, s[0:3], 0 offen offset:12
	buffer_store_dword v9, v2, s[0:3], 0 offen offset:8
	buffer_store_dword v8, v2, s[0:3], 0 offen offset:4
	buffer_store_dword v7, v2, s[0:3], 0 offen
	s_cbranch_scc0 .LBB221_21
; %bb.22:                               ;   in Loop: Header=BB221_20 Depth=2
	s_cmp_le_i32 s7, s19
	s_mov_b32 s14, s27
	s_mov_b32 s15, s7
	s_cbranch_scc1 .LBB221_26
.LBB221_23:                             ;   Parent Loop BB221_17 Depth=1
                                        ;     Parent Loop BB221_20 Depth=2
                                        ; =>    This Loop Header: Depth=3
                                        ;         Child Loop BB221_24 Depth 4
	s_mul_i32 s31, s15, 0x140
	v_add_u32_e32 v1, s31, v5
	ds_read_b128 v[1:4], v1
	s_mov_b32 s31, 0
	s_mov_b32 s33, s14
	;; [unrolled: 1-line block ×3, first 2 shown]
.LBB221_24:                             ;   Parent Loop BB221_17 Depth=1
                                        ;     Parent Loop BB221_20 Depth=2
                                        ;       Parent Loop BB221_23 Depth=3
                                        ; =>      This Inner Loop Header: Depth=4
	v_mov_b32_e32 v17, s31
	buffer_load_dword v11, v17, s[0:3], 0 offen
	buffer_load_dword v12, v17, s[0:3], 0 offen offset:4
	buffer_load_dword v13, v17, s[0:3], 0 offen offset:8
	buffer_load_dword v14, v17, s[0:3], 0 offen offset:12
	v_mov_b32_e32 v7, s33
	ds_read_b128 v[7:10], v7
	s_add_i32 s34, s34, -1
	s_addk_i32 s33, 0xfec0
	s_add_i32 s31, s31, 16
	s_cmp_eq_u32 s34, 0
	s_waitcnt lgkmcnt(0)
	v_mul_f64 v[15:16], v[3:4], v[9:10]
	v_mul_f64 v[9:10], v[1:2], v[9:10]
	v_fma_f64 v[15:16], v[1:2], v[7:8], -v[15:16]
	v_fma_f64 v[7:8], v[3:4], v[7:8], v[9:10]
	s_waitcnt vmcnt(2)
	v_add_f64 v[9:10], v[11:12], -v[15:16]
	s_waitcnt vmcnt(0)
	v_add_f64 v[7:8], v[13:14], -v[7:8]
	buffer_store_dword v9, v17, s[0:3], 0 offen
	buffer_store_dword v10, v17, s[0:3], 0 offen offset:4
	buffer_store_dword v7, v17, s[0:3], 0 offen offset:8
	;; [unrolled: 1-line block ×3, first 2 shown]
	s_cbranch_scc0 .LBB221_24
; %bb.25:                               ;   in Loop: Header=BB221_23 Depth=3
	s_add_i32 s15, s15, -1
	s_add_i32 s14, s14, -16
	s_cmp_le_i32 s15, s19
	s_cbranch_scc0 .LBB221_23
.LBB221_26:                             ;   in Loop: Header=BB221_20 Depth=2
	s_mul_i32 s31, s19, 0x140
	s_mov_b32 s33, 0
	s_mov_b32 s34, s29
	s_branch .LBB221_28
.LBB221_27:                             ;   in Loop: Header=BB221_28 Depth=3
	s_mul_i32 s14, s36, 0x150
	v_mov_b32_e32 v7, s14
	ds_read_b128 v[7:10], v7
	s_lshl_b32 s14, s33, 4
	s_add_i32 s33, s33, 1
	s_addk_i32 s34, 0xfec0
	s_cmp_eq_u32 s33, s23
	s_waitcnt vmcnt(0) lgkmcnt(0)
	v_mul_f64 v[11:12], v[9:10], v[3:4]
	v_mul_f64 v[3:4], v[7:8], v[3:4]
	v_fma_f64 v[7:8], v[7:8], v[1:2], -v[11:12]
	v_fma_f64 v[9:10], v[9:10], v[1:2], v[3:4]
	v_add_u32_e32 v1, s35, v5
	v_mov_b32_e32 v2, s14
	buffer_store_dword v8, v2, s[0:3], 0 offen offset:4
	buffer_store_dword v7, v2, s[0:3], 0 offen
	buffer_store_dword v10, v2, s[0:3], 0 offen offset:12
	buffer_store_dword v9, v2, s[0:3], 0 offen offset:8
	ds_write_b128 v1, v[7:10]
	s_cbranch_scc1 .LBB221_19
.LBB221_28:                             ;   Parent Loop BB221_17 Depth=1
                                        ;     Parent Loop BB221_20 Depth=2
                                        ; =>    This Loop Header: Depth=3
                                        ;         Child Loop BB221_30 Depth 4
	s_cmp_lg_u32 s33, 0
	s_cbranch_scc0 .LBB221_32
; %bb.29:                               ;   in Loop: Header=BB221_28 Depth=3
	s_lshl_b32 s14, s33, 4
	v_mov_b32_e32 v7, s14
	buffer_load_dword v1, v7, s[0:3], 0 offen
	buffer_load_dword v2, v7, s[0:3], 0 offen offset:4
	buffer_load_dword v3, v7, s[0:3], 0 offen offset:8
	;; [unrolled: 1-line block ×3, first 2 shown]
	s_sub_i32 s36, s19, s33
	s_mul_i32 s35, s36, 0x140
	s_mov_b32 s14, 0
	s_mov_b32 s15, s34
	;; [unrolled: 1-line block ×3, first 2 shown]
.LBB221_30:                             ;   Parent Loop BB221_17 Depth=1
                                        ;     Parent Loop BB221_20 Depth=2
                                        ;       Parent Loop BB221_28 Depth=3
                                        ; =>      This Inner Loop Header: Depth=4
	v_mov_b32_e32 v8, s14
	buffer_load_dword v12, v8, s[0:3], 0 offen offset:8
	buffer_load_dword v13, v8, s[0:3], 0 offen offset:12
	buffer_load_dword v14, v8, s[0:3], 0 offen
	buffer_load_dword v15, v8, s[0:3], 0 offen offset:4
	v_mov_b32_e32 v8, s15
	ds_read_b128 v[8:11], v8
	s_add_i32 s37, s37, -1
	s_add_i32 s15, s15, -16
	s_add_i32 s14, s14, 16
	s_cmp_eq_u32 s37, 0
	s_waitcnt vmcnt(2) lgkmcnt(0)
	v_mul_f64 v[16:17], v[10:11], v[12:13]
	v_mul_f64 v[12:13], v[8:9], v[12:13]
	s_waitcnt vmcnt(0)
	v_fma_f64 v[8:9], v[8:9], v[14:15], -v[16:17]
	v_fma_f64 v[10:11], v[10:11], v[14:15], v[12:13]
	v_add_f64 v[1:2], v[1:2], -v[8:9]
	v_add_f64 v[3:4], v[3:4], -v[10:11]
	buffer_store_dword v1, v7, s[0:3], 0 offen
	buffer_store_dword v2, v7, s[0:3], 0 offen offset:4
	buffer_store_dword v3, v7, s[0:3], 0 offen offset:8
	;; [unrolled: 1-line block ×3, first 2 shown]
	s_cbranch_scc0 .LBB221_30
; %bb.31:                               ;   in Loop: Header=BB221_28 Depth=3
	s_branch .LBB221_27
.LBB221_32:                             ;   in Loop: Header=BB221_28 Depth=3
                                        ; implicit-def: $vgpr1_vgpr2
                                        ; implicit-def: $vgpr3_vgpr4
                                        ; implicit-def: $sgpr36
                                        ; implicit-def: $sgpr35
	s_cbranch_execz .LBB221_27
; %bb.33:                               ;   in Loop: Header=BB221_28 Depth=3
	buffer_load_dword v1, off, s[0:3], 0
	buffer_load_dword v2, off, s[0:3], 0 offset:4
	buffer_load_dword v3, off, s[0:3], 0 offset:8
	buffer_load_dword v4, off, s[0:3], 0 offset:12
	s_mov_b32 s35, s31
	s_mov_b32 s36, s19
	s_branch .LBB221_27
.LBB221_34:
	s_mov_b64 s[12:13], 0
.LBB221_35:
	s_and_b64 vcc, exec, s[12:13]
	s_cbranch_vccz .LBB221_56
; %bb.36:
	v_mov_b32_e32 v1, 0x1900
	s_mov_b32 s13, 0
	v_lshl_add_u32 v6, v0, 4, v1
	s_mov_b32 s12, s13
	s_mov_b32 s7, s13
	s_branch .LBB221_38
.LBB221_37:                             ;   in Loop: Header=BB221_38 Depth=1
	s_cmp_ge_i32 s7, s28
	s_cselect_b64 s[14:15], -1, 0
	s_add_i32 s12, s12, 1
	s_cmp_eq_u32 s12, 3
	s_cselect_b64 s[18:19], -1, 0
	s_or_b64 s[14:15], s[14:15], s[18:19]
	s_and_b64 vcc, exec, s[14:15]
	s_cbranch_vccnz .LBB221_56
.LBB221_38:                             ; =>This Loop Header: Depth=1
                                        ;     Child Loop BB221_41 Depth 2
                                        ;       Child Loop BB221_42 Depth 3
                                        ;       Child Loop BB221_45 Depth 3
                                        ;         Child Loop BB221_46 Depth 4
                                        ;       Child Loop BB221_50 Depth 3
                                        ;         Child Loop BB221_52 Depth 4
	s_lshl_b64 s[14:15], s[12:13], 2
	s_getpc_b64 s[18:19]
	s_add_u32 s18, s18, __const._ZL38rocblas_trsm_small_left_device_sharedBILi20ELi20ELb1E19rocblas_complex_numIdES1_PKS1_PS1_Ev13rocblas_fill_18rocblas_operation_17rocblas_diagonal_iiT3_T4_lilT5_lili.step_sizes@rel32@lo+4
	s_addc_u32 s19, s19, __const._ZL38rocblas_trsm_small_left_device_sharedBILi20ELi20ELb1E19rocblas_complex_numIdES1_PKS1_PS1_Ev13rocblas_fill_18rocblas_operation_17rocblas_diagonal_iiT3_T4_lilT5_lili.step_sizes@rel32@hi+12
	s_add_u32 s14, s18, s14
	s_addc_u32 s15, s19, s15
	s_load_dword s18, s[14:15], 0x0
	s_waitcnt lgkmcnt(0)
	s_add_i32 s19, s18, -1
	s_add_i32 s14, s19, s7
	s_cmp_ge_i32 s14, s28
	s_cbranch_scc1 .LBB221_37
; %bb.39:                               ;   in Loop: Header=BB221_38 Depth=1
	s_mul_i32 s14, s7, 0x140
	s_max_i32 s20, s18, 1
	v_add_u32_e32 v7, s14, v6
	s_mul_i32 s22, s18, 0x140
	s_lshl_b32 s23, s7, 4
	s_lshl_b32 s26, s18, 4
	s_mul_i32 s27, s7, 0x150
	s_mul_i32 s29, s18, 0x150
	s_branch .LBB221_41
.LBB221_40:                             ;   in Loop: Header=BB221_41 Depth=2
	s_add_i32 s7, s7, s18
	s_add_i32 s14, s19, s7
	;; [unrolled: 1-line block ×4, first 2 shown]
	s_cmp_ge_i32 s14, s28
	v_add_u32_e32 v7, s22, v7
	s_cbranch_scc1 .LBB221_37
.LBB221_41:                             ;   Parent Loop BB221_38 Depth=1
                                        ; =>  This Loop Header: Depth=2
                                        ;       Child Loop BB221_42 Depth 3
                                        ;       Child Loop BB221_45 Depth 3
                                        ;         Child Loop BB221_46 Depth 4
                                        ;       Child Loop BB221_50 Depth 3
                                        ;         Child Loop BB221_52 Depth 4
	s_mov_b32 s14, 0
	v_mov_b32_e32 v1, v7
	s_mov_b32 s15, s20
.LBB221_42:                             ;   Parent Loop BB221_38 Depth=1
                                        ;     Parent Loop BB221_41 Depth=2
                                        ; =>    This Inner Loop Header: Depth=3
	ds_read_b128 v[8:11], v1
	v_mov_b32_e32 v2, s14
	s_add_i32 s15, s15, -1
	s_add_i32 s14, s14, 16
	v_add_u32_e32 v1, 0x140, v1
	s_cmp_eq_u32 s15, 0
	s_waitcnt lgkmcnt(0)
	buffer_store_dword v11, v2, s[0:3], 0 offen offset:12
	buffer_store_dword v10, v2, s[0:3], 0 offen offset:8
	;; [unrolled: 1-line block ×3, first 2 shown]
	buffer_store_dword v8, v2, s[0:3], 0 offen
	s_cbranch_scc0 .LBB221_42
; %bb.43:                               ;   in Loop: Header=BB221_41 Depth=2
	s_cmp_lt_i32 s7, 1
	s_cbranch_scc1 .LBB221_48
; %bb.44:                               ;   in Loop: Header=BB221_41 Depth=2
	s_mov_b32 s14, 0
	s_mov_b32 s15, s23
.LBB221_45:                             ;   Parent Loop BB221_38 Depth=1
                                        ;     Parent Loop BB221_41 Depth=2
                                        ; =>    This Loop Header: Depth=3
                                        ;         Child Loop BB221_46 Depth 4
	s_mul_i32 s30, s14, 0x140
	v_add_u32_e32 v1, s30, v5
	ds_read_b128 v[1:4], v1
	s_mov_b32 s30, 0
	s_mov_b32 s31, s15
	;; [unrolled: 1-line block ×3, first 2 shown]
.LBB221_46:                             ;   Parent Loop BB221_38 Depth=1
                                        ;     Parent Loop BB221_41 Depth=2
                                        ;       Parent Loop BB221_45 Depth=3
                                        ; =>      This Inner Loop Header: Depth=4
	v_mov_b32_e32 v18, s30
	buffer_load_dword v12, v18, s[0:3], 0 offen
	buffer_load_dword v13, v18, s[0:3], 0 offen offset:4
	buffer_load_dword v14, v18, s[0:3], 0 offen offset:8
	;; [unrolled: 1-line block ×3, first 2 shown]
	v_mov_b32_e32 v8, s31
	ds_read_b128 v[8:11], v8
	s_add_i32 s33, s33, -1
	s_add_i32 s31, s31, 16
	s_add_i32 s30, s30, 16
	s_cmp_eq_u32 s33, 0
	s_waitcnt lgkmcnt(0)
	v_mul_f64 v[16:17], v[3:4], v[10:11]
	v_mul_f64 v[10:11], v[1:2], v[10:11]
	v_fma_f64 v[16:17], v[1:2], v[8:9], -v[16:17]
	v_fma_f64 v[8:9], v[3:4], v[8:9], v[10:11]
	s_waitcnt vmcnt(2)
	v_add_f64 v[10:11], v[12:13], -v[16:17]
	s_waitcnt vmcnt(0)
	v_add_f64 v[8:9], v[14:15], -v[8:9]
	buffer_store_dword v10, v18, s[0:3], 0 offen
	buffer_store_dword v11, v18, s[0:3], 0 offen offset:4
	buffer_store_dword v8, v18, s[0:3], 0 offen offset:8
	;; [unrolled: 1-line block ×3, first 2 shown]
	s_cbranch_scc0 .LBB221_46
; %bb.47:                               ;   in Loop: Header=BB221_45 Depth=3
	s_add_i32 s14, s14, 1
	s_addk_i32 s15, 0x140
	s_cmp_eq_u32 s14, s7
	s_cbranch_scc0 .LBB221_45
.LBB221_48:                             ;   in Loop: Header=BB221_41 Depth=2
	s_mov_b32 s30, 0
	s_mov_b32 s31, s27
	s_branch .LBB221_50
.LBB221_49:                             ;   in Loop: Header=BB221_50 Depth=3
	s_add_i32 s14, s30, s7
	s_mul_i32 s15, s14, 0x150
	v_mov_b32_e32 v8, s15
	ds_read_b128 v[8:11], v8
	s_lshl_b32 s15, s30, 4
	s_add_i32 s30, s30, 1
	s_add_i32 s31, s31, 16
	s_mulk_i32 s14, 0x140
	s_waitcnt vmcnt(0) lgkmcnt(0)
	v_mul_f64 v[12:13], v[10:11], v[3:4]
	v_mul_f64 v[3:4], v[8:9], v[3:4]
	s_cmp_eq_u32 s30, s20
	v_fma_f64 v[8:9], v[8:9], v[1:2], -v[12:13]
	v_fma_f64 v[10:11], v[10:11], v[1:2], v[3:4]
	v_mov_b32_e32 v1, s15
	v_add_u32_e32 v2, s14, v5
	buffer_store_dword v9, v1, s[0:3], 0 offen offset:4
	buffer_store_dword v8, v1, s[0:3], 0 offen
	buffer_store_dword v11, v1, s[0:3], 0 offen offset:12
	buffer_store_dword v10, v1, s[0:3], 0 offen offset:8
	ds_write_b128 v2, v[8:11]
	s_cbranch_scc1 .LBB221_40
.LBB221_50:                             ;   Parent Loop BB221_38 Depth=1
                                        ;     Parent Loop BB221_41 Depth=2
                                        ; =>    This Loop Header: Depth=3
                                        ;         Child Loop BB221_52 Depth 4
	s_cmp_lg_u32 s30, 0
	s_cbranch_scc0 .LBB221_54
; %bb.51:                               ;   in Loop: Header=BB221_50 Depth=3
	s_lshl_b32 s14, s30, 4
	v_mov_b32_e32 v8, s14
	buffer_load_dword v1, v8, s[0:3], 0 offen
	buffer_load_dword v2, v8, s[0:3], 0 offen offset:4
	buffer_load_dword v3, v8, s[0:3], 0 offen offset:8
	;; [unrolled: 1-line block ×3, first 2 shown]
	s_mov_b32 s14, 0
	s_mov_b32 s15, s31
	;; [unrolled: 1-line block ×3, first 2 shown]
.LBB221_52:                             ;   Parent Loop BB221_38 Depth=1
                                        ;     Parent Loop BB221_41 Depth=2
                                        ;       Parent Loop BB221_50 Depth=3
                                        ; =>      This Inner Loop Header: Depth=4
	v_mov_b32_e32 v9, s14
	buffer_load_dword v13, v9, s[0:3], 0 offen offset:8
	buffer_load_dword v14, v9, s[0:3], 0 offen offset:12
	buffer_load_dword v15, v9, s[0:3], 0 offen
	buffer_load_dword v16, v9, s[0:3], 0 offen offset:4
	v_mov_b32_e32 v9, s15
	ds_read_b128 v[9:12], v9
	s_add_i32 s33, s33, -1
	s_addk_i32 s15, 0x140
	s_add_i32 s14, s14, 16
	s_cmp_eq_u32 s33, 0
	s_waitcnt vmcnt(2) lgkmcnt(0)
	v_mul_f64 v[17:18], v[11:12], v[13:14]
	v_mul_f64 v[13:14], v[9:10], v[13:14]
	s_waitcnt vmcnt(0)
	v_fma_f64 v[9:10], v[9:10], v[15:16], -v[17:18]
	v_fma_f64 v[11:12], v[11:12], v[15:16], v[13:14]
	v_add_f64 v[1:2], v[1:2], -v[9:10]
	v_add_f64 v[3:4], v[3:4], -v[11:12]
	buffer_store_dword v1, v8, s[0:3], 0 offen
	buffer_store_dword v2, v8, s[0:3], 0 offen offset:4
	buffer_store_dword v3, v8, s[0:3], 0 offen offset:8
	;; [unrolled: 1-line block ×3, first 2 shown]
	s_cbranch_scc0 .LBB221_52
; %bb.53:                               ;   in Loop: Header=BB221_50 Depth=3
	s_branch .LBB221_49
.LBB221_54:                             ;   in Loop: Header=BB221_50 Depth=3
                                        ; implicit-def: $vgpr1_vgpr2
                                        ; implicit-def: $vgpr3_vgpr4
	s_cbranch_execz .LBB221_49
; %bb.55:                               ;   in Loop: Header=BB221_50 Depth=3
	buffer_load_dword v1, off, s[0:3], 0
	buffer_load_dword v2, off, s[0:3], 0 offset:4
	buffer_load_dword v3, off, s[0:3], 0 offset:8
	;; [unrolled: 1-line block ×3, first 2 shown]
	s_branch .LBB221_49
.LBB221_56:
	s_waitcnt lgkmcnt(0)
	; wave barrier
	s_and_saveexec_b64 s[12:13], s[4:5]
	s_cbranch_execz .LBB221_60
; %bb.57:
	s_andn2_b64 vcc, exec, s[16:17]
	s_cbranch_vccnz .LBB221_60
; %bb.58:
	s_lshl_b64 s[4:5], s[8:9], 4
	s_add_u32 s7, s10, s4
	s_addc_u32 s8, s11, s5
	s_lshl_b64 s[4:5], s[24:25], 4
	s_add_u32 s9, s7, s4
	s_addc_u32 s8, s8, s5
	s_mul_hi_i32 s5, s21, s6
	s_mul_i32 s4, s21, s6
	v_mad_i64_i32 v[1:2], s[6:7], s21, v0, 0
	s_lshl_b64 s[4:5], s[4:5], 4
	s_add_u32 s4, s9, s4
	v_lshlrev_b64 v[1:2], 4, v[1:2]
	s_addc_u32 s5, s8, s5
	v_mov_b32_e32 v3, s5
	v_add_co_u32_e32 v1, vcc, s4, v1
	v_addc_co_u32_e32 v2, vcc, v3, v2, vcc
	v_mov_b32_e32 v3, 0x1900
	v_lshl_add_u32 v0, v0, 4, v3
.LBB221_59:                             ; =>This Inner Loop Header: Depth=1
	ds_read2_b64 v[3:6], v0 offset1:1
	s_add_i32 s28, s28, -1
	v_add_u32_e32 v0, 0x140, v0
	s_cmp_lg_u32 s28, 0
	s_waitcnt lgkmcnt(0)
	global_store_dwordx4 v[1:2], v[3:6], off
	v_add_co_u32_e32 v1, vcc, 16, v1
	v_addc_co_u32_e32 v2, vcc, 0, v2, vcc
	s_cbranch_scc1 .LBB221_59
.LBB221_60:
	s_endpgm
	.section	.rodata,"a",@progbits
	.p2align	6, 0x0
	.amdhsa_kernel _ZL38rocblas_trsm_small_left_device_sharedBILi20ELi20ELb1E19rocblas_complex_numIdES1_PKS1_PS1_Ev13rocblas_fill_18rocblas_operation_17rocblas_diagonal_iiT3_T4_lilT5_lili
		.amdhsa_group_segment_fixed_size 12800
		.amdhsa_private_segment_fixed_size 336
		.amdhsa_kernarg_size 368
		.amdhsa_user_sgpr_count 6
		.amdhsa_user_sgpr_private_segment_buffer 1
		.amdhsa_user_sgpr_dispatch_ptr 0
		.amdhsa_user_sgpr_queue_ptr 0
		.amdhsa_user_sgpr_kernarg_segment_ptr 1
		.amdhsa_user_sgpr_dispatch_id 0
		.amdhsa_user_sgpr_flat_scratch_init 0
		.amdhsa_user_sgpr_private_segment_size 0
		.amdhsa_uses_dynamic_stack 0
		.amdhsa_system_sgpr_private_segment_wavefront_offset 1
		.amdhsa_system_sgpr_workgroup_id_x 1
		.amdhsa_system_sgpr_workgroup_id_y 0
		.amdhsa_system_sgpr_workgroup_id_z 1
		.amdhsa_system_sgpr_workgroup_info 0
		.amdhsa_system_vgpr_workitem_id 0
		.amdhsa_next_free_vgpr 85
		.amdhsa_next_free_sgpr 98
		.amdhsa_reserve_vcc 1
		.amdhsa_reserve_flat_scratch 0
		.amdhsa_float_round_mode_32 0
		.amdhsa_float_round_mode_16_64 0
		.amdhsa_float_denorm_mode_32 3
		.amdhsa_float_denorm_mode_16_64 3
		.amdhsa_dx10_clamp 1
		.amdhsa_ieee_mode 1
		.amdhsa_fp16_overflow 0
		.amdhsa_exception_fp_ieee_invalid_op 0
		.amdhsa_exception_fp_denorm_src 0
		.amdhsa_exception_fp_ieee_div_zero 0
		.amdhsa_exception_fp_ieee_overflow 0
		.amdhsa_exception_fp_ieee_underflow 0
		.amdhsa_exception_fp_ieee_inexact 0
		.amdhsa_exception_int_div_zero 0
	.end_amdhsa_kernel
	.section	.text._ZL38rocblas_trsm_small_left_device_sharedBILi20ELi20ELb1E19rocblas_complex_numIdES1_PKS1_PS1_Ev13rocblas_fill_18rocblas_operation_17rocblas_diagonal_iiT3_T4_lilT5_lili,"axG",@progbits,_ZL38rocblas_trsm_small_left_device_sharedBILi20ELi20ELb1E19rocblas_complex_numIdES1_PKS1_PS1_Ev13rocblas_fill_18rocblas_operation_17rocblas_diagonal_iiT3_T4_lilT5_lili,comdat
.Lfunc_end221:
	.size	_ZL38rocblas_trsm_small_left_device_sharedBILi20ELi20ELb1E19rocblas_complex_numIdES1_PKS1_PS1_Ev13rocblas_fill_18rocblas_operation_17rocblas_diagonal_iiT3_T4_lilT5_lili, .Lfunc_end221-_ZL38rocblas_trsm_small_left_device_sharedBILi20ELi20ELb1E19rocblas_complex_numIdES1_PKS1_PS1_Ev13rocblas_fill_18rocblas_operation_17rocblas_diagonal_iiT3_T4_lilT5_lili
                                        ; -- End function
	.set _ZL38rocblas_trsm_small_left_device_sharedBILi20ELi20ELb1E19rocblas_complex_numIdES1_PKS1_PS1_Ev13rocblas_fill_18rocblas_operation_17rocblas_diagonal_iiT3_T4_lilT5_lili.num_vgpr, 19
	.set _ZL38rocblas_trsm_small_left_device_sharedBILi20ELi20ELb1E19rocblas_complex_numIdES1_PKS1_PS1_Ev13rocblas_fill_18rocblas_operation_17rocblas_diagonal_iiT3_T4_lilT5_lili.num_agpr, 0
	.set _ZL38rocblas_trsm_small_left_device_sharedBILi20ELi20ELb1E19rocblas_complex_numIdES1_PKS1_PS1_Ev13rocblas_fill_18rocblas_operation_17rocblas_diagonal_iiT3_T4_lilT5_lili.numbered_sgpr, 38
	.set _ZL38rocblas_trsm_small_left_device_sharedBILi20ELi20ELb1E19rocblas_complex_numIdES1_PKS1_PS1_Ev13rocblas_fill_18rocblas_operation_17rocblas_diagonal_iiT3_T4_lilT5_lili.num_named_barrier, 0
	.set _ZL38rocblas_trsm_small_left_device_sharedBILi20ELi20ELb1E19rocblas_complex_numIdES1_PKS1_PS1_Ev13rocblas_fill_18rocblas_operation_17rocblas_diagonal_iiT3_T4_lilT5_lili.private_seg_size, 336
	.set _ZL38rocblas_trsm_small_left_device_sharedBILi20ELi20ELb1E19rocblas_complex_numIdES1_PKS1_PS1_Ev13rocblas_fill_18rocblas_operation_17rocblas_diagonal_iiT3_T4_lilT5_lili.uses_vcc, 1
	.set _ZL38rocblas_trsm_small_left_device_sharedBILi20ELi20ELb1E19rocblas_complex_numIdES1_PKS1_PS1_Ev13rocblas_fill_18rocblas_operation_17rocblas_diagonal_iiT3_T4_lilT5_lili.uses_flat_scratch, 0
	.set _ZL38rocblas_trsm_small_left_device_sharedBILi20ELi20ELb1E19rocblas_complex_numIdES1_PKS1_PS1_Ev13rocblas_fill_18rocblas_operation_17rocblas_diagonal_iiT3_T4_lilT5_lili.has_dyn_sized_stack, 0
	.set _ZL38rocblas_trsm_small_left_device_sharedBILi20ELi20ELb1E19rocblas_complex_numIdES1_PKS1_PS1_Ev13rocblas_fill_18rocblas_operation_17rocblas_diagonal_iiT3_T4_lilT5_lili.has_recursion, 0
	.set _ZL38rocblas_trsm_small_left_device_sharedBILi20ELi20ELb1E19rocblas_complex_numIdES1_PKS1_PS1_Ev13rocblas_fill_18rocblas_operation_17rocblas_diagonal_iiT3_T4_lilT5_lili.has_indirect_call, 0
	.section	.AMDGPU.csdata,"",@progbits
; Kernel info:
; codeLenInByte = 3100
; TotalNumSgprs: 42
; NumVgprs: 19
; ScratchSize: 336
; MemoryBound: 0
; FloatMode: 240
; IeeeMode: 1
; LDSByteSize: 12800 bytes/workgroup (compile time only)
; SGPRBlocks: 12
; VGPRBlocks: 21
; NumSGPRsForWavesPerEU: 102
; NumVGPRsForWavesPerEU: 85
; Occupancy: 2
; WaveLimiterHint : 0
; COMPUTE_PGM_RSRC2:SCRATCH_EN: 1
; COMPUTE_PGM_RSRC2:USER_SGPR: 6
; COMPUTE_PGM_RSRC2:TRAP_HANDLER: 0
; COMPUTE_PGM_RSRC2:TGID_X_EN: 1
; COMPUTE_PGM_RSRC2:TGID_Y_EN: 0
; COMPUTE_PGM_RSRC2:TGID_Z_EN: 1
; COMPUTE_PGM_RSRC2:TIDIG_COMP_CNT: 0
	.section	.text._ZL30rocblas_trsm_small_left_deviceILi20ELi20ELb1E19rocblas_complex_numIdES1_PKS1_PS1_Ev13rocblas_fill_18rocblas_operation_17rocblas_diagonal_iiT3_T4_lilT5_lili,"axG",@progbits,_ZL30rocblas_trsm_small_left_deviceILi20ELi20ELb1E19rocblas_complex_numIdES1_PKS1_PS1_Ev13rocblas_fill_18rocblas_operation_17rocblas_diagonal_iiT3_T4_lilT5_lili,comdat
	.globl	_ZL30rocblas_trsm_small_left_deviceILi20ELi20ELb1E19rocblas_complex_numIdES1_PKS1_PS1_Ev13rocblas_fill_18rocblas_operation_17rocblas_diagonal_iiT3_T4_lilT5_lili ; -- Begin function _ZL30rocblas_trsm_small_left_deviceILi20ELi20ELb1E19rocblas_complex_numIdES1_PKS1_PS1_Ev13rocblas_fill_18rocblas_operation_17rocblas_diagonal_iiT3_T4_lilT5_lili
	.p2align	8
	.type	_ZL30rocblas_trsm_small_left_deviceILi20ELi20ELb1E19rocblas_complex_numIdES1_PKS1_PS1_Ev13rocblas_fill_18rocblas_operation_17rocblas_diagonal_iiT3_T4_lilT5_lili,@function
_ZL30rocblas_trsm_small_left_deviceILi20ELi20ELb1E19rocblas_complex_numIdES1_PKS1_PS1_Ev13rocblas_fill_18rocblas_operation_17rocblas_diagonal_iiT3_T4_lilT5_lili: ; @_ZL30rocblas_trsm_small_left_deviceILi20ELi20ELb1E19rocblas_complex_numIdES1_PKS1_PS1_Ev13rocblas_fill_18rocblas_operation_17rocblas_diagonal_iiT3_T4_lilT5_lili
; %bb.0:
	s_add_u32 s0, s0, s8
	s_load_dwordx4 s[20:23], s[4:5], 0x4
	s_load_dwordx8 s[12:19], s[4:5], 0x18
	s_load_dwordx4 s[8:11], s[4:5], 0x40
	s_load_dwordx2 s[24:25], s[4:5], 0x50
	s_load_dword s29, s[4:5], 0x70
	s_addc_u32 s1, s1, 0
	s_waitcnt lgkmcnt(0)
	s_min_i32 s28, s22, 20
	v_cmp_gt_i32_e32 vcc, s28, v0
	s_and_saveexec_b64 s[26:27], vcc
	s_cbranch_execz .LBB222_11
; %bb.1:
	s_load_dword s30, s[4:5], 0x38
	s_mul_i32 s9, s9, s7
	s_mul_hi_u32 s22, s8, s7
	s_mul_i32 s8, s8, s7
	v_lshlrev_b32_e32 v3, 4, v0
	s_waitcnt lgkmcnt(0)
	s_ashr_i32 s31, s30, 31
	s_cmpk_eq_i32 s20, 0x71
	s_cselect_b64 vcc, -1, 0
	s_add_i32 s9, s22, s9
	s_lshl_b64 s[8:9], s[8:9], 4
	s_lshl_b64 s[18:19], s[18:19], 4
	s_add_u32 s8, s8, s18
	s_addc_u32 s9, s9, s19
	s_add_u32 s8, s16, s8
	s_addc_u32 s9, s17, s9
	v_mov_b32_e32 v1, s9
	v_add_co_u32_e64 v2, s[8:9], s8, v3
	v_addc_co_u32_e64 v4, s[8:9], 0, v1, s[8:9]
	v_add_co_u32_e64 v1, s[8:9], 8, v2
	s_lshl_b64 s[16:17], s[30:31], 4
	v_addc_co_u32_e64 v2, s[8:9], 0, v4, s[8:9]
	v_mov_b32_e32 v4, s17
	v_mov_b32_e32 v5, v3
	s_mov_b32 s17, s28
.LBB222_2:                              ; =>This Inner Loop Header: Depth=1
	global_load_dwordx4 v[6:9], v[1:2], off offset:-8
	s_add_i32 s17, s17, -1
	v_add_co_u32_e64 v1, s[8:9], s16, v1
	v_addc_co_u32_e64 v2, s[8:9], v2, v4, s[8:9]
	s_cmp_eq_u32 s17, 0
	s_waitcnt vmcnt(0)
	v_xor_b32_e32 v10, 0x80000000, v9
	v_cndmask_b32_e32 v9, v9, v10, vcc
	ds_write_b128 v5, v[6:9]
	v_add_u32_e32 v5, 0x140, v5
	s_cbranch_scc0 .LBB222_2
; %bb.3:
	v_mul_u32_u24_e32 v1, 0x140, v0
	s_cmpk_lg_i32 s21, 0x84
	v_add_u32_e32 v9, v3, v1
	s_cbranch_scc0 .LBB222_9
; %bb.4:
	ds_read_b128 v[1:4], v9
                                        ; implicit-def: $vgpr7_vgpr8
	s_waitcnt lgkmcnt(0)
	v_cmp_ngt_f64_e64 s[8:9], |v[1:2]|, |v[3:4]|
	s_and_saveexec_b64 s[16:17], s[8:9]
	s_xor_b64 s[8:9], exec, s[16:17]
	s_cbranch_execz .LBB222_6
; %bb.5:
	v_div_scale_f64 v[5:6], s[16:17], v[3:4], v[3:4], v[1:2]
	v_rcp_f64_e32 v[7:8], v[5:6]
	v_fma_f64 v[10:11], -v[5:6], v[7:8], 1.0
	v_fma_f64 v[7:8], v[7:8], v[10:11], v[7:8]
	v_div_scale_f64 v[10:11], vcc, v[1:2], v[3:4], v[1:2]
	v_fma_f64 v[12:13], -v[5:6], v[7:8], 1.0
	v_fma_f64 v[7:8], v[7:8], v[12:13], v[7:8]
	v_mul_f64 v[12:13], v[10:11], v[7:8]
	v_fma_f64 v[5:6], -v[5:6], v[12:13], v[10:11]
	v_div_fmas_f64 v[5:6], v[5:6], v[7:8], v[12:13]
	v_div_fixup_f64 v[5:6], v[5:6], v[3:4], v[1:2]
	v_fma_f64 v[1:2], v[1:2], v[5:6], v[3:4]
	v_div_scale_f64 v[3:4], s[16:17], v[1:2], v[1:2], 1.0
	v_rcp_f64_e32 v[7:8], v[3:4]
	v_fma_f64 v[10:11], -v[3:4], v[7:8], 1.0
	v_fma_f64 v[7:8], v[7:8], v[10:11], v[7:8]
	v_div_scale_f64 v[10:11], vcc, 1.0, v[1:2], 1.0
	v_fma_f64 v[12:13], -v[3:4], v[7:8], 1.0
	v_fma_f64 v[7:8], v[7:8], v[12:13], v[7:8]
	v_mul_f64 v[12:13], v[10:11], v[7:8]
	v_fma_f64 v[3:4], -v[3:4], v[12:13], v[10:11]
	v_div_fmas_f64 v[3:4], v[3:4], v[7:8], v[12:13]
	v_add_f64 v[7:8], v[5:6], 0
	v_div_fixup_f64 v[1:2], v[3:4], v[1:2], 1.0
	v_fma_f64 v[3:4], v[5:6], 0, -1.0
	v_mul_f64 v[5:6], v[7:8], v[1:2]
	v_mul_f64 v[7:8], v[3:4], v[1:2]
                                        ; implicit-def: $vgpr1_vgpr2
.LBB222_6:
	s_andn2_saveexec_b64 s[8:9], s[8:9]
	s_cbranch_execz .LBB222_8
; %bb.7:
	v_div_scale_f64 v[5:6], s[16:17], v[1:2], v[1:2], v[3:4]
	v_rcp_f64_e32 v[7:8], v[5:6]
	v_fma_f64 v[10:11], -v[5:6], v[7:8], 1.0
	v_fma_f64 v[7:8], v[7:8], v[10:11], v[7:8]
	v_div_scale_f64 v[10:11], vcc, v[3:4], v[1:2], v[3:4]
	v_fma_f64 v[12:13], -v[5:6], v[7:8], 1.0
	v_fma_f64 v[7:8], v[7:8], v[12:13], v[7:8]
	v_mul_f64 v[12:13], v[10:11], v[7:8]
	v_fma_f64 v[5:6], -v[5:6], v[12:13], v[10:11]
	v_div_fmas_f64 v[5:6], v[5:6], v[7:8], v[12:13]
	v_div_fixup_f64 v[5:6], v[5:6], v[1:2], v[3:4]
	v_fma_f64 v[1:2], v[3:4], v[5:6], v[1:2]
	v_div_scale_f64 v[3:4], s[16:17], v[1:2], v[1:2], 1.0
	v_rcp_f64_e32 v[7:8], v[3:4]
	v_fma_f64 v[10:11], -v[3:4], v[7:8], 1.0
	v_fma_f64 v[7:8], v[7:8], v[10:11], v[7:8]
	v_div_scale_f64 v[10:11], vcc, 1.0, v[1:2], 1.0
	v_fma_f64 v[12:13], -v[3:4], v[7:8], 1.0
	v_fma_f64 v[7:8], v[7:8], v[12:13], v[7:8]
	v_mul_f64 v[12:13], v[10:11], v[7:8]
	v_fma_f64 v[3:4], -v[3:4], v[12:13], v[10:11]
	v_div_fmas_f64 v[3:4], v[3:4], v[7:8], v[12:13]
	v_fma_f64 v[7:8], v[5:6], 0, 1.0
	v_div_fixup_f64 v[1:2], v[3:4], v[1:2], 1.0
	v_add_f64 v[3:4], -v[5:6], 0
	v_mul_f64 v[5:6], v[7:8], v[1:2]
	v_mul_f64 v[7:8], v[3:4], v[1:2]
.LBB222_8:
	s_or_b64 exec, exec, s[8:9]
	s_branch .LBB222_10
.LBB222_9:
	v_mov_b32_e32 v7, 0
	v_mov_b32_e32 v5, 0
	;; [unrolled: 1-line block ×4, first 2 shown]
.LBB222_10:
	ds_write_b128 v9, v[5:8]
.LBB222_11:
	s_or_b64 exec, exec, s[26:27]
	s_mul_i32 s8, s6, 0xffffffec
	s_add_i32 s29, s29, -1
	s_add_i32 s8, s23, s8
	s_cmp_ge_u32 s6, s29
	s_cselect_b32 s8, s8, 20
	v_cmp_gt_i32_e32 vcc, s8, v0
	s_waitcnt lgkmcnt(0)
	; wave barrier
	s_and_saveexec_b64 s[8:9], vcc
	s_cbranch_execz .LBB222_54
; %bb.12:
	s_load_dwordx2 s[8:9], s[4:5], 0x60
	s_load_dword s16, s[4:5], 0x58
	s_waitcnt lgkmcnt(0)
	s_mul_i32 s5, s9, s7
	s_mul_hi_u32 s9, s8, s7
	s_mul_i32 s4, s8, s7
	v_mad_u64_u32 v[0:1], s[6:7], s6, 20, v[0:1]
	s_add_i32 s5, s9, s5
	s_lshl_b64 s[4:5], s[4:5], 4
	v_mad_i64_i32 v[0:1], s[6:7], s16, v0, 0
	s_add_u32 s8, s10, s4
	s_addc_u32 s9, s11, s5
	s_lshl_b64 s[6:7], s[24:25], 4
	s_add_u32 s8, s8, s6
	v_lshlrev_b64 v[4:5], 4, v[0:1]
	s_addc_u32 s9, s9, s7
	v_mov_b32_e32 v0, s9
	v_add_co_u32_e32 v6, vcc, s8, v4
	v_addc_co_u32_e32 v7, vcc, v0, v5, vcc
	s_cmpk_eq_i32 s20, 0x6f
	s_mov_b64 s[8:9], -1
	s_cbranch_scc1 .LBB222_33
; %bb.13:
	s_add_i32 s24, s28, -1
	s_add_u32 s8, s10, s6
	s_addc_u32 s9, s11, s7
	s_add_u32 s8, s8, s4
	s_addc_u32 s9, s9, s5
	v_mov_b32_e32 v0, s9
	v_add_co_u32_e32 v1, vcc, s8, v4
	v_addc_co_u32_e32 v0, vcc, v0, v5, vcc
	v_add_co_u32_e32 v8, vcc, 8, v1
	s_lshl_b32 s25, s28, 4
	s_mov_b32 s9, 0
	v_addc_co_u32_e32 v9, vcc, 0, v0, vcc
	s_add_i32 s25, s25, -16
	s_mov_b32 s8, s9
	s_mov_b32 s16, s24
	s_branch .LBB222_15
.LBB222_14:                             ;   in Loop: Header=BB222_15 Depth=1
	s_cmp_lt_i32 s16, 0
	s_cselect_b64 s[18:19], -1, 0
	s_add_i32 s8, s8, 1
	s_cmp_eq_u32 s8, 3
	s_cselect_b64 s[20:21], -1, 0
	s_or_b64 s[18:19], s[18:19], s[20:21]
	s_andn2_b64 vcc, exec, s[18:19]
	s_cbranch_vccz .LBB222_32
.LBB222_15:                             ; =>This Loop Header: Depth=1
                                        ;     Child Loop BB222_18 Depth 2
                                        ;       Child Loop BB222_19 Depth 3
                                        ;       Child Loop BB222_21 Depth 3
                                        ;         Child Loop BB222_22 Depth 4
                                        ;       Child Loop BB222_26 Depth 3
                                        ;         Child Loop BB222_28 Depth 4
	s_lshl_b64 s[18:19], s[8:9], 2
	s_getpc_b64 s[20:21]
	s_add_u32 s20, s20, __const._ZL30rocblas_trsm_small_left_deviceILi20ELi20ELb1E19rocblas_complex_numIdES1_PKS1_PS1_Ev13rocblas_fill_18rocblas_operation_17rocblas_diagonal_iiT3_T4_lilT5_lili.step_sizes@rel32@lo+4
	s_addc_u32 s21, s21, __const._ZL30rocblas_trsm_small_left_deviceILi20ELi20ELb1E19rocblas_complex_numIdES1_PKS1_PS1_Ev13rocblas_fill_18rocblas_operation_17rocblas_diagonal_iiT3_T4_lilT5_lili.step_sizes@rel32@hi+12
	s_add_u32 s18, s20, s18
	s_addc_u32 s19, s21, s19
	s_load_dword s26, s[18:19], 0x0
	s_waitcnt lgkmcnt(0)
	s_add_i32 s27, s26, -1
	s_cmp_lt_i32 s16, s27
	s_cbranch_scc1 .LBB222_14
; %bb.16:                               ;   in Loop: Header=BB222_15 Depth=1
	s_mul_i32 s17, s16, 0x140
	s_max_i32 s29, s26, 1
	s_add_i32 s30, s25, s17
	s_mul_i32 s31, s26, 0xfffffec0
	s_mul_i32 s33, s16, 0x150
	;; [unrolled: 1-line block ×3, first 2 shown]
	s_branch .LBB222_18
.LBB222_17:                             ;   in Loop: Header=BB222_18 Depth=2
	s_sub_i32 s16, s16, s26
	s_add_i32 s30, s30, s31
	s_add_i32 s33, s33, s34
	s_cmp_lt_i32 s16, s27
	s_cbranch_scc1 .LBB222_14
.LBB222_18:                             ;   Parent Loop BB222_15 Depth=1
                                        ; =>  This Loop Header: Depth=2
                                        ;       Child Loop BB222_19 Depth 3
                                        ;       Child Loop BB222_21 Depth 3
                                        ;         Child Loop BB222_22 Depth 4
                                        ;       Child Loop BB222_26 Depth 3
                                        ;         Child Loop BB222_28 Depth 4
	s_ashr_i32 s17, s16, 31
	s_lshl_b64 s[18:19], s[16:17], 4
	v_mov_b32_e32 v1, s19
	v_add_co_u32_e32 v0, vcc, s18, v8
	v_addc_co_u32_e32 v1, vcc, v9, v1, vcc
	s_mov_b32 s18, 0
	s_mov_b32 s19, s29
.LBB222_19:                             ;   Parent Loop BB222_15 Depth=1
                                        ;     Parent Loop BB222_18 Depth=2
                                        ; =>    This Inner Loop Header: Depth=3
	global_load_dwordx4 v[10:13], v[0:1], off offset:-8
	v_mov_b32_e32 v14, s18
	s_add_i32 s19, s19, -1
	v_add_co_u32_e32 v0, vcc, -16, v0
	s_add_i32 s18, s18, 16
	v_addc_co_u32_e32 v1, vcc, -1, v1, vcc
	s_cmp_eq_u32 s19, 0
	s_waitcnt vmcnt(0)
	v_mul_f64 v[2:3], s[14:15], v[12:13]
	v_mul_f64 v[12:13], s[12:13], v[12:13]
	v_fma_f64 v[2:3], s[12:13], v[10:11], -v[2:3]
	v_fma_f64 v[10:11], s[14:15], v[10:11], v[12:13]
	buffer_store_dword v3, v14, s[0:3], 0 offen offset:4
	buffer_store_dword v2, v14, s[0:3], 0 offen
	buffer_store_dword v11, v14, s[0:3], 0 offen offset:12
	buffer_store_dword v10, v14, s[0:3], 0 offen offset:8
	s_cbranch_scc0 .LBB222_19
; %bb.20:                               ;   in Loop: Header=BB222_18 Depth=2
	s_cmp_le_i32 s24, s16
	s_mov_b32 s20, s30
	s_mov_b32 s18, s24
	s_cbranch_scc1 .LBB222_24
.LBB222_21:                             ;   Parent Loop BB222_15 Depth=1
                                        ;     Parent Loop BB222_18 Depth=2
                                        ; =>    This Loop Header: Depth=3
                                        ;         Child Loop BB222_22 Depth 4
	s_ashr_i32 s19, s18, 31
	s_lshl_b64 s[22:23], s[18:19], 4
	v_mov_b32_e32 v1, s23
	v_add_co_u32_e32 v0, vcc, s22, v6
	v_addc_co_u32_e32 v1, vcc, v7, v1, vcc
	global_load_dwordx4 v[0:3], v[0:1], off
	s_mov_b32 s19, 0
	s_mov_b32 s21, s20
	;; [unrolled: 1-line block ×3, first 2 shown]
.LBB222_22:                             ;   Parent Loop BB222_15 Depth=1
                                        ;     Parent Loop BB222_18 Depth=2
                                        ;       Parent Loop BB222_21 Depth=3
                                        ; =>      This Inner Loop Header: Depth=4
	v_mov_b32_e32 v20, s19
	buffer_load_dword v14, v20, s[0:3], 0 offen
	buffer_load_dword v15, v20, s[0:3], 0 offen offset:4
	buffer_load_dword v16, v20, s[0:3], 0 offen offset:8
	;; [unrolled: 1-line block ×3, first 2 shown]
	v_mov_b32_e32 v10, s21
	ds_read_b128 v[10:13], v10
	s_add_i32 s22, s22, -1
	s_addk_i32 s21, 0xfec0
	s_add_i32 s19, s19, 16
	s_cmp_eq_u32 s22, 0
	s_waitcnt vmcnt(4) lgkmcnt(0)
	v_mul_f64 v[18:19], v[2:3], v[12:13]
	v_mul_f64 v[12:13], v[0:1], v[12:13]
	v_fma_f64 v[18:19], v[0:1], v[10:11], -v[18:19]
	v_fma_f64 v[10:11], v[2:3], v[10:11], v[12:13]
	s_waitcnt vmcnt(2)
	v_add_f64 v[12:13], v[14:15], -v[18:19]
	s_waitcnt vmcnt(0)
	v_add_f64 v[10:11], v[16:17], -v[10:11]
	buffer_store_dword v12, v20, s[0:3], 0 offen
	buffer_store_dword v13, v20, s[0:3], 0 offen offset:4
	buffer_store_dword v10, v20, s[0:3], 0 offen offset:8
	;; [unrolled: 1-line block ×3, first 2 shown]
	s_cbranch_scc0 .LBB222_22
; %bb.23:                               ;   in Loop: Header=BB222_21 Depth=3
	s_add_i32 s18, s18, -1
	s_add_i32 s20, s20, -16
	s_cmp_le_i32 s18, s16
	s_cbranch_scc0 .LBB222_21
.LBB222_24:                             ;   in Loop: Header=BB222_18 Depth=2
	s_mov_b32 s35, 0
	s_mov_b32 s36, s33
	s_branch .LBB222_26
.LBB222_25:                             ;   in Loop: Header=BB222_26 Depth=3
	s_mulk_i32 s20, 0x150
	v_mov_b32_e32 v10, s20
	ds_read_b128 v[10:13], v10
	s_lshl_b64 s[18:19], s[18:19], 4
	s_lshl_b32 s20, s35, 4
	s_add_i32 s35, s35, 1
	s_addk_i32 s36, 0xfec0
	s_waitcnt vmcnt(0) lgkmcnt(0)
	v_mul_f64 v[14:15], v[12:13], v[2:3]
	v_mul_f64 v[2:3], v[10:11], v[2:3]
	v_mov_b32_e32 v16, s20
	s_cmp_eq_u32 s35, s29
	v_fma_f64 v[10:11], v[10:11], v[0:1], -v[14:15]
	v_fma_f64 v[12:13], v[12:13], v[0:1], v[2:3]
	v_mov_b32_e32 v14, s19
	v_add_co_u32_e32 v0, vcc, s18, v6
	v_addc_co_u32_e32 v1, vcc, v7, v14, vcc
	buffer_store_dword v11, v16, s[0:3], 0 offen offset:4
	buffer_store_dword v10, v16, s[0:3], 0 offen
	buffer_store_dword v13, v16, s[0:3], 0 offen offset:12
	buffer_store_dword v12, v16, s[0:3], 0 offen offset:8
	global_store_dwordx4 v[0:1], v[10:13], off
	s_cbranch_scc1 .LBB222_17
.LBB222_26:                             ;   Parent Loop BB222_15 Depth=1
                                        ;     Parent Loop BB222_18 Depth=2
                                        ; =>    This Loop Header: Depth=3
                                        ;         Child Loop BB222_28 Depth 4
	s_cmp_lg_u32 s35, 0
	s_cbranch_scc0 .LBB222_30
; %bb.27:                               ;   in Loop: Header=BB222_26 Depth=3
	s_lshl_b32 s18, s35, 4
	v_mov_b32_e32 v10, s18
	buffer_load_dword v0, v10, s[0:3], 0 offen
	buffer_load_dword v1, v10, s[0:3], 0 offen offset:4
	buffer_load_dword v2, v10, s[0:3], 0 offen offset:8
	;; [unrolled: 1-line block ×3, first 2 shown]
	s_mov_b32 s18, 0
	s_mov_b32 s19, s36
	;; [unrolled: 1-line block ×3, first 2 shown]
.LBB222_28:                             ;   Parent Loop BB222_15 Depth=1
                                        ;     Parent Loop BB222_18 Depth=2
                                        ;       Parent Loop BB222_26 Depth=3
                                        ; =>      This Inner Loop Header: Depth=4
	v_mov_b32_e32 v11, s18
	buffer_load_dword v15, v11, s[0:3], 0 offen offset:8
	buffer_load_dword v16, v11, s[0:3], 0 offen offset:12
	buffer_load_dword v17, v11, s[0:3], 0 offen
	buffer_load_dword v18, v11, s[0:3], 0 offen offset:4
	v_mov_b32_e32 v11, s19
	ds_read_b128 v[11:14], v11
	s_add_i32 s20, s20, -1
	s_add_i32 s19, s19, -16
	s_add_i32 s18, s18, 16
	s_cmp_eq_u32 s20, 0
	s_waitcnt vmcnt(2) lgkmcnt(0)
	v_mul_f64 v[19:20], v[13:14], v[15:16]
	v_mul_f64 v[15:16], v[11:12], v[15:16]
	s_waitcnt vmcnt(0)
	v_fma_f64 v[11:12], v[11:12], v[17:18], -v[19:20]
	v_fma_f64 v[13:14], v[13:14], v[17:18], v[15:16]
	v_add_f64 v[0:1], v[0:1], -v[11:12]
	v_add_f64 v[2:3], v[2:3], -v[13:14]
	buffer_store_dword v0, v10, s[0:3], 0 offen
	buffer_store_dword v1, v10, s[0:3], 0 offen offset:4
	buffer_store_dword v2, v10, s[0:3], 0 offen offset:8
	;; [unrolled: 1-line block ×3, first 2 shown]
	s_cbranch_scc0 .LBB222_28
; %bb.29:                               ;   in Loop: Header=BB222_26 Depth=3
	s_sub_i32 s20, s16, s35
	s_ashr_i32 s21, s20, 31
	s_mov_b64 s[18:19], s[20:21]
	s_branch .LBB222_25
.LBB222_30:                             ;   in Loop: Header=BB222_26 Depth=3
                                        ; implicit-def: $vgpr0_vgpr1
                                        ; implicit-def: $vgpr2_vgpr3
                                        ; implicit-def: $sgpr20
                                        ; implicit-def: $sgpr18_sgpr19
	s_cbranch_execz .LBB222_25
; %bb.31:                               ;   in Loop: Header=BB222_26 Depth=3
	buffer_load_dword v0, off, s[0:3], 0
	buffer_load_dword v1, off, s[0:3], 0 offset:4
	buffer_load_dword v2, off, s[0:3], 0 offset:8
	;; [unrolled: 1-line block ×3, first 2 shown]
	s_mov_b64 s[18:19], s[16:17]
	s_mov_b32 s20, s16
	s_branch .LBB222_25
.LBB222_32:
	s_mov_b64 s[8:9], 0
.LBB222_33:
	s_and_b64 vcc, exec, s[8:9]
	s_cbranch_vccz .LBB222_54
; %bb.34:
	s_add_u32 s6, s10, s6
	s_addc_u32 s7, s11, s7
	s_add_u32 s4, s6, s4
	s_addc_u32 s5, s7, s5
	v_mov_b32_e32 v0, s5
	v_add_co_u32_e32 v1, vcc, s4, v4
	v_addc_co_u32_e32 v0, vcc, v0, v5, vcc
	v_add_co_u32_e32 v8, vcc, 8, v1
	s_mov_b32 s5, 0
	v_addc_co_u32_e32 v9, vcc, 0, v0, vcc
	s_mov_b32 s6, s5
	s_mov_b32 s8, s5
	s_branch .LBB222_36
.LBB222_35:                             ;   in Loop: Header=BB222_36 Depth=1
	s_cmp_ge_i32 s6, s28
	s_cselect_b64 s[10:11], -1, 0
	s_add_i32 s8, s8, 1
	s_cmp_eq_u32 s8, 3
	s_cselect_b64 s[16:17], -1, 0
	s_or_b64 s[10:11], s[10:11], s[16:17]
	s_and_b64 vcc, exec, s[10:11]
	s_cbranch_vccnz .LBB222_54
.LBB222_36:                             ; =>This Loop Header: Depth=1
                                        ;     Child Loop BB222_39 Depth 2
                                        ;       Child Loop BB222_40 Depth 3
                                        ;       Child Loop BB222_43 Depth 3
                                        ;         Child Loop BB222_44 Depth 4
                                        ;       Child Loop BB222_48 Depth 3
                                        ;         Child Loop BB222_50 Depth 4
	s_mov_b32 s9, s5
	s_lshl_b64 s[10:11], s[8:9], 2
	s_getpc_b64 s[16:17]
	s_add_u32 s16, s16, __const._ZL30rocblas_trsm_small_left_deviceILi20ELi20ELb1E19rocblas_complex_numIdES1_PKS1_PS1_Ev13rocblas_fill_18rocblas_operation_17rocblas_diagonal_iiT3_T4_lilT5_lili.step_sizes@rel32@lo+4
	s_addc_u32 s17, s17, __const._ZL30rocblas_trsm_small_left_deviceILi20ELi20ELb1E19rocblas_complex_numIdES1_PKS1_PS1_Ev13rocblas_fill_18rocblas_operation_17rocblas_diagonal_iiT3_T4_lilT5_lili.step_sizes@rel32@hi+12
	s_add_u32 s10, s16, s10
	s_addc_u32 s11, s17, s11
	s_load_dword s10, s[10:11], 0x0
	s_waitcnt lgkmcnt(0)
	s_add_i32 s9, s10, -1
	s_add_i32 s4, s9, s6
	s_cmp_ge_i32 s4, s28
	s_cbranch_scc1 .LBB222_35
; %bb.37:                               ;   in Loop: Header=BB222_36 Depth=1
	s_ashr_i32 s7, s6, 31
	s_lshl_b64 s[16:17], s[6:7], 4
	s_ashr_i32 s11, s10, 31
	v_mov_b32_e32 v0, s17
	v_add_co_u32_e32 v4, vcc, s16, v8
	s_lshl_b64 s[16:17], s[10:11], 4
	s_max_i32 s20, s10, 1
	v_addc_co_u32_e32 v5, vcc, v9, v0, vcc
	s_lshl_b32 s7, s6, 4
	s_lshl_b32 s11, s10, 4
	s_mul_i32 s21, s6, 0x150
	s_mul_i32 s22, s10, 0x150
	v_mov_b32_e32 v10, s17
	s_branch .LBB222_39
.LBB222_38:                             ;   in Loop: Header=BB222_39 Depth=2
	s_add_i32 s6, s6, s10
	s_add_i32 s4, s9, s6
	;; [unrolled: 1-line block ×4, first 2 shown]
	v_add_co_u32_e32 v4, vcc, s16, v4
	s_cmp_ge_i32 s4, s28
	v_addc_co_u32_e32 v5, vcc, v5, v10, vcc
	s_cbranch_scc1 .LBB222_35
.LBB222_39:                             ;   Parent Loop BB222_36 Depth=1
                                        ; =>  This Loop Header: Depth=2
                                        ;       Child Loop BB222_40 Depth 3
                                        ;       Child Loop BB222_43 Depth 3
                                        ;         Child Loop BB222_44 Depth 4
                                        ;       Child Loop BB222_48 Depth 3
                                        ;         Child Loop BB222_50 Depth 4
	v_mov_b32_e32 v0, v4
	s_mov_b32 s4, 0
	v_mov_b32_e32 v1, v5
	s_mov_b32 s17, s20
.LBB222_40:                             ;   Parent Loop BB222_36 Depth=1
                                        ;     Parent Loop BB222_39 Depth=2
                                        ; =>    This Inner Loop Header: Depth=3
	global_load_dwordx4 v[11:14], v[0:1], off offset:-8
	v_mov_b32_e32 v15, s4
	s_add_i32 s17, s17, -1
	v_add_co_u32_e32 v0, vcc, 16, v0
	s_add_i32 s4, s4, 16
	v_addc_co_u32_e32 v1, vcc, 0, v1, vcc
	s_cmp_eq_u32 s17, 0
	s_waitcnt vmcnt(0)
	v_mul_f64 v[2:3], s[14:15], v[13:14]
	v_mul_f64 v[13:14], s[12:13], v[13:14]
	v_fma_f64 v[2:3], s[12:13], v[11:12], -v[2:3]
	v_fma_f64 v[11:12], s[14:15], v[11:12], v[13:14]
	buffer_store_dword v3, v15, s[0:3], 0 offen offset:4
	buffer_store_dword v2, v15, s[0:3], 0 offen
	buffer_store_dword v12, v15, s[0:3], 0 offen offset:12
	buffer_store_dword v11, v15, s[0:3], 0 offen offset:8
	s_cbranch_scc0 .LBB222_40
; %bb.41:                               ;   in Loop: Header=BB222_39 Depth=2
	s_cmp_lt_i32 s6, 1
	s_cbranch_scc1 .LBB222_46
; %bb.42:                               ;   in Loop: Header=BB222_39 Depth=2
	s_mov_b32 s4, 0
	s_mov_b32 s17, s7
.LBB222_43:                             ;   Parent Loop BB222_36 Depth=1
                                        ;     Parent Loop BB222_39 Depth=2
                                        ; =>    This Loop Header: Depth=3
                                        ;         Child Loop BB222_44 Depth 4
	s_lshl_b64 s[18:19], s[4:5], 4
	v_mov_b32_e32 v1, s19
	v_add_co_u32_e32 v0, vcc, s18, v6
	v_addc_co_u32_e32 v1, vcc, v7, v1, vcc
	global_load_dwordx4 v[0:3], v[0:1], off
	s_mov_b32 s18, 0
	s_mov_b32 s19, s17
	;; [unrolled: 1-line block ×3, first 2 shown]
.LBB222_44:                             ;   Parent Loop BB222_36 Depth=1
                                        ;     Parent Loop BB222_39 Depth=2
                                        ;       Parent Loop BB222_43 Depth=3
                                        ; =>      This Inner Loop Header: Depth=4
	v_mov_b32_e32 v21, s18
	buffer_load_dword v15, v21, s[0:3], 0 offen
	buffer_load_dword v16, v21, s[0:3], 0 offen offset:4
	buffer_load_dword v17, v21, s[0:3], 0 offen offset:8
	;; [unrolled: 1-line block ×3, first 2 shown]
	v_mov_b32_e32 v11, s19
	ds_read_b128 v[11:14], v11
	s_add_i32 s23, s23, -1
	s_add_i32 s19, s19, 16
	s_add_i32 s18, s18, 16
	s_cmp_eq_u32 s23, 0
	s_waitcnt vmcnt(4) lgkmcnt(0)
	v_mul_f64 v[19:20], v[2:3], v[13:14]
	v_mul_f64 v[13:14], v[0:1], v[13:14]
	v_fma_f64 v[19:20], v[0:1], v[11:12], -v[19:20]
	v_fma_f64 v[11:12], v[2:3], v[11:12], v[13:14]
	s_waitcnt vmcnt(2)
	v_add_f64 v[13:14], v[15:16], -v[19:20]
	s_waitcnt vmcnt(0)
	v_add_f64 v[11:12], v[17:18], -v[11:12]
	buffer_store_dword v13, v21, s[0:3], 0 offen
	buffer_store_dword v14, v21, s[0:3], 0 offen offset:4
	buffer_store_dword v11, v21, s[0:3], 0 offen offset:8
	;; [unrolled: 1-line block ×3, first 2 shown]
	s_cbranch_scc0 .LBB222_44
; %bb.45:                               ;   in Loop: Header=BB222_43 Depth=3
	s_add_i32 s4, s4, 1
	s_addk_i32 s17, 0x140
	s_cmp_eq_u32 s4, s6
	s_cbranch_scc0 .LBB222_43
.LBB222_46:                             ;   in Loop: Header=BB222_39 Depth=2
	s_mov_b32 s4, 0
	s_mov_b32 s17, s21
	s_branch .LBB222_48
.LBB222_47:                             ;   in Loop: Header=BB222_48 Depth=3
	s_add_i32 s18, s4, s6
	s_mul_i32 s19, s18, 0x150
	v_mov_b32_e32 v11, s19
	ds_read_b128 v[11:14], v11
	s_lshl_b32 s19, s4, 4
	v_mov_b32_e32 v17, s19
	s_ashr_i32 s19, s18, 31
	s_lshl_b64 s[18:19], s[18:19], 4
	s_waitcnt vmcnt(0) lgkmcnt(0)
	v_mul_f64 v[15:16], v[13:14], v[2:3]
	v_mul_f64 v[2:3], v[11:12], v[2:3]
	s_add_i32 s4, s4, 1
	s_add_i32 s17, s17, 16
	s_cmp_eq_u32 s4, s20
	v_fma_f64 v[11:12], v[11:12], v[0:1], -v[15:16]
	v_fma_f64 v[13:14], v[13:14], v[0:1], v[2:3]
	v_mov_b32_e32 v15, s19
	v_add_co_u32_e32 v0, vcc, s18, v6
	v_addc_co_u32_e32 v1, vcc, v7, v15, vcc
	buffer_store_dword v12, v17, s[0:3], 0 offen offset:4
	buffer_store_dword v11, v17, s[0:3], 0 offen
	buffer_store_dword v14, v17, s[0:3], 0 offen offset:12
	buffer_store_dword v13, v17, s[0:3], 0 offen offset:8
	global_store_dwordx4 v[0:1], v[11:14], off
	s_cbranch_scc1 .LBB222_38
.LBB222_48:                             ;   Parent Loop BB222_36 Depth=1
                                        ;     Parent Loop BB222_39 Depth=2
                                        ; =>    This Loop Header: Depth=3
                                        ;         Child Loop BB222_50 Depth 4
	s_cmp_lg_u32 s4, 0
	s_cbranch_scc0 .LBB222_52
; %bb.49:                               ;   in Loop: Header=BB222_48 Depth=3
	s_lshl_b32 s18, s4, 4
	v_mov_b32_e32 v11, s18
	buffer_load_dword v0, v11, s[0:3], 0 offen
	buffer_load_dword v1, v11, s[0:3], 0 offen offset:4
	buffer_load_dword v2, v11, s[0:3], 0 offen offset:8
	;; [unrolled: 1-line block ×3, first 2 shown]
	s_mov_b32 s18, 0
	s_mov_b32 s19, s17
	s_mov_b32 s23, s4
.LBB222_50:                             ;   Parent Loop BB222_36 Depth=1
                                        ;     Parent Loop BB222_39 Depth=2
                                        ;       Parent Loop BB222_48 Depth=3
                                        ; =>      This Inner Loop Header: Depth=4
	v_mov_b32_e32 v12, s18
	buffer_load_dword v16, v12, s[0:3], 0 offen offset:8
	buffer_load_dword v17, v12, s[0:3], 0 offen offset:12
	buffer_load_dword v18, v12, s[0:3], 0 offen
	buffer_load_dword v19, v12, s[0:3], 0 offen offset:4
	v_mov_b32_e32 v12, s19
	ds_read_b128 v[12:15], v12
	s_add_i32 s23, s23, -1
	s_addk_i32 s19, 0x140
	s_add_i32 s18, s18, 16
	s_cmp_eq_u32 s23, 0
	s_waitcnt vmcnt(2) lgkmcnt(0)
	v_mul_f64 v[20:21], v[14:15], v[16:17]
	v_mul_f64 v[16:17], v[12:13], v[16:17]
	s_waitcnt vmcnt(0)
	v_fma_f64 v[12:13], v[12:13], v[18:19], -v[20:21]
	v_fma_f64 v[14:15], v[14:15], v[18:19], v[16:17]
	v_add_f64 v[0:1], v[0:1], -v[12:13]
	v_add_f64 v[2:3], v[2:3], -v[14:15]
	buffer_store_dword v0, v11, s[0:3], 0 offen
	buffer_store_dword v1, v11, s[0:3], 0 offen offset:4
	buffer_store_dword v2, v11, s[0:3], 0 offen offset:8
	;; [unrolled: 1-line block ×3, first 2 shown]
	s_cbranch_scc0 .LBB222_50
; %bb.51:                               ;   in Loop: Header=BB222_48 Depth=3
	s_branch .LBB222_47
.LBB222_52:                             ;   in Loop: Header=BB222_48 Depth=3
                                        ; implicit-def: $vgpr0_vgpr1
                                        ; implicit-def: $vgpr2_vgpr3
	s_cbranch_execz .LBB222_47
; %bb.53:                               ;   in Loop: Header=BB222_48 Depth=3
	buffer_load_dword v0, off, s[0:3], 0
	buffer_load_dword v1, off, s[0:3], 0 offset:4
	buffer_load_dword v2, off, s[0:3], 0 offset:8
	;; [unrolled: 1-line block ×3, first 2 shown]
	s_branch .LBB222_47
.LBB222_54:
	s_endpgm
	.section	.rodata,"a",@progbits
	.p2align	6, 0x0
	.amdhsa_kernel _ZL30rocblas_trsm_small_left_deviceILi20ELi20ELb1E19rocblas_complex_numIdES1_PKS1_PS1_Ev13rocblas_fill_18rocblas_operation_17rocblas_diagonal_iiT3_T4_lilT5_lili
		.amdhsa_group_segment_fixed_size 6400
		.amdhsa_private_segment_fixed_size 336
		.amdhsa_kernarg_size 368
		.amdhsa_user_sgpr_count 6
		.amdhsa_user_sgpr_private_segment_buffer 1
		.amdhsa_user_sgpr_dispatch_ptr 0
		.amdhsa_user_sgpr_queue_ptr 0
		.amdhsa_user_sgpr_kernarg_segment_ptr 1
		.amdhsa_user_sgpr_dispatch_id 0
		.amdhsa_user_sgpr_flat_scratch_init 0
		.amdhsa_user_sgpr_private_segment_size 0
		.amdhsa_uses_dynamic_stack 0
		.amdhsa_system_sgpr_private_segment_wavefront_offset 1
		.amdhsa_system_sgpr_workgroup_id_x 1
		.amdhsa_system_sgpr_workgroup_id_y 0
		.amdhsa_system_sgpr_workgroup_id_z 1
		.amdhsa_system_sgpr_workgroup_info 0
		.amdhsa_system_vgpr_workitem_id 0
		.amdhsa_next_free_vgpr 65
		.amdhsa_next_free_sgpr 98
		.amdhsa_reserve_vcc 1
		.amdhsa_reserve_flat_scratch 0
		.amdhsa_float_round_mode_32 0
		.amdhsa_float_round_mode_16_64 0
		.amdhsa_float_denorm_mode_32 3
		.amdhsa_float_denorm_mode_16_64 3
		.amdhsa_dx10_clamp 1
		.amdhsa_ieee_mode 1
		.amdhsa_fp16_overflow 0
		.amdhsa_exception_fp_ieee_invalid_op 0
		.amdhsa_exception_fp_denorm_src 0
		.amdhsa_exception_fp_ieee_div_zero 0
		.amdhsa_exception_fp_ieee_overflow 0
		.amdhsa_exception_fp_ieee_underflow 0
		.amdhsa_exception_fp_ieee_inexact 0
		.amdhsa_exception_int_div_zero 0
	.end_amdhsa_kernel
	.section	.text._ZL30rocblas_trsm_small_left_deviceILi20ELi20ELb1E19rocblas_complex_numIdES1_PKS1_PS1_Ev13rocblas_fill_18rocblas_operation_17rocblas_diagonal_iiT3_T4_lilT5_lili,"axG",@progbits,_ZL30rocblas_trsm_small_left_deviceILi20ELi20ELb1E19rocblas_complex_numIdES1_PKS1_PS1_Ev13rocblas_fill_18rocblas_operation_17rocblas_diagonal_iiT3_T4_lilT5_lili,comdat
.Lfunc_end222:
	.size	_ZL30rocblas_trsm_small_left_deviceILi20ELi20ELb1E19rocblas_complex_numIdES1_PKS1_PS1_Ev13rocblas_fill_18rocblas_operation_17rocblas_diagonal_iiT3_T4_lilT5_lili, .Lfunc_end222-_ZL30rocblas_trsm_small_left_deviceILi20ELi20ELb1E19rocblas_complex_numIdES1_PKS1_PS1_Ev13rocblas_fill_18rocblas_operation_17rocblas_diagonal_iiT3_T4_lilT5_lili
                                        ; -- End function
	.set _ZL30rocblas_trsm_small_left_deviceILi20ELi20ELb1E19rocblas_complex_numIdES1_PKS1_PS1_Ev13rocblas_fill_18rocblas_operation_17rocblas_diagonal_iiT3_T4_lilT5_lili.num_vgpr, 22
	.set _ZL30rocblas_trsm_small_left_deviceILi20ELi20ELb1E19rocblas_complex_numIdES1_PKS1_PS1_Ev13rocblas_fill_18rocblas_operation_17rocblas_diagonal_iiT3_T4_lilT5_lili.num_agpr, 0
	.set _ZL30rocblas_trsm_small_left_deviceILi20ELi20ELb1E19rocblas_complex_numIdES1_PKS1_PS1_Ev13rocblas_fill_18rocblas_operation_17rocblas_diagonal_iiT3_T4_lilT5_lili.numbered_sgpr, 37
	.set _ZL30rocblas_trsm_small_left_deviceILi20ELi20ELb1E19rocblas_complex_numIdES1_PKS1_PS1_Ev13rocblas_fill_18rocblas_operation_17rocblas_diagonal_iiT3_T4_lilT5_lili.num_named_barrier, 0
	.set _ZL30rocblas_trsm_small_left_deviceILi20ELi20ELb1E19rocblas_complex_numIdES1_PKS1_PS1_Ev13rocblas_fill_18rocblas_operation_17rocblas_diagonal_iiT3_T4_lilT5_lili.private_seg_size, 336
	.set _ZL30rocblas_trsm_small_left_deviceILi20ELi20ELb1E19rocblas_complex_numIdES1_PKS1_PS1_Ev13rocblas_fill_18rocblas_operation_17rocblas_diagonal_iiT3_T4_lilT5_lili.uses_vcc, 1
	.set _ZL30rocblas_trsm_small_left_deviceILi20ELi20ELb1E19rocblas_complex_numIdES1_PKS1_PS1_Ev13rocblas_fill_18rocblas_operation_17rocblas_diagonal_iiT3_T4_lilT5_lili.uses_flat_scratch, 0
	.set _ZL30rocblas_trsm_small_left_deviceILi20ELi20ELb1E19rocblas_complex_numIdES1_PKS1_PS1_Ev13rocblas_fill_18rocblas_operation_17rocblas_diagonal_iiT3_T4_lilT5_lili.has_dyn_sized_stack, 0
	.set _ZL30rocblas_trsm_small_left_deviceILi20ELi20ELb1E19rocblas_complex_numIdES1_PKS1_PS1_Ev13rocblas_fill_18rocblas_operation_17rocblas_diagonal_iiT3_T4_lilT5_lili.has_recursion, 0
	.set _ZL30rocblas_trsm_small_left_deviceILi20ELi20ELb1E19rocblas_complex_numIdES1_PKS1_PS1_Ev13rocblas_fill_18rocblas_operation_17rocblas_diagonal_iiT3_T4_lilT5_lili.has_indirect_call, 0
	.section	.AMDGPU.csdata,"",@progbits
; Kernel info:
; codeLenInByte = 2948
; TotalNumSgprs: 41
; NumVgprs: 22
; ScratchSize: 336
; MemoryBound: 0
; FloatMode: 240
; IeeeMode: 1
; LDSByteSize: 6400 bytes/workgroup (compile time only)
; SGPRBlocks: 12
; VGPRBlocks: 16
; NumSGPRsForWavesPerEU: 102
; NumVGPRsForWavesPerEU: 65
; Occupancy: 3
; WaveLimiterHint : 0
; COMPUTE_PGM_RSRC2:SCRATCH_EN: 1
; COMPUTE_PGM_RSRC2:USER_SGPR: 6
; COMPUTE_PGM_RSRC2:TRAP_HANDLER: 0
; COMPUTE_PGM_RSRC2:TGID_X_EN: 1
; COMPUTE_PGM_RSRC2:TGID_Y_EN: 0
; COMPUTE_PGM_RSRC2:TGID_Z_EN: 1
; COMPUTE_PGM_RSRC2:TIDIG_COMP_CNT: 0
	.section	.text._ZL31rocblas_trsm_small_right_deviceI19rocblas_complex_numIdES1_PKS1_PS1_Li20EEv13rocblas_fill_18rocblas_operation_17rocblas_diagonal_iiT0_T1_lilT2_lili,"axG",@progbits,_ZL31rocblas_trsm_small_right_deviceI19rocblas_complex_numIdES1_PKS1_PS1_Li20EEv13rocblas_fill_18rocblas_operation_17rocblas_diagonal_iiT0_T1_lilT2_lili,comdat
	.globl	_ZL31rocblas_trsm_small_right_deviceI19rocblas_complex_numIdES1_PKS1_PS1_Li20EEv13rocblas_fill_18rocblas_operation_17rocblas_diagonal_iiT0_T1_lilT2_lili ; -- Begin function _ZL31rocblas_trsm_small_right_deviceI19rocblas_complex_numIdES1_PKS1_PS1_Li20EEv13rocblas_fill_18rocblas_operation_17rocblas_diagonal_iiT0_T1_lilT2_lili
	.p2align	8
	.type	_ZL31rocblas_trsm_small_right_deviceI19rocblas_complex_numIdES1_PKS1_PS1_Li20EEv13rocblas_fill_18rocblas_operation_17rocblas_diagonal_iiT0_T1_lilT2_lili,@function
_ZL31rocblas_trsm_small_right_deviceI19rocblas_complex_numIdES1_PKS1_PS1_Li20EEv13rocblas_fill_18rocblas_operation_17rocblas_diagonal_iiT0_T1_lilT2_lili: ; @_ZL31rocblas_trsm_small_right_deviceI19rocblas_complex_numIdES1_PKS1_PS1_Li20EEv13rocblas_fill_18rocblas_operation_17rocblas_diagonal_iiT0_T1_lilT2_lili
; %bb.0:
	s_load_dwordx4 s[16:19], s[4:5], 0x0
	s_load_dword s24, s[4:5], 0x10
	s_load_dwordx8 s[8:15], s[4:5], 0x18
	s_load_dwordx2 s[20:21], s[4:5], 0x50
	s_load_dwordx4 s[0:3], s[4:5], 0x40
	s_waitcnt lgkmcnt(0)
	s_min_i32 s25, s24, 20
	v_cmp_gt_i32_e32 vcc, s25, v0
	s_and_saveexec_b64 s[22:23], vcc
	s_cbranch_execz .LBB223_5
; %bb.1:
	s_load_dword s26, s[4:5], 0x38
	s_mul_i32 s1, s1, s7
	s_mul_hi_u32 s28, s0, s7
	s_mul_i32 s0, s0, s7
	v_lshlrev_b32_e32 v3, 4, v0
	s_waitcnt lgkmcnt(0)
	s_ashr_i32 s27, s26, 31
	s_cmpk_eq_i32 s17, 0x71
	s_cselect_b64 vcc, -1, 0
	s_add_i32 s1, s28, s1
	s_lshl_b64 s[0:1], s[0:1], 4
	s_lshl_b64 s[14:15], s[14:15], 4
	s_add_u32 s0, s0, s14
	s_addc_u32 s1, s1, s15
	s_add_u32 s0, s12, s0
	s_addc_u32 s1, s13, s1
	v_mov_b32_e32 v1, s1
	v_add_co_u32_e64 v2, s[0:1], s0, v3
	v_addc_co_u32_e64 v4, s[0:1], 0, v1, s[0:1]
	v_add_co_u32_e64 v1, s[0:1], 8, v2
	s_lshl_b64 s[12:13], s[26:27], 4
	v_addc_co_u32_e64 v2, s[0:1], 0, v4, s[0:1]
	v_mov_b32_e32 v4, s13
	v_mov_b32_e32 v5, v3
	s_mov_b32 s13, s25
.LBB223_2:                              ; =>This Inner Loop Header: Depth=1
	global_load_dwordx4 v[6:9], v[1:2], off offset:-8
	s_add_i32 s13, s13, -1
	v_add_co_u32_e64 v1, s[0:1], s12, v1
	v_addc_co_u32_e64 v2, s[0:1], v2, v4, s[0:1]
	s_cmp_eq_u32 s13, 0
	s_waitcnt vmcnt(0)
	v_xor_b32_e32 v10, 0x80000000, v9
	v_cndmask_b32_e32 v9, v9, v10, vcc
	ds_write_b128 v5, v[6:9]
	v_add_u32_e32 v5, 0x140, v5
	s_cbranch_scc0 .LBB223_2
; %bb.3:
	s_cmpk_eq_i32 s18, 0x84
	s_cbranch_scc0 .LBB223_5
; %bb.4:
	s_movk_i32 s0, 0x140
	v_mov_b32_e32 v1, 0
	v_mad_u32_u24 v5, v0, s0, v3
	v_mov_b32_e32 v2, 0x3ff00000
	v_mov_b32_e32 v3, v1
	;; [unrolled: 1-line block ×3, first 2 shown]
	ds_write_b128 v5, v[1:4]
.LBB223_5:
	s_or_b64 exec, exec, s[22:23]
	s_load_dword s0, s[4:5], 0x70
	s_load_dwordx2 s[14:15], s[4:5], 0x60
	s_load_dword s12, s[4:5], 0x58
	s_mul_hi_i32 s18, s6, 0x140
	s_waitcnt lgkmcnt(0)
	s_add_i32 s0, s0, -1
	s_mul_i32 s1, s15, s7
	s_mul_hi_u32 s5, s14, s7
	s_add_i32 s5, s5, s1
	s_mul_i32 s1, s6, 0xffffffec
	s_add_i32 s1, s19, s1
	s_cmp_ge_u32 s6, s0
	s_cselect_b32 s0, s1, 20
	s_mul_i32 s4, s14, s7
	s_mul_i32 s19, s6, 0x140
	v_cmp_gt_i32_e64 s[0:1], s0, v0
	s_and_saveexec_b64 s[6:7], s[0:1]
	s_cbranch_execz .LBB223_9
; %bb.6:
	s_cmp_lt_i32 s24, 1
	s_cbranch_scc1 .LBB223_9
; %bb.7:
	s_ashr_i32 s13, s12, 31
	s_lshl_b64 s[14:15], s[4:5], 4
	s_add_u32 s22, s14, s19
	s_addc_u32 s23, s15, s18
	s_lshl_b64 s[14:15], s[20:21], 4
	s_add_u32 s14, s22, s14
	s_addc_u32 s15, s23, s15
	s_add_u32 s14, s2, s14
	v_lshlrev_b32_e32 v3, 4, v0
	s_addc_u32 s15, s3, s15
	v_mov_b32_e32 v1, s15
	v_add_co_u32_e32 v2, vcc, s14, v3
	v_addc_co_u32_e32 v4, vcc, 0, v1, vcc
	v_add_co_u32_e32 v1, vcc, 8, v2
	s_lshl_b64 s[14:15], s[12:13], 4
	v_addc_co_u32_e32 v2, vcc, 0, v4, vcc
	v_add_u32_e32 v3, 0x1900, v3
	v_mov_b32_e32 v4, s15
	s_mov_b32 s13, s24
.LBB223_8:                              ; =>This Inner Loop Header: Depth=1
	global_load_dwordx4 v[5:8], v[1:2], off offset:-8
	s_add_i32 s13, s13, -1
	v_add_co_u32_e32 v1, vcc, s14, v1
	v_addc_co_u32_e32 v2, vcc, v2, v4, vcc
	s_cmp_lg_u32 s13, 0
	s_waitcnt vmcnt(0)
	v_mul_f64 v[9:10], s[10:11], v[7:8]
	v_mul_f64 v[11:12], s[8:9], v[7:8]
	v_fma_f64 v[7:8], s[8:9], v[5:6], -v[9:10]
	v_fma_f64 v[9:10], s[10:11], v[5:6], v[11:12]
	ds_write_b128 v3, v[7:10]
	v_add_u32_e32 v3, 0x140, v3
	s_cbranch_scc1 .LBB223_8
.LBB223_9:
	s_or_b64 exec, exec, s[6:7]
	s_cmpk_eq_i32 s17, 0x6f
	s_cselect_b64 s[6:7], -1, 0
	s_cmpk_lg_i32 s16, 0x79
	s_cselect_b64 s[8:9], -1, 0
	s_cmpk_eq_i32 s16, 0x79
	s_cselect_b64 s[10:11], -1, 0
	s_and_b64 s[10:11], s[10:11], s[6:7]
	s_andn2_b64 vcc, exec, s[10:11]
	s_mov_b64 s[10:11], -1
	s_waitcnt lgkmcnt(0)
	; wave barrier
	s_cbranch_vccz .LBB223_110
; %bb.10:
	s_cmpk_lg_i32 s16, 0x7a
	s_cselect_b64 s[14:15], -1, 0
	s_xor_b64 s[6:7], s[6:7], -1
	s_add_i32 s13, s25, -1
	s_or_b64 s[14:15], s[14:15], s[6:7]
	v_mov_b32_e32 v1, 0x1900
	s_cmp_gt_i32 s24, 3
	v_lshl_add_u32 v25, v0, 4, v1
	s_cselect_b64 s[6:7], -1, 0
	s_and_b64 vcc, exec, s[14:15]
	s_cbranch_vccz .LBB223_77
; %bb.11:
	s_andn2_b64 vcc, exec, s[8:9]
	s_mov_b64 s[8:9], -1
	s_cbranch_vccnz .LBB223_44
; %bb.12:
	s_andn2_b64 vcc, exec, s[6:7]
	s_mov_b32 s14, 0
	s_cbranch_vccnz .LBB223_34
; %bb.13:
	v_mov_b32_e32 v1, 0x1900
	v_lshl_add_u32 v26, v0, 4, v1
	s_mov_b32 s10, 0
	s_mov_b32 s11, 0
.LBB223_14:                             ; =>This Loop Header: Depth=1
                                        ;     Child Loop BB223_15 Depth 2
	s_or_b32 s9, s11, 3
	s_mul_i32 s8, s11, 0x140
	v_add_u32_e32 v28, s8, v25
	s_mulk_i32 s9, 0x140
	ds_read_b128 v[17:20], v28
	ds_read_b128 v[13:16], v28 offset:320
	v_add_u32_e32 v27, s9, v25
	ds_read_b128 v[5:8], v28 offset:640
	ds_read_b128 v[1:4], v27
	s_cmp_eq_u32 s11, 0
	v_mov_b32_e32 v9, v26
	s_mov_b32 s9, s10
	s_mov_b32 s14, s11
	s_cbranch_scc1 .LBB223_16
.LBB223_15:                             ;   Parent Loop BB223_14 Depth=1
                                        ; =>  This Inner Loop Header: Depth=2
	v_mov_b32_e32 v10, s9
	ds_read_b128 v[21:24], v9
	ds_read_b128 v[29:32], v10
	ds_read_b128 v[33:36], v10 offset:16
	ds_read_b128 v[37:40], v10 offset:32
	;; [unrolled: 1-line block ×3, first 2 shown]
	s_add_i32 s14, s14, -1
	s_addk_i32 s9, 0x140
	s_cmp_eq_u32 s14, 0
	s_waitcnt lgkmcnt(3)
	v_mul_f64 v[10:11], v[23:24], v[31:32]
	v_mul_f64 v[31:32], v[21:22], v[31:32]
	s_waitcnt lgkmcnt(2)
	v_mul_f64 v[45:46], v[23:24], v[35:36]
	v_mul_f64 v[35:36], v[21:22], v[35:36]
	;; [unrolled: 3-line block ×4, first 2 shown]
	v_fma_f64 v[10:11], v[21:22], v[29:30], -v[10:11]
	v_fma_f64 v[29:30], v[23:24], v[29:30], v[31:32]
	v_fma_f64 v[31:32], v[21:22], v[33:34], -v[45:46]
	v_fma_f64 v[33:34], v[23:24], v[33:34], v[35:36]
	;; [unrolled: 2-line block ×4, first 2 shown]
	v_add_f64 v[17:18], v[17:18], -v[10:11]
	v_add_f64 v[19:20], v[19:20], -v[29:30]
	;; [unrolled: 1-line block ×8, first 2 shown]
	v_add_u32_e32 v9, 0x140, v9
	s_cbranch_scc0 .LBB223_15
.LBB223_16:                             ;   in Loop: Header=BB223_14 Depth=1
	s_lshl_b32 s14, s11, 4
	s_add_i32 s15, s14, s8
	v_mov_b32_e32 v9, s15
	ds_read_b128 v[21:24], v9
	s_mov_b64 s[8:9], -1
                                        ; implicit-def: $vgpr11_vgpr12
	s_waitcnt lgkmcnt(0)
	v_cmp_ngt_f64_e64 s[16:17], |v[21:22]|, |v[23:24]|
	s_and_b64 vcc, exec, s[16:17]
	s_cbranch_vccz .LBB223_18
; %bb.17:                               ;   in Loop: Header=BB223_14 Depth=1
	v_div_scale_f64 v[9:10], s[8:9], v[23:24], v[23:24], v[21:22]
	v_rcp_f64_e32 v[11:12], v[9:10]
	v_fma_f64 v[29:30], -v[9:10], v[11:12], 1.0
	v_fma_f64 v[11:12], v[11:12], v[29:30], v[11:12]
	v_div_scale_f64 v[29:30], vcc, v[21:22], v[23:24], v[21:22]
	v_fma_f64 v[31:32], -v[9:10], v[11:12], 1.0
	v_fma_f64 v[11:12], v[11:12], v[31:32], v[11:12]
	v_mul_f64 v[31:32], v[29:30], v[11:12]
	v_fma_f64 v[9:10], -v[9:10], v[31:32], v[29:30]
	v_div_fmas_f64 v[9:10], v[9:10], v[11:12], v[31:32]
	v_div_fixup_f64 v[9:10], v[9:10], v[23:24], v[21:22]
	v_fma_f64 v[11:12], v[21:22], v[9:10], v[23:24]
	v_div_scale_f64 v[29:30], s[8:9], v[11:12], v[11:12], 1.0
	s_mov_b64 s[8:9], 0
	v_rcp_f64_e32 v[31:32], v[29:30]
	v_fma_f64 v[33:34], -v[29:30], v[31:32], 1.0
	v_fma_f64 v[31:32], v[31:32], v[33:34], v[31:32]
	v_div_scale_f64 v[33:34], vcc, 1.0, v[11:12], 1.0
	v_fma_f64 v[35:36], -v[29:30], v[31:32], 1.0
	v_fma_f64 v[31:32], v[31:32], v[35:36], v[31:32]
	v_mul_f64 v[35:36], v[33:34], v[31:32]
	v_fma_f64 v[29:30], -v[29:30], v[35:36], v[33:34]
	v_div_fmas_f64 v[29:30], v[29:30], v[31:32], v[35:36]
	v_fma_f64 v[31:32], v[17:18], v[9:10], v[19:20]
	v_div_fixup_f64 v[11:12], v[29:30], v[11:12], 1.0
	v_fma_f64 v[29:30], v[19:20], v[9:10], -v[17:18]
	v_mul_f64 v[9:10], v[31:32], v[11:12]
	v_mul_f64 v[11:12], v[29:30], v[11:12]
.LBB223_18:                             ;   in Loop: Header=BB223_14 Depth=1
	s_andn2_b64 vcc, exec, s[8:9]
	s_cbranch_vccnz .LBB223_20
; %bb.19:                               ;   in Loop: Header=BB223_14 Depth=1
	v_div_scale_f64 v[9:10], s[8:9], v[21:22], v[21:22], v[23:24]
	v_rcp_f64_e32 v[11:12], v[9:10]
	v_fma_f64 v[29:30], -v[9:10], v[11:12], 1.0
	v_fma_f64 v[11:12], v[11:12], v[29:30], v[11:12]
	v_div_scale_f64 v[29:30], vcc, v[23:24], v[21:22], v[23:24]
	v_fma_f64 v[31:32], -v[9:10], v[11:12], 1.0
	v_fma_f64 v[11:12], v[11:12], v[31:32], v[11:12]
	v_mul_f64 v[31:32], v[29:30], v[11:12]
	v_fma_f64 v[9:10], -v[9:10], v[31:32], v[29:30]
	v_div_fmas_f64 v[9:10], v[9:10], v[11:12], v[31:32]
	v_div_fixup_f64 v[9:10], v[9:10], v[21:22], v[23:24]
	v_fma_f64 v[11:12], v[23:24], v[9:10], v[21:22]
	v_div_scale_f64 v[21:22], s[8:9], v[11:12], v[11:12], 1.0
	v_rcp_f64_e32 v[23:24], v[21:22]
	v_fma_f64 v[29:30], -v[21:22], v[23:24], 1.0
	v_fma_f64 v[23:24], v[23:24], v[29:30], v[23:24]
	v_div_scale_f64 v[29:30], vcc, 1.0, v[11:12], 1.0
	v_fma_f64 v[31:32], -v[21:22], v[23:24], 1.0
	v_fma_f64 v[23:24], v[23:24], v[31:32], v[23:24]
	v_mul_f64 v[31:32], v[29:30], v[23:24]
	v_fma_f64 v[21:22], -v[21:22], v[31:32], v[29:30]
	v_div_fmas_f64 v[21:22], v[21:22], v[23:24], v[31:32]
	v_fma_f64 v[23:24], v[19:20], v[9:10], v[17:18]
	v_fma_f64 v[17:18], -v[17:18], v[9:10], v[19:20]
	v_div_fixup_f64 v[11:12], v[21:22], v[11:12], 1.0
	v_mul_f64 v[9:10], v[23:24], v[11:12]
	v_mul_f64 v[11:12], v[17:18], v[11:12]
.LBB223_20:                             ;   in Loop: Header=BB223_14 Depth=1
	v_mov_b32_e32 v17, s15
	ds_read_b128 v[21:24], v17 offset:16
	ds_read_b128 v[17:20], v17 offset:336
	s_mov_b64 s[8:9], -1
	ds_write_b128 v28, v[9:12]
	s_waitcnt lgkmcnt(2)
	v_mul_f64 v[29:30], v[11:12], v[23:24]
	v_mul_f64 v[23:24], v[9:10], v[23:24]
	s_waitcnt lgkmcnt(1)
	v_cmp_ngt_f64_e64 s[16:17], |v[17:18]|, |v[19:20]|
	v_fma_f64 v[29:30], v[9:10], v[21:22], -v[29:30]
	v_fma_f64 v[23:24], v[11:12], v[21:22], v[23:24]
	s_and_b64 vcc, exec, s[16:17]
	v_add_f64 v[21:22], v[13:14], -v[29:30]
	v_add_f64 v[23:24], v[15:16], -v[23:24]
                                        ; implicit-def: $vgpr15_vgpr16
	s_cbranch_vccz .LBB223_22
; %bb.21:                               ;   in Loop: Header=BB223_14 Depth=1
	v_div_scale_f64 v[13:14], s[8:9], v[19:20], v[19:20], v[17:18]
	v_rcp_f64_e32 v[15:16], v[13:14]
	v_fma_f64 v[29:30], -v[13:14], v[15:16], 1.0
	v_fma_f64 v[15:16], v[15:16], v[29:30], v[15:16]
	v_div_scale_f64 v[29:30], vcc, v[17:18], v[19:20], v[17:18]
	v_fma_f64 v[31:32], -v[13:14], v[15:16], 1.0
	v_fma_f64 v[15:16], v[15:16], v[31:32], v[15:16]
	v_mul_f64 v[31:32], v[29:30], v[15:16]
	v_fma_f64 v[13:14], -v[13:14], v[31:32], v[29:30]
	v_div_fmas_f64 v[13:14], v[13:14], v[15:16], v[31:32]
	v_div_fixup_f64 v[13:14], v[13:14], v[19:20], v[17:18]
	v_fma_f64 v[15:16], v[17:18], v[13:14], v[19:20]
	v_div_scale_f64 v[29:30], s[8:9], v[15:16], v[15:16], 1.0
	s_mov_b64 s[8:9], 0
	v_rcp_f64_e32 v[31:32], v[29:30]
	v_fma_f64 v[33:34], -v[29:30], v[31:32], 1.0
	v_fma_f64 v[31:32], v[31:32], v[33:34], v[31:32]
	v_div_scale_f64 v[33:34], vcc, 1.0, v[15:16], 1.0
	v_fma_f64 v[35:36], -v[29:30], v[31:32], 1.0
	v_fma_f64 v[31:32], v[31:32], v[35:36], v[31:32]
	v_mul_f64 v[35:36], v[33:34], v[31:32]
	v_fma_f64 v[29:30], -v[29:30], v[35:36], v[33:34]
	v_div_fmas_f64 v[29:30], v[29:30], v[31:32], v[35:36]
	v_fma_f64 v[31:32], v[13:14], v[21:22], v[23:24]
	v_div_fixup_f64 v[15:16], v[29:30], v[15:16], 1.0
	v_fma_f64 v[29:30], v[13:14], v[23:24], -v[21:22]
	v_mul_f64 v[13:14], v[31:32], v[15:16]
	v_mul_f64 v[15:16], v[29:30], v[15:16]
.LBB223_22:                             ;   in Loop: Header=BB223_14 Depth=1
	s_andn2_b64 vcc, exec, s[8:9]
	s_cbranch_vccnz .LBB223_24
; %bb.23:                               ;   in Loop: Header=BB223_14 Depth=1
	v_div_scale_f64 v[13:14], s[8:9], v[17:18], v[17:18], v[19:20]
	v_rcp_f64_e32 v[15:16], v[13:14]
	v_fma_f64 v[29:30], -v[13:14], v[15:16], 1.0
	v_fma_f64 v[15:16], v[15:16], v[29:30], v[15:16]
	v_div_scale_f64 v[29:30], vcc, v[19:20], v[17:18], v[19:20]
	v_fma_f64 v[31:32], -v[13:14], v[15:16], 1.0
	v_fma_f64 v[15:16], v[15:16], v[31:32], v[15:16]
	v_mul_f64 v[31:32], v[29:30], v[15:16]
	v_fma_f64 v[13:14], -v[13:14], v[31:32], v[29:30]
	v_div_fmas_f64 v[13:14], v[13:14], v[15:16], v[31:32]
	v_div_fixup_f64 v[13:14], v[13:14], v[17:18], v[19:20]
	v_fma_f64 v[15:16], v[19:20], v[13:14], v[17:18]
	v_div_scale_f64 v[17:18], s[8:9], v[15:16], v[15:16], 1.0
	v_rcp_f64_e32 v[19:20], v[17:18]
	v_fma_f64 v[29:30], -v[17:18], v[19:20], 1.0
	v_fma_f64 v[19:20], v[19:20], v[29:30], v[19:20]
	v_div_scale_f64 v[29:30], vcc, 1.0, v[15:16], 1.0
	v_fma_f64 v[31:32], -v[17:18], v[19:20], 1.0
	v_fma_f64 v[19:20], v[19:20], v[31:32], v[19:20]
	v_mul_f64 v[31:32], v[29:30], v[19:20]
	v_fma_f64 v[17:18], -v[17:18], v[31:32], v[29:30]
	v_div_fmas_f64 v[17:18], v[17:18], v[19:20], v[31:32]
	v_fma_f64 v[19:20], v[13:14], v[23:24], v[21:22]
	v_div_fixup_f64 v[15:16], v[17:18], v[15:16], 1.0
	v_fma_f64 v[17:18], -v[13:14], v[21:22], v[23:24]
	v_mul_f64 v[13:14], v[19:20], v[15:16]
	v_mul_f64 v[15:16], v[17:18], v[15:16]
.LBB223_24:                             ;   in Loop: Header=BB223_14 Depth=1
	v_mov_b32_e32 v21, s15
	ds_read_b128 v[17:20], v21 offset:32
	s_add_i32 s16, s15, 0x150
	s_or_b32 s8, s14, 16
	s_sub_i32 s17, s16, s8
	s_add_i32 s17, s17, s14
	v_mov_b32_e32 v29, s17
	ds_read_b128 v[29:32], v29 offset:32
	s_waitcnt lgkmcnt(1)
	v_mul_f64 v[33:34], v[11:12], v[19:20]
	v_mul_f64 v[19:20], v[9:10], v[19:20]
	ds_read_b128 v[21:24], v21 offset:672
	s_mov_b64 s[8:9], -1
	s_waitcnt lgkmcnt(1)
	v_mul_f64 v[35:36], v[15:16], v[31:32]
	v_mul_f64 v[31:32], v[13:14], v[31:32]
	ds_write_b128 v28, v[13:16] offset:320
	s_waitcnt lgkmcnt(1)
	v_cmp_ngt_f64_e64 s[22:23], |v[21:22]|, |v[23:24]|
	v_fma_f64 v[33:34], v[9:10], v[17:18], -v[33:34]
	v_fma_f64 v[17:18], v[11:12], v[17:18], v[19:20]
	v_fma_f64 v[19:20], v[13:14], v[29:30], -v[35:36]
	v_fma_f64 v[29:30], v[15:16], v[29:30], v[31:32]
	s_and_b64 vcc, exec, s[22:23]
	v_add_f64 v[5:6], v[5:6], -v[33:34]
	v_add_f64 v[7:8], v[7:8], -v[17:18]
	v_add_f64 v[5:6], v[5:6], -v[19:20]
	v_add_f64 v[7:8], v[7:8], -v[29:30]
                                        ; implicit-def: $vgpr19_vgpr20
	s_cbranch_vccz .LBB223_26
; %bb.25:                               ;   in Loop: Header=BB223_14 Depth=1
	v_div_scale_f64 v[17:18], s[8:9], v[23:24], v[23:24], v[21:22]
	v_rcp_f64_e32 v[19:20], v[17:18]
	v_fma_f64 v[29:30], -v[17:18], v[19:20], 1.0
	v_fma_f64 v[19:20], v[19:20], v[29:30], v[19:20]
	v_div_scale_f64 v[29:30], vcc, v[21:22], v[23:24], v[21:22]
	v_fma_f64 v[31:32], -v[17:18], v[19:20], 1.0
	v_fma_f64 v[19:20], v[19:20], v[31:32], v[19:20]
	v_mul_f64 v[31:32], v[29:30], v[19:20]
	v_fma_f64 v[17:18], -v[17:18], v[31:32], v[29:30]
	v_div_fmas_f64 v[17:18], v[17:18], v[19:20], v[31:32]
	v_div_fixup_f64 v[17:18], v[17:18], v[23:24], v[21:22]
	v_fma_f64 v[19:20], v[21:22], v[17:18], v[23:24]
	v_div_scale_f64 v[29:30], s[8:9], v[19:20], v[19:20], 1.0
	s_mov_b64 s[8:9], 0
	v_rcp_f64_e32 v[31:32], v[29:30]
	v_fma_f64 v[33:34], -v[29:30], v[31:32], 1.0
	v_fma_f64 v[31:32], v[31:32], v[33:34], v[31:32]
	v_div_scale_f64 v[33:34], vcc, 1.0, v[19:20], 1.0
	v_fma_f64 v[35:36], -v[29:30], v[31:32], 1.0
	v_fma_f64 v[31:32], v[31:32], v[35:36], v[31:32]
	v_mul_f64 v[35:36], v[33:34], v[31:32]
	v_fma_f64 v[29:30], -v[29:30], v[35:36], v[33:34]
	v_div_fmas_f64 v[29:30], v[29:30], v[31:32], v[35:36]
	v_fma_f64 v[31:32], v[17:18], v[5:6], v[7:8]
	v_div_fixup_f64 v[19:20], v[29:30], v[19:20], 1.0
	v_fma_f64 v[29:30], v[17:18], v[7:8], -v[5:6]
	v_mul_f64 v[17:18], v[31:32], v[19:20]
	v_mul_f64 v[19:20], v[29:30], v[19:20]
.LBB223_26:                             ;   in Loop: Header=BB223_14 Depth=1
	s_andn2_b64 vcc, exec, s[8:9]
	s_cbranch_vccnz .LBB223_28
; %bb.27:                               ;   in Loop: Header=BB223_14 Depth=1
	v_div_scale_f64 v[17:18], s[8:9], v[21:22], v[21:22], v[23:24]
	v_rcp_f64_e32 v[19:20], v[17:18]
	v_fma_f64 v[29:30], -v[17:18], v[19:20], 1.0
	v_fma_f64 v[19:20], v[19:20], v[29:30], v[19:20]
	v_div_scale_f64 v[29:30], vcc, v[23:24], v[21:22], v[23:24]
	v_fma_f64 v[31:32], -v[17:18], v[19:20], 1.0
	v_fma_f64 v[19:20], v[19:20], v[31:32], v[19:20]
	v_mul_f64 v[31:32], v[29:30], v[19:20]
	v_fma_f64 v[17:18], -v[17:18], v[31:32], v[29:30]
	v_div_fmas_f64 v[17:18], v[17:18], v[19:20], v[31:32]
	v_div_fixup_f64 v[17:18], v[17:18], v[21:22], v[23:24]
	v_fma_f64 v[19:20], v[23:24], v[17:18], v[21:22]
	v_div_scale_f64 v[21:22], s[8:9], v[19:20], v[19:20], 1.0
	v_rcp_f64_e32 v[23:24], v[21:22]
	v_fma_f64 v[29:30], -v[21:22], v[23:24], 1.0
	v_fma_f64 v[23:24], v[23:24], v[29:30], v[23:24]
	v_div_scale_f64 v[29:30], vcc, 1.0, v[19:20], 1.0
	v_fma_f64 v[31:32], -v[21:22], v[23:24], 1.0
	v_fma_f64 v[23:24], v[23:24], v[31:32], v[23:24]
	v_mul_f64 v[31:32], v[29:30], v[23:24]
	v_fma_f64 v[21:22], -v[21:22], v[31:32], v[29:30]
	v_div_fmas_f64 v[21:22], v[21:22], v[23:24], v[31:32]
	v_fma_f64 v[23:24], v[17:18], v[7:8], v[5:6]
	v_fma_f64 v[5:6], -v[17:18], v[5:6], v[7:8]
	v_div_fixup_f64 v[19:20], v[21:22], v[19:20], 1.0
	v_mul_f64 v[17:18], v[23:24], v[19:20]
	v_mul_f64 v[19:20], v[5:6], v[19:20]
.LBB223_28:                             ;   in Loop: Header=BB223_14 Depth=1
	v_mov_b32_e32 v5, s15
	ds_read_b128 v[21:24], v5 offset:48
	v_mov_b32_e32 v6, s17
	ds_read_b128 v[29:32], v6 offset:48
	ds_read_b128 v[5:8], v5 offset:1008
	s_or_b32 s8, s14, 32
	s_sub_i32 s8, s16, s8
	s_waitcnt lgkmcnt(2)
	v_mul_f64 v[37:38], v[11:12], v[23:24]
	v_mul_f64 v[23:24], v[9:10], v[23:24]
	s_waitcnt lgkmcnt(1)
	v_mul_f64 v[39:40], v[15:16], v[31:32]
	v_mul_f64 v[31:32], v[13:14], v[31:32]
	s_add_i32 s8, s8, s14
	v_mov_b32_e32 v33, s8
	ds_read_b128 v[33:36], v33 offset:384
	s_waitcnt lgkmcnt(1)
	v_cmp_ngt_f64_e64 s[14:15], |v[5:6]|, |v[7:8]|
	v_fma_f64 v[9:10], v[9:10], v[21:22], -v[37:38]
	v_fma_f64 v[11:12], v[11:12], v[21:22], v[23:24]
	v_fma_f64 v[13:14], v[13:14], v[29:30], -v[39:40]
	s_waitcnt lgkmcnt(0)
	v_mul_f64 v[21:22], v[19:20], v[35:36]
	v_mul_f64 v[23:24], v[17:18], v[35:36]
	v_fma_f64 v[15:16], v[15:16], v[29:30], v[31:32]
	s_mov_b64 s[8:9], -1
	s_and_b64 vcc, exec, s[14:15]
	v_add_f64 v[1:2], v[1:2], -v[9:10]
	v_add_f64 v[3:4], v[3:4], -v[11:12]
	ds_write_b128 v28, v[17:20] offset:640
	v_fma_f64 v[9:10], v[17:18], v[33:34], -v[21:22]
	v_fma_f64 v[11:12], v[19:20], v[33:34], v[23:24]
	v_add_f64 v[1:2], v[1:2], -v[13:14]
	v_add_f64 v[3:4], v[3:4], -v[15:16]
	v_add_f64 v[9:10], v[1:2], -v[9:10]
	v_add_f64 v[11:12], v[3:4], -v[11:12]
                                        ; implicit-def: $vgpr3_vgpr4
	s_cbranch_vccz .LBB223_30
; %bb.29:                               ;   in Loop: Header=BB223_14 Depth=1
	v_div_scale_f64 v[1:2], s[8:9], v[7:8], v[7:8], v[5:6]
	v_rcp_f64_e32 v[3:4], v[1:2]
	v_fma_f64 v[13:14], -v[1:2], v[3:4], 1.0
	v_fma_f64 v[3:4], v[3:4], v[13:14], v[3:4]
	v_div_scale_f64 v[13:14], vcc, v[5:6], v[7:8], v[5:6]
	v_fma_f64 v[15:16], -v[1:2], v[3:4], 1.0
	v_fma_f64 v[3:4], v[3:4], v[15:16], v[3:4]
	v_mul_f64 v[15:16], v[13:14], v[3:4]
	v_fma_f64 v[1:2], -v[1:2], v[15:16], v[13:14]
	v_div_fmas_f64 v[1:2], v[1:2], v[3:4], v[15:16]
	v_div_fixup_f64 v[1:2], v[1:2], v[7:8], v[5:6]
	v_fma_f64 v[3:4], v[5:6], v[1:2], v[7:8]
	v_div_scale_f64 v[13:14], s[8:9], v[3:4], v[3:4], 1.0
	s_mov_b64 s[8:9], 0
	v_rcp_f64_e32 v[15:16], v[13:14]
	v_fma_f64 v[17:18], -v[13:14], v[15:16], 1.0
	v_fma_f64 v[15:16], v[15:16], v[17:18], v[15:16]
	v_div_scale_f64 v[17:18], vcc, 1.0, v[3:4], 1.0
	v_fma_f64 v[19:20], -v[13:14], v[15:16], 1.0
	v_fma_f64 v[15:16], v[15:16], v[19:20], v[15:16]
	v_mul_f64 v[19:20], v[17:18], v[15:16]
	v_fma_f64 v[13:14], -v[13:14], v[19:20], v[17:18]
	v_div_fmas_f64 v[13:14], v[13:14], v[15:16], v[19:20]
	v_fma_f64 v[15:16], v[1:2], v[9:10], v[11:12]
	v_div_fixup_f64 v[3:4], v[13:14], v[3:4], 1.0
	v_fma_f64 v[13:14], v[1:2], v[11:12], -v[9:10]
	v_mul_f64 v[1:2], v[15:16], v[3:4]
	v_mul_f64 v[3:4], v[13:14], v[3:4]
.LBB223_30:                             ;   in Loop: Header=BB223_14 Depth=1
	s_andn2_b64 vcc, exec, s[8:9]
	s_cbranch_vccnz .LBB223_32
; %bb.31:                               ;   in Loop: Header=BB223_14 Depth=1
	v_div_scale_f64 v[1:2], s[8:9], v[5:6], v[5:6], v[7:8]
	v_rcp_f64_e32 v[3:4], v[1:2]
	v_fma_f64 v[13:14], -v[1:2], v[3:4], 1.0
	v_fma_f64 v[3:4], v[3:4], v[13:14], v[3:4]
	v_div_scale_f64 v[13:14], vcc, v[7:8], v[5:6], v[7:8]
	v_fma_f64 v[15:16], -v[1:2], v[3:4], 1.0
	v_fma_f64 v[3:4], v[3:4], v[15:16], v[3:4]
	v_mul_f64 v[15:16], v[13:14], v[3:4]
	v_fma_f64 v[1:2], -v[1:2], v[15:16], v[13:14]
	v_div_fmas_f64 v[1:2], v[1:2], v[3:4], v[15:16]
	v_div_fixup_f64 v[1:2], v[1:2], v[5:6], v[7:8]
	v_fma_f64 v[3:4], v[7:8], v[1:2], v[5:6]
	v_div_scale_f64 v[5:6], s[8:9], v[3:4], v[3:4], 1.0
	v_rcp_f64_e32 v[7:8], v[5:6]
	v_fma_f64 v[13:14], -v[5:6], v[7:8], 1.0
	v_fma_f64 v[7:8], v[7:8], v[13:14], v[7:8]
	v_div_scale_f64 v[13:14], vcc, 1.0, v[3:4], 1.0
	v_fma_f64 v[15:16], -v[5:6], v[7:8], 1.0
	v_fma_f64 v[7:8], v[7:8], v[15:16], v[7:8]
	v_mul_f64 v[15:16], v[13:14], v[7:8]
	v_fma_f64 v[5:6], -v[5:6], v[15:16], v[13:14]
	v_div_fmas_f64 v[5:6], v[5:6], v[7:8], v[15:16]
	v_fma_f64 v[7:8], v[1:2], v[11:12], v[9:10]
	v_div_fixup_f64 v[3:4], v[5:6], v[3:4], 1.0
	v_fma_f64 v[5:6], -v[1:2], v[9:10], v[11:12]
	v_mul_f64 v[1:2], v[7:8], v[3:4]
	v_mul_f64 v[3:4], v[5:6], v[3:4]
.LBB223_32:                             ;   in Loop: Header=BB223_14 Depth=1
	s_add_i32 s14, s11, 4
	s_add_i32 s8, s11, 7
	;; [unrolled: 1-line block ×3, first 2 shown]
	s_cmp_ge_i32 s8, s25
	ds_write_b128 v27, v[1:4]
	s_cbranch_scc1 .LBB223_34
; %bb.33:                               ;   in Loop: Header=BB223_14 Depth=1
	s_mov_b32 s11, s14
	s_branch .LBB223_14
.LBB223_34:
	s_cmp_ge_i32 s14, s25
	s_cbranch_scc1 .LBB223_43
; %bb.35:
	v_mov_b32_e32 v1, 0x1900
	s_lshl_b32 s10, s14, 4
	v_lshl_add_u32 v13, v0, 4, v1
	s_branch .LBB223_37
.LBB223_36:                             ;   in Loop: Header=BB223_37 Depth=1
	s_add_i32 s14, s14, 1
	s_add_i32 s10, s10, 16
	s_cmp_ge_i32 s14, s25
	ds_write_b128 v14, v[9:12]
	s_cbranch_scc1 .LBB223_43
.LBB223_37:                             ; =>This Loop Header: Depth=1
                                        ;     Child Loop BB223_38 Depth 2
	s_mul_i32 s8, s14, 0x140
	v_add_u32_e32 v14, s8, v25
	ds_read_b128 v[1:4], v14
	s_cmp_eq_u32 s14, 0
	v_mov_b32_e32 v5, v13
	s_mov_b32 s9, s10
	s_mov_b32 s11, s14
	s_cbranch_scc1 .LBB223_39
.LBB223_38:                             ;   Parent Loop BB223_37 Depth=1
                                        ; =>  This Inner Loop Header: Depth=2
	v_mov_b32_e32 v10, s9
	ds_read_b128 v[6:9], v5
	ds_read_b128 v[15:18], v10
	s_add_i32 s11, s11, -1
	s_addk_i32 s9, 0x140
	s_cmp_eq_u32 s11, 0
	v_add_u32_e32 v5, 0x140, v5
	s_waitcnt lgkmcnt(0)
	v_mul_f64 v[10:11], v[17:18], v[8:9]
	v_mul_f64 v[8:9], v[15:16], v[8:9]
	v_fma_f64 v[10:11], v[15:16], v[6:7], -v[10:11]
	v_fma_f64 v[6:7], v[17:18], v[6:7], v[8:9]
	v_add_f64 v[1:2], v[1:2], -v[10:11]
	v_add_f64 v[3:4], v[3:4], -v[6:7]
	s_cbranch_scc0 .LBB223_38
.LBB223_39:                             ;   in Loop: Header=BB223_37 Depth=1
	s_lshl_b32 s9, s14, 4
	s_add_i32 s8, s9, s8
	v_mov_b32_e32 v5, s8
	ds_read_b128 v[5:8], v5
	s_mov_b64 s[8:9], -1
                                        ; implicit-def: $vgpr9_vgpr10
	s_waitcnt lgkmcnt(0)
	v_cmp_ngt_f64_e64 s[16:17], |v[5:6]|, |v[7:8]|
	s_and_b64 vcc, exec, s[16:17]
	s_cbranch_vccz .LBB223_41
; %bb.40:                               ;   in Loop: Header=BB223_37 Depth=1
	v_div_scale_f64 v[9:10], s[8:9], v[7:8], v[7:8], v[5:6]
	v_rcp_f64_e32 v[11:12], v[9:10]
	v_fma_f64 v[15:16], -v[9:10], v[11:12], 1.0
	v_fma_f64 v[11:12], v[11:12], v[15:16], v[11:12]
	v_div_scale_f64 v[15:16], vcc, v[5:6], v[7:8], v[5:6]
	v_fma_f64 v[17:18], -v[9:10], v[11:12], 1.0
	v_fma_f64 v[11:12], v[11:12], v[17:18], v[11:12]
	v_mul_f64 v[17:18], v[15:16], v[11:12]
	v_fma_f64 v[9:10], -v[9:10], v[17:18], v[15:16]
	v_div_fmas_f64 v[9:10], v[9:10], v[11:12], v[17:18]
	v_div_fixup_f64 v[9:10], v[9:10], v[7:8], v[5:6]
	v_fma_f64 v[11:12], v[5:6], v[9:10], v[7:8]
	v_div_scale_f64 v[15:16], s[8:9], v[11:12], v[11:12], 1.0
	s_mov_b64 s[8:9], 0
	v_rcp_f64_e32 v[17:18], v[15:16]
	v_fma_f64 v[19:20], -v[15:16], v[17:18], 1.0
	v_fma_f64 v[17:18], v[17:18], v[19:20], v[17:18]
	v_div_scale_f64 v[19:20], vcc, 1.0, v[11:12], 1.0
	v_fma_f64 v[21:22], -v[15:16], v[17:18], 1.0
	v_fma_f64 v[17:18], v[17:18], v[21:22], v[17:18]
	v_mul_f64 v[21:22], v[19:20], v[17:18]
	v_fma_f64 v[15:16], -v[15:16], v[21:22], v[19:20]
	v_div_fmas_f64 v[15:16], v[15:16], v[17:18], v[21:22]
	v_fma_f64 v[17:18], v[1:2], v[9:10], v[3:4]
	v_div_fixup_f64 v[11:12], v[15:16], v[11:12], 1.0
	v_fma_f64 v[15:16], v[3:4], v[9:10], -v[1:2]
	v_mul_f64 v[9:10], v[17:18], v[11:12]
	v_mul_f64 v[11:12], v[15:16], v[11:12]
.LBB223_41:                             ;   in Loop: Header=BB223_37 Depth=1
	s_andn2_b64 vcc, exec, s[8:9]
	s_cbranch_vccnz .LBB223_36
; %bb.42:                               ;   in Loop: Header=BB223_37 Depth=1
	v_div_scale_f64 v[9:10], s[8:9], v[5:6], v[5:6], v[7:8]
	v_rcp_f64_e32 v[11:12], v[9:10]
	v_fma_f64 v[15:16], -v[9:10], v[11:12], 1.0
	v_fma_f64 v[11:12], v[11:12], v[15:16], v[11:12]
	v_div_scale_f64 v[15:16], vcc, v[7:8], v[5:6], v[7:8]
	v_fma_f64 v[17:18], -v[9:10], v[11:12], 1.0
	v_fma_f64 v[11:12], v[11:12], v[17:18], v[11:12]
	v_mul_f64 v[17:18], v[15:16], v[11:12]
	v_fma_f64 v[9:10], -v[9:10], v[17:18], v[15:16]
	v_div_fmas_f64 v[9:10], v[9:10], v[11:12], v[17:18]
	v_div_fixup_f64 v[9:10], v[9:10], v[5:6], v[7:8]
	v_fma_f64 v[5:6], v[7:8], v[9:10], v[5:6]
	v_div_scale_f64 v[7:8], s[8:9], v[5:6], v[5:6], 1.0
	v_rcp_f64_e32 v[11:12], v[7:8]
	v_fma_f64 v[15:16], -v[7:8], v[11:12], 1.0
	v_fma_f64 v[11:12], v[11:12], v[15:16], v[11:12]
	v_div_scale_f64 v[15:16], vcc, 1.0, v[5:6], 1.0
	v_fma_f64 v[17:18], -v[7:8], v[11:12], 1.0
	v_fma_f64 v[11:12], v[11:12], v[17:18], v[11:12]
	v_mul_f64 v[17:18], v[15:16], v[11:12]
	v_fma_f64 v[7:8], -v[7:8], v[17:18], v[15:16]
	v_div_fmas_f64 v[7:8], v[7:8], v[11:12], v[17:18]
	v_fma_f64 v[11:12], v[3:4], v[9:10], v[1:2]
	v_fma_f64 v[1:2], -v[1:2], v[9:10], v[3:4]
	v_div_fixup_f64 v[5:6], v[7:8], v[5:6], 1.0
	v_mul_f64 v[9:10], v[11:12], v[5:6]
	v_mul_f64 v[11:12], v[1:2], v[5:6]
	s_branch .LBB223_36
.LBB223_43:
	s_mov_b64 s[8:9], 0
.LBB223_44:
	s_and_b64 vcc, exec, s[8:9]
	s_cbranch_vccz .LBB223_76
; %bb.45:
	s_andn2_b64 vcc, exec, s[6:7]
	s_mov_b32 s14, s13
	s_cbranch_vccnz .LBB223_67
; %bb.46:
	s_mul_i32 s8, s25, 0x150
	s_add_i32 s10, s8, 0xfffffe80
	s_mul_i32 s8, s25, 0x140
	v_lshl_add_u32 v1, v0, 4, s8
	v_add_u32_e32 v26, 0x17c0, v1
	s_mov_b32 s11, s13
.LBB223_47:                             ; =>This Loop Header: Depth=1
                                        ;     Child Loop BB223_48 Depth 2
	s_mul_i32 s8, s11, 0x140
	v_add_u32_e32 v30, s8, v25
	v_add_u32_e32 v28, 0xfffffd80, v30
	s_add_i32 s9, s8, 0xfffffc40
	v_add_u32_e32 v29, 0xfffffec0, v30
	ds_read_b128 v[17:20], v30
	ds_read_b128 v[13:16], v29
	v_add_u32_e32 v27, s9, v25
	ds_read_b128 v[5:8], v28
	ds_read_b128 v[1:4], v27
	s_cmp_le_i32 s13, s11
	v_mov_b32_e32 v9, v26
	s_mov_b32 s9, s10
	s_mov_b32 s14, s13
	s_cbranch_scc1 .LBB223_49
.LBB223_48:                             ;   Parent Loop BB223_47 Depth=1
                                        ; =>  This Inner Loop Header: Depth=2
	v_mov_b32_e32 v10, s9
	ds_read_b128 v[21:24], v9
	ds_read_b128 v[31:34], v10 offset:48
	ds_read_b128 v[35:38], v10 offset:32
	ds_read_b128 v[39:42], v10
	ds_read_b128 v[43:46], v10 offset:16
	s_add_i32 s14, s14, -1
	s_addk_i32 s9, 0xfec0
	s_cmp_le_i32 s14, s11
	s_waitcnt lgkmcnt(3)
	v_mul_f64 v[10:11], v[23:24], v[33:34]
	v_mul_f64 v[33:34], v[21:22], v[33:34]
	s_waitcnt lgkmcnt(2)
	v_mul_f64 v[47:48], v[23:24], v[37:38]
	v_mul_f64 v[37:38], v[21:22], v[37:38]
	;; [unrolled: 3-line block ×3, first 2 shown]
	v_mul_f64 v[51:52], v[23:24], v[41:42]
	v_mul_f64 v[41:42], v[21:22], v[41:42]
	v_fma_f64 v[10:11], v[21:22], v[31:32], -v[10:11]
	v_fma_f64 v[31:32], v[23:24], v[31:32], v[33:34]
	v_fma_f64 v[33:34], v[21:22], v[35:36], -v[47:48]
	v_fma_f64 v[35:36], v[23:24], v[35:36], v[37:38]
	;; [unrolled: 2-line block ×4, first 2 shown]
	v_add_f64 v[17:18], v[17:18], -v[10:11]
	v_add_f64 v[19:20], v[19:20], -v[31:32]
	;; [unrolled: 1-line block ×8, first 2 shown]
	v_add_u32_e32 v9, 0xfffffec0, v9
	s_cbranch_scc0 .LBB223_48
.LBB223_49:                             ;   in Loop: Header=BB223_47 Depth=1
	s_lshl_b32 s15, s11, 4
	s_add_i32 s15, s15, s8
	v_mov_b32_e32 v9, s15
	ds_read_b128 v[21:24], v9
	s_add_i32 s14, s11, -3
	s_mov_b64 s[8:9], -1
                                        ; implicit-def: $vgpr11_vgpr12
	s_waitcnt lgkmcnt(0)
	v_cmp_ngt_f64_e64 s[16:17], |v[21:22]|, |v[23:24]|
	s_and_b64 vcc, exec, s[16:17]
	s_cbranch_vccz .LBB223_51
; %bb.50:                               ;   in Loop: Header=BB223_47 Depth=1
	v_div_scale_f64 v[9:10], s[8:9], v[23:24], v[23:24], v[21:22]
	v_rcp_f64_e32 v[11:12], v[9:10]
	v_fma_f64 v[31:32], -v[9:10], v[11:12], 1.0
	v_fma_f64 v[11:12], v[11:12], v[31:32], v[11:12]
	v_div_scale_f64 v[31:32], vcc, v[21:22], v[23:24], v[21:22]
	v_fma_f64 v[33:34], -v[9:10], v[11:12], 1.0
	v_fma_f64 v[11:12], v[11:12], v[33:34], v[11:12]
	v_mul_f64 v[33:34], v[31:32], v[11:12]
	v_fma_f64 v[9:10], -v[9:10], v[33:34], v[31:32]
	v_div_fmas_f64 v[9:10], v[9:10], v[11:12], v[33:34]
	v_div_fixup_f64 v[9:10], v[9:10], v[23:24], v[21:22]
	v_fma_f64 v[11:12], v[21:22], v[9:10], v[23:24]
	v_div_scale_f64 v[31:32], s[8:9], v[11:12], v[11:12], 1.0
	s_mov_b64 s[8:9], 0
	v_rcp_f64_e32 v[33:34], v[31:32]
	v_fma_f64 v[35:36], -v[31:32], v[33:34], 1.0
	v_fma_f64 v[33:34], v[33:34], v[35:36], v[33:34]
	v_div_scale_f64 v[35:36], vcc, 1.0, v[11:12], 1.0
	v_fma_f64 v[37:38], -v[31:32], v[33:34], 1.0
	v_fma_f64 v[33:34], v[33:34], v[37:38], v[33:34]
	v_mul_f64 v[37:38], v[35:36], v[33:34]
	v_fma_f64 v[31:32], -v[31:32], v[37:38], v[35:36]
	v_div_fmas_f64 v[31:32], v[31:32], v[33:34], v[37:38]
	v_fma_f64 v[33:34], v[17:18], v[9:10], v[19:20]
	v_div_fixup_f64 v[11:12], v[31:32], v[11:12], 1.0
	v_fma_f64 v[31:32], v[19:20], v[9:10], -v[17:18]
	v_mul_f64 v[9:10], v[33:34], v[11:12]
	v_mul_f64 v[11:12], v[31:32], v[11:12]
.LBB223_51:                             ;   in Loop: Header=BB223_47 Depth=1
	s_andn2_b64 vcc, exec, s[8:9]
	s_cbranch_vccnz .LBB223_53
; %bb.52:                               ;   in Loop: Header=BB223_47 Depth=1
	v_div_scale_f64 v[9:10], s[8:9], v[21:22], v[21:22], v[23:24]
	v_rcp_f64_e32 v[11:12], v[9:10]
	v_fma_f64 v[31:32], -v[9:10], v[11:12], 1.0
	v_fma_f64 v[11:12], v[11:12], v[31:32], v[11:12]
	v_div_scale_f64 v[31:32], vcc, v[23:24], v[21:22], v[23:24]
	v_fma_f64 v[33:34], -v[9:10], v[11:12], 1.0
	v_fma_f64 v[11:12], v[11:12], v[33:34], v[11:12]
	v_mul_f64 v[33:34], v[31:32], v[11:12]
	v_fma_f64 v[9:10], -v[9:10], v[33:34], v[31:32]
	v_div_fmas_f64 v[9:10], v[9:10], v[11:12], v[33:34]
	v_div_fixup_f64 v[9:10], v[9:10], v[21:22], v[23:24]
	v_fma_f64 v[11:12], v[23:24], v[9:10], v[21:22]
	v_div_scale_f64 v[21:22], s[8:9], v[11:12], v[11:12], 1.0
	v_rcp_f64_e32 v[23:24], v[21:22]
	v_fma_f64 v[31:32], -v[21:22], v[23:24], 1.0
	v_fma_f64 v[23:24], v[23:24], v[31:32], v[23:24]
	v_div_scale_f64 v[31:32], vcc, 1.0, v[11:12], 1.0
	v_fma_f64 v[33:34], -v[21:22], v[23:24], 1.0
	v_fma_f64 v[23:24], v[23:24], v[33:34], v[23:24]
	v_mul_f64 v[33:34], v[31:32], v[23:24]
	v_fma_f64 v[21:22], -v[21:22], v[33:34], v[31:32]
	v_div_fmas_f64 v[21:22], v[21:22], v[23:24], v[33:34]
	v_fma_f64 v[23:24], v[19:20], v[9:10], v[17:18]
	v_fma_f64 v[17:18], -v[17:18], v[9:10], v[19:20]
	v_div_fixup_f64 v[11:12], v[21:22], v[11:12], 1.0
	v_mul_f64 v[9:10], v[23:24], v[11:12]
	v_mul_f64 v[11:12], v[17:18], v[11:12]
.LBB223_53:                             ;   in Loop: Header=BB223_47 Depth=1
	s_add_i32 s8, s15, -16
	v_mov_b32_e32 v17, s8
	ds_read_b128 v[21:24], v17
	s_add_i32 s16, s15, 0xfffffeb0
	v_mov_b32_e32 v17, s16
	ds_read_b128 v[17:20], v17
	s_mov_b64 s[8:9], -1
	s_waitcnt lgkmcnt(1)
	v_mul_f64 v[31:32], v[11:12], v[23:24]
	v_mul_f64 v[23:24], v[9:10], v[23:24]
	ds_write_b128 v30, v[9:12]
	s_waitcnt lgkmcnt(1)
	v_cmp_ngt_f64_e64 s[22:23], |v[17:18]|, |v[19:20]|
	v_fma_f64 v[31:32], v[9:10], v[21:22], -v[31:32]
	v_fma_f64 v[23:24], v[11:12], v[21:22], v[23:24]
	s_and_b64 vcc, exec, s[22:23]
	v_add_f64 v[21:22], v[13:14], -v[31:32]
	v_add_f64 v[23:24], v[15:16], -v[23:24]
                                        ; implicit-def: $vgpr15_vgpr16
	s_cbranch_vccz .LBB223_55
; %bb.54:                               ;   in Loop: Header=BB223_47 Depth=1
	v_div_scale_f64 v[13:14], s[8:9], v[19:20], v[19:20], v[17:18]
	v_rcp_f64_e32 v[15:16], v[13:14]
	v_fma_f64 v[30:31], -v[13:14], v[15:16], 1.0
	v_fma_f64 v[15:16], v[15:16], v[30:31], v[15:16]
	v_div_scale_f64 v[30:31], vcc, v[17:18], v[19:20], v[17:18]
	v_fma_f64 v[32:33], -v[13:14], v[15:16], 1.0
	v_fma_f64 v[15:16], v[15:16], v[32:33], v[15:16]
	v_mul_f64 v[32:33], v[30:31], v[15:16]
	v_fma_f64 v[13:14], -v[13:14], v[32:33], v[30:31]
	v_div_fmas_f64 v[13:14], v[13:14], v[15:16], v[32:33]
	v_div_fixup_f64 v[13:14], v[13:14], v[19:20], v[17:18]
	v_fma_f64 v[15:16], v[17:18], v[13:14], v[19:20]
	v_div_scale_f64 v[30:31], s[8:9], v[15:16], v[15:16], 1.0
	s_mov_b64 s[8:9], 0
	v_rcp_f64_e32 v[32:33], v[30:31]
	v_fma_f64 v[34:35], -v[30:31], v[32:33], 1.0
	v_fma_f64 v[32:33], v[32:33], v[34:35], v[32:33]
	v_div_scale_f64 v[34:35], vcc, 1.0, v[15:16], 1.0
	v_fma_f64 v[36:37], -v[30:31], v[32:33], 1.0
	v_fma_f64 v[32:33], v[32:33], v[36:37], v[32:33]
	v_mul_f64 v[36:37], v[34:35], v[32:33]
	v_fma_f64 v[30:31], -v[30:31], v[36:37], v[34:35]
	v_div_fmas_f64 v[30:31], v[30:31], v[32:33], v[36:37]
	v_fma_f64 v[32:33], v[13:14], v[21:22], v[23:24]
	v_div_fixup_f64 v[15:16], v[30:31], v[15:16], 1.0
	v_fma_f64 v[30:31], v[13:14], v[23:24], -v[21:22]
	v_mul_f64 v[13:14], v[32:33], v[15:16]
	v_mul_f64 v[15:16], v[30:31], v[15:16]
.LBB223_55:                             ;   in Loop: Header=BB223_47 Depth=1
	s_andn2_b64 vcc, exec, s[8:9]
	s_cbranch_vccnz .LBB223_57
; %bb.56:                               ;   in Loop: Header=BB223_47 Depth=1
	v_div_scale_f64 v[13:14], s[8:9], v[17:18], v[17:18], v[19:20]
	v_rcp_f64_e32 v[15:16], v[13:14]
	v_fma_f64 v[30:31], -v[13:14], v[15:16], 1.0
	v_fma_f64 v[15:16], v[15:16], v[30:31], v[15:16]
	v_div_scale_f64 v[30:31], vcc, v[19:20], v[17:18], v[19:20]
	v_fma_f64 v[32:33], -v[13:14], v[15:16], 1.0
	v_fma_f64 v[15:16], v[15:16], v[32:33], v[15:16]
	v_mul_f64 v[32:33], v[30:31], v[15:16]
	v_fma_f64 v[13:14], -v[13:14], v[32:33], v[30:31]
	v_div_fmas_f64 v[13:14], v[13:14], v[15:16], v[32:33]
	v_div_fixup_f64 v[13:14], v[13:14], v[17:18], v[19:20]
	v_fma_f64 v[15:16], v[19:20], v[13:14], v[17:18]
	v_div_scale_f64 v[17:18], s[8:9], v[15:16], v[15:16], 1.0
	v_rcp_f64_e32 v[19:20], v[17:18]
	v_fma_f64 v[30:31], -v[17:18], v[19:20], 1.0
	v_fma_f64 v[19:20], v[19:20], v[30:31], v[19:20]
	v_div_scale_f64 v[30:31], vcc, 1.0, v[15:16], 1.0
	v_fma_f64 v[32:33], -v[17:18], v[19:20], 1.0
	v_fma_f64 v[19:20], v[19:20], v[32:33], v[19:20]
	v_mul_f64 v[32:33], v[30:31], v[19:20]
	v_fma_f64 v[17:18], -v[17:18], v[32:33], v[30:31]
	v_div_fmas_f64 v[17:18], v[17:18], v[19:20], v[32:33]
	v_fma_f64 v[19:20], v[13:14], v[23:24], v[21:22]
	v_div_fixup_f64 v[15:16], v[17:18], v[15:16], 1.0
	v_fma_f64 v[17:18], -v[13:14], v[21:22], v[23:24]
	v_mul_f64 v[13:14], v[19:20], v[15:16]
	v_mul_f64 v[15:16], v[17:18], v[15:16]
.LBB223_57:                             ;   in Loop: Header=BB223_47 Depth=1
	s_sub_i32 s17, s15, 32
	v_mov_b32_e32 v17, s17
	s_add_i32 s8, s11, -1
	ds_read_b128 v[17:20], v17
	s_add_i32 s9, s11, -2
	s_lshl_b32 s8, s8, 4
	s_sub_i32 s22, s16, s8
	s_lshl_b32 s16, s9, 4
	s_add_i32 s8, s22, s16
	v_mov_b32_e32 v21, s8
	ds_read_b128 v[21:24], v21
	s_waitcnt lgkmcnt(1)
	v_mul_f64 v[30:31], v[11:12], v[19:20]
	v_mul_f64 v[19:20], v[9:10], v[19:20]
	s_add_i32 s17, s15, 0xfffffd60
	s_mov_b64 s[8:9], -1
	s_waitcnt lgkmcnt(0)
	v_mul_f64 v[32:33], v[15:16], v[23:24]
	v_mul_f64 v[23:24], v[13:14], v[23:24]
	ds_write_b128 v29, v[13:16]
	v_fma_f64 v[30:31], v[9:10], v[17:18], -v[30:31]
	v_fma_f64 v[34:35], v[11:12], v[17:18], v[19:20]
	v_mov_b32_e32 v17, s17
	ds_read_b128 v[17:20], v17
	v_fma_f64 v[32:33], v[13:14], v[21:22], -v[32:33]
	v_fma_f64 v[23:24], v[15:16], v[21:22], v[23:24]
	v_add_f64 v[5:6], v[5:6], -v[30:31]
	v_add_f64 v[7:8], v[7:8], -v[34:35]
	s_waitcnt lgkmcnt(0)
	v_cmp_ngt_f64_e64 s[26:27], |v[17:18]|, |v[19:20]|
	v_add_f64 v[21:22], v[5:6], -v[32:33]
	v_add_f64 v[23:24], v[7:8], -v[23:24]
	s_and_b64 vcc, exec, s[26:27]
                                        ; implicit-def: $vgpr7_vgpr8
	s_cbranch_vccz .LBB223_59
; %bb.58:                               ;   in Loop: Header=BB223_47 Depth=1
	v_div_scale_f64 v[5:6], s[8:9], v[19:20], v[19:20], v[17:18]
	v_rcp_f64_e32 v[7:8], v[5:6]
	v_fma_f64 v[29:30], -v[5:6], v[7:8], 1.0
	v_fma_f64 v[7:8], v[7:8], v[29:30], v[7:8]
	v_div_scale_f64 v[29:30], vcc, v[17:18], v[19:20], v[17:18]
	v_fma_f64 v[31:32], -v[5:6], v[7:8], 1.0
	v_fma_f64 v[7:8], v[7:8], v[31:32], v[7:8]
	v_mul_f64 v[31:32], v[29:30], v[7:8]
	v_fma_f64 v[5:6], -v[5:6], v[31:32], v[29:30]
	v_div_fmas_f64 v[5:6], v[5:6], v[7:8], v[31:32]
	v_div_fixup_f64 v[5:6], v[5:6], v[19:20], v[17:18]
	v_fma_f64 v[7:8], v[17:18], v[5:6], v[19:20]
	v_div_scale_f64 v[29:30], s[8:9], v[7:8], v[7:8], 1.0
	s_mov_b64 s[8:9], 0
	v_rcp_f64_e32 v[31:32], v[29:30]
	v_fma_f64 v[33:34], -v[29:30], v[31:32], 1.0
	v_fma_f64 v[31:32], v[31:32], v[33:34], v[31:32]
	v_div_scale_f64 v[33:34], vcc, 1.0, v[7:8], 1.0
	v_fma_f64 v[35:36], -v[29:30], v[31:32], 1.0
	v_fma_f64 v[31:32], v[31:32], v[35:36], v[31:32]
	v_mul_f64 v[35:36], v[33:34], v[31:32]
	v_fma_f64 v[29:30], -v[29:30], v[35:36], v[33:34]
	v_div_fmas_f64 v[29:30], v[29:30], v[31:32], v[35:36]
	v_fma_f64 v[31:32], v[5:6], v[21:22], v[23:24]
	v_div_fixup_f64 v[7:8], v[29:30], v[7:8], 1.0
	v_fma_f64 v[29:30], v[5:6], v[23:24], -v[21:22]
	v_mul_f64 v[5:6], v[31:32], v[7:8]
	v_mul_f64 v[7:8], v[29:30], v[7:8]
.LBB223_59:                             ;   in Loop: Header=BB223_47 Depth=1
	s_andn2_b64 vcc, exec, s[8:9]
	s_cbranch_vccnz .LBB223_61
; %bb.60:                               ;   in Loop: Header=BB223_47 Depth=1
	v_div_scale_f64 v[5:6], s[8:9], v[17:18], v[17:18], v[19:20]
	v_rcp_f64_e32 v[7:8], v[5:6]
	v_fma_f64 v[29:30], -v[5:6], v[7:8], 1.0
	v_fma_f64 v[7:8], v[7:8], v[29:30], v[7:8]
	v_div_scale_f64 v[29:30], vcc, v[19:20], v[17:18], v[19:20]
	v_fma_f64 v[31:32], -v[5:6], v[7:8], 1.0
	v_fma_f64 v[7:8], v[7:8], v[31:32], v[7:8]
	v_mul_f64 v[31:32], v[29:30], v[7:8]
	v_fma_f64 v[5:6], -v[5:6], v[31:32], v[29:30]
	v_div_fmas_f64 v[5:6], v[5:6], v[7:8], v[31:32]
	v_div_fixup_f64 v[5:6], v[5:6], v[17:18], v[19:20]
	v_fma_f64 v[7:8], v[19:20], v[5:6], v[17:18]
	v_div_scale_f64 v[17:18], s[8:9], v[7:8], v[7:8], 1.0
	v_rcp_f64_e32 v[19:20], v[17:18]
	v_fma_f64 v[29:30], -v[17:18], v[19:20], 1.0
	v_fma_f64 v[19:20], v[19:20], v[29:30], v[19:20]
	v_div_scale_f64 v[29:30], vcc, 1.0, v[7:8], 1.0
	v_fma_f64 v[31:32], -v[17:18], v[19:20], 1.0
	v_fma_f64 v[19:20], v[19:20], v[31:32], v[19:20]
	v_mul_f64 v[31:32], v[29:30], v[19:20]
	v_fma_f64 v[17:18], -v[17:18], v[31:32], v[29:30]
	v_div_fmas_f64 v[17:18], v[17:18], v[19:20], v[31:32]
	v_fma_f64 v[19:20], v[5:6], v[23:24], v[21:22]
	v_div_fixup_f64 v[7:8], v[17:18], v[7:8], 1.0
	v_fma_f64 v[17:18], -v[5:6], v[21:22], v[23:24]
	v_mul_f64 v[5:6], v[19:20], v[7:8]
	v_mul_f64 v[7:8], v[17:18], v[7:8]
.LBB223_61:                             ;   in Loop: Header=BB223_47 Depth=1
	s_sub_i32 s8, s15, 48
	v_mov_b32_e32 v17, s8
	ds_read_b128 v[17:20], v17
	s_lshl_b32 s8, s14, 4
	s_add_i32 s9, s22, s8
	v_mov_b32_e32 v21, s9
	s_sub_i32 s9, s17, s16
	s_add_i32 s8, s9, s8
	v_mov_b32_e32 v29, s8
	ds_read_b128 v[29:32], v29
	s_waitcnt lgkmcnt(1)
	v_mul_f64 v[33:34], v[11:12], v[19:20]
	v_mul_f64 v[19:20], v[9:10], v[19:20]
	ds_read_b128 v[21:24], v21
	s_add_i32 s14, s17, 0xfffffeb0
	s_mov_b64 s[8:9], -1
	ds_write_b128 v28, v[5:8]
	v_fma_f64 v[33:34], v[9:10], v[17:18], -v[33:34]
	v_mov_b32_e32 v9, s14
	v_fma_f64 v[17:18], v[11:12], v[17:18], v[19:20]
	ds_read_b128 v[9:12], v9
	s_waitcnt lgkmcnt(2)
	v_mul_f64 v[35:36], v[15:16], v[23:24]
	v_mul_f64 v[23:24], v[13:14], v[23:24]
	;; [unrolled: 1-line block ×4, first 2 shown]
	v_add_f64 v[1:2], v[1:2], -v[33:34]
	s_waitcnt lgkmcnt(0)
	v_cmp_ngt_f64_e64 s[14:15], |v[9:10]|, |v[11:12]|
	v_add_f64 v[3:4], v[3:4], -v[17:18]
	v_fma_f64 v[13:14], v[13:14], v[21:22], -v[35:36]
	v_fma_f64 v[15:16], v[15:16], v[21:22], v[23:24]
	v_fma_f64 v[17:18], v[5:6], v[29:30], -v[19:20]
	v_fma_f64 v[19:20], v[7:8], v[29:30], v[31:32]
	s_and_b64 vcc, exec, s[14:15]
	v_add_f64 v[1:2], v[1:2], -v[13:14]
	v_add_f64 v[3:4], v[3:4], -v[15:16]
	;; [unrolled: 1-line block ×4, first 2 shown]
                                        ; implicit-def: $vgpr3_vgpr4
	s_cbranch_vccz .LBB223_63
; %bb.62:                               ;   in Loop: Header=BB223_47 Depth=1
	v_div_scale_f64 v[1:2], s[8:9], v[11:12], v[11:12], v[9:10]
	v_rcp_f64_e32 v[3:4], v[1:2]
	v_fma_f64 v[5:6], -v[1:2], v[3:4], 1.0
	v_fma_f64 v[3:4], v[3:4], v[5:6], v[3:4]
	v_div_scale_f64 v[5:6], vcc, v[9:10], v[11:12], v[9:10]
	v_fma_f64 v[7:8], -v[1:2], v[3:4], 1.0
	v_fma_f64 v[3:4], v[3:4], v[7:8], v[3:4]
	v_mul_f64 v[7:8], v[5:6], v[3:4]
	v_fma_f64 v[1:2], -v[1:2], v[7:8], v[5:6]
	v_div_fmas_f64 v[1:2], v[1:2], v[3:4], v[7:8]
	v_div_fixup_f64 v[1:2], v[1:2], v[11:12], v[9:10]
	v_fma_f64 v[3:4], v[9:10], v[1:2], v[11:12]
	v_div_scale_f64 v[5:6], s[8:9], v[3:4], v[3:4], 1.0
	s_mov_b64 s[8:9], 0
	v_rcp_f64_e32 v[7:8], v[5:6]
	v_fma_f64 v[17:18], -v[5:6], v[7:8], 1.0
	v_fma_f64 v[7:8], v[7:8], v[17:18], v[7:8]
	v_div_scale_f64 v[17:18], vcc, 1.0, v[3:4], 1.0
	v_fma_f64 v[19:20], -v[5:6], v[7:8], 1.0
	v_fma_f64 v[7:8], v[7:8], v[19:20], v[7:8]
	v_mul_f64 v[19:20], v[17:18], v[7:8]
	v_fma_f64 v[5:6], -v[5:6], v[19:20], v[17:18]
	v_div_fmas_f64 v[5:6], v[5:6], v[7:8], v[19:20]
	v_fma_f64 v[7:8], v[1:2], v[13:14], v[15:16]
	v_div_fixup_f64 v[3:4], v[5:6], v[3:4], 1.0
	v_fma_f64 v[5:6], v[1:2], v[15:16], -v[13:14]
	v_mul_f64 v[1:2], v[7:8], v[3:4]
	v_mul_f64 v[3:4], v[5:6], v[3:4]
.LBB223_63:                             ;   in Loop: Header=BB223_47 Depth=1
	s_andn2_b64 vcc, exec, s[8:9]
	s_cbranch_vccnz .LBB223_65
; %bb.64:                               ;   in Loop: Header=BB223_47 Depth=1
	v_div_scale_f64 v[1:2], s[8:9], v[9:10], v[9:10], v[11:12]
	v_rcp_f64_e32 v[3:4], v[1:2]
	v_fma_f64 v[5:6], -v[1:2], v[3:4], 1.0
	v_fma_f64 v[3:4], v[3:4], v[5:6], v[3:4]
	v_div_scale_f64 v[5:6], vcc, v[11:12], v[9:10], v[11:12]
	v_fma_f64 v[7:8], -v[1:2], v[3:4], 1.0
	v_fma_f64 v[3:4], v[3:4], v[7:8], v[3:4]
	v_mul_f64 v[7:8], v[5:6], v[3:4]
	v_fma_f64 v[1:2], -v[1:2], v[7:8], v[5:6]
	v_div_fmas_f64 v[1:2], v[1:2], v[3:4], v[7:8]
	v_div_fixup_f64 v[1:2], v[1:2], v[9:10], v[11:12]
	v_fma_f64 v[3:4], v[11:12], v[1:2], v[9:10]
	v_div_scale_f64 v[5:6], s[8:9], v[3:4], v[3:4], 1.0
	v_rcp_f64_e32 v[7:8], v[5:6]
	v_fma_f64 v[9:10], -v[5:6], v[7:8], 1.0
	v_fma_f64 v[7:8], v[7:8], v[9:10], v[7:8]
	v_div_scale_f64 v[9:10], vcc, 1.0, v[3:4], 1.0
	v_fma_f64 v[11:12], -v[5:6], v[7:8], 1.0
	v_fma_f64 v[7:8], v[7:8], v[11:12], v[7:8]
	v_mul_f64 v[11:12], v[9:10], v[7:8]
	v_fma_f64 v[5:6], -v[5:6], v[11:12], v[9:10]
	v_div_fmas_f64 v[5:6], v[5:6], v[7:8], v[11:12]
	v_fma_f64 v[7:8], v[1:2], v[15:16], v[13:14]
	v_div_fixup_f64 v[3:4], v[5:6], v[3:4], 1.0
	v_fma_f64 v[5:6], -v[1:2], v[13:14], v[15:16]
	v_mul_f64 v[1:2], v[7:8], v[3:4]
	v_mul_f64 v[3:4], v[5:6], v[3:4]
.LBB223_65:                             ;   in Loop: Header=BB223_47 Depth=1
	s_add_i32 s14, s11, -4
	s_sub_i32 s10, s10, 64
	s_cmp_lt_i32 s11, 7
	ds_write_b128 v27, v[1:4]
	s_cbranch_scc1 .LBB223_67
; %bb.66:                               ;   in Loop: Header=BB223_47 Depth=1
	s_mov_b32 s11, s14
	s_branch .LBB223_47
.LBB223_67:
	s_cmp_lt_i32 s14, 0
	s_cbranch_scc1 .LBB223_76
; %bb.68:
	s_mul_i32 s8, s25, 0x140
	s_lshl_b32 s9, s14, 4
	s_add_i32 s9, s8, s9
	v_lshl_add_u32 v1, v0, 4, s8
	s_add_i32 s10, s9, 0xfffffec0
	v_add_u32_e32 v13, 0x17c0, v1
	s_branch .LBB223_70
.LBB223_69:                             ;   in Loop: Header=BB223_70 Depth=1
	v_sub_co_u32_e64 v1, s[8:9], s14, 1
	v_readfirstlane_b32 s14, v1
	s_add_i32 s10, s10, -16
	s_and_b64 vcc, exec, s[8:9]
	ds_write_b128 v14, v[9:12]
	s_cbranch_vccnz .LBB223_76
.LBB223_70:                             ; =>This Loop Header: Depth=1
                                        ;     Child Loop BB223_71 Depth 2
	s_mul_i32 s8, s14, 0x140
	v_add_u32_e32 v14, s8, v25
	ds_read_b128 v[1:4], v14
	s_cmp_le_i32 s13, s14
	v_mov_b32_e32 v5, v13
	s_mov_b32 s9, s10
	s_mov_b32 s11, s13
	s_cbranch_scc1 .LBB223_72
.LBB223_71:                             ;   Parent Loop BB223_70 Depth=1
                                        ; =>  This Inner Loop Header: Depth=2
	v_mov_b32_e32 v10, s9
	ds_read_b128 v[6:9], v5
	ds_read_b128 v[15:18], v10
	s_add_i32 s11, s11, -1
	s_addk_i32 s9, 0xfec0
	s_cmp_le_u32 s11, s14
	v_add_u32_e32 v5, 0xfffffec0, v5
	s_waitcnt lgkmcnt(0)
	v_mul_f64 v[10:11], v[17:18], v[8:9]
	v_mul_f64 v[8:9], v[15:16], v[8:9]
	v_fma_f64 v[10:11], v[15:16], v[6:7], -v[10:11]
	v_fma_f64 v[6:7], v[17:18], v[6:7], v[8:9]
	v_add_f64 v[1:2], v[1:2], -v[10:11]
	v_add_f64 v[3:4], v[3:4], -v[6:7]
	s_cbranch_scc0 .LBB223_71
.LBB223_72:                             ;   in Loop: Header=BB223_70 Depth=1
	s_lshl_b32 s9, s14, 4
	s_add_i32 s8, s9, s8
	v_mov_b32_e32 v5, s8
	ds_read_b128 v[5:8], v5
	s_mov_b64 s[8:9], -1
                                        ; implicit-def: $vgpr9_vgpr10
	s_waitcnt lgkmcnt(0)
	v_cmp_ngt_f64_e64 s[16:17], |v[5:6]|, |v[7:8]|
	s_and_b64 vcc, exec, s[16:17]
	s_cbranch_vccz .LBB223_74
; %bb.73:                               ;   in Loop: Header=BB223_70 Depth=1
	v_div_scale_f64 v[9:10], s[8:9], v[7:8], v[7:8], v[5:6]
	v_rcp_f64_e32 v[11:12], v[9:10]
	v_fma_f64 v[15:16], -v[9:10], v[11:12], 1.0
	v_fma_f64 v[11:12], v[11:12], v[15:16], v[11:12]
	v_div_scale_f64 v[15:16], vcc, v[5:6], v[7:8], v[5:6]
	v_fma_f64 v[17:18], -v[9:10], v[11:12], 1.0
	v_fma_f64 v[11:12], v[11:12], v[17:18], v[11:12]
	v_mul_f64 v[17:18], v[15:16], v[11:12]
	v_fma_f64 v[9:10], -v[9:10], v[17:18], v[15:16]
	v_div_fmas_f64 v[9:10], v[9:10], v[11:12], v[17:18]
	v_div_fixup_f64 v[9:10], v[9:10], v[7:8], v[5:6]
	v_fma_f64 v[11:12], v[5:6], v[9:10], v[7:8]
	v_div_scale_f64 v[15:16], s[8:9], v[11:12], v[11:12], 1.0
	s_mov_b64 s[8:9], 0
	v_rcp_f64_e32 v[17:18], v[15:16]
	v_fma_f64 v[19:20], -v[15:16], v[17:18], 1.0
	v_fma_f64 v[17:18], v[17:18], v[19:20], v[17:18]
	v_div_scale_f64 v[19:20], vcc, 1.0, v[11:12], 1.0
	v_fma_f64 v[21:22], -v[15:16], v[17:18], 1.0
	v_fma_f64 v[17:18], v[17:18], v[21:22], v[17:18]
	v_mul_f64 v[21:22], v[19:20], v[17:18]
	v_fma_f64 v[15:16], -v[15:16], v[21:22], v[19:20]
	v_div_fmas_f64 v[15:16], v[15:16], v[17:18], v[21:22]
	v_fma_f64 v[17:18], v[1:2], v[9:10], v[3:4]
	v_div_fixup_f64 v[11:12], v[15:16], v[11:12], 1.0
	v_fma_f64 v[15:16], v[3:4], v[9:10], -v[1:2]
	v_mul_f64 v[9:10], v[17:18], v[11:12]
	v_mul_f64 v[11:12], v[15:16], v[11:12]
.LBB223_74:                             ;   in Loop: Header=BB223_70 Depth=1
	s_andn2_b64 vcc, exec, s[8:9]
	s_cbranch_vccnz .LBB223_69
; %bb.75:                               ;   in Loop: Header=BB223_70 Depth=1
	v_div_scale_f64 v[9:10], s[8:9], v[5:6], v[5:6], v[7:8]
	v_rcp_f64_e32 v[11:12], v[9:10]
	v_fma_f64 v[15:16], -v[9:10], v[11:12], 1.0
	v_fma_f64 v[11:12], v[11:12], v[15:16], v[11:12]
	v_div_scale_f64 v[15:16], vcc, v[7:8], v[5:6], v[7:8]
	v_fma_f64 v[17:18], -v[9:10], v[11:12], 1.0
	v_fma_f64 v[11:12], v[11:12], v[17:18], v[11:12]
	v_mul_f64 v[17:18], v[15:16], v[11:12]
	v_fma_f64 v[9:10], -v[9:10], v[17:18], v[15:16]
	v_div_fmas_f64 v[9:10], v[9:10], v[11:12], v[17:18]
	v_div_fixup_f64 v[9:10], v[9:10], v[5:6], v[7:8]
	v_fma_f64 v[5:6], v[7:8], v[9:10], v[5:6]
	v_div_scale_f64 v[7:8], s[8:9], v[5:6], v[5:6], 1.0
	v_rcp_f64_e32 v[11:12], v[7:8]
	v_fma_f64 v[15:16], -v[7:8], v[11:12], 1.0
	v_fma_f64 v[11:12], v[11:12], v[15:16], v[11:12]
	v_div_scale_f64 v[15:16], vcc, 1.0, v[5:6], 1.0
	v_fma_f64 v[17:18], -v[7:8], v[11:12], 1.0
	v_fma_f64 v[11:12], v[11:12], v[17:18], v[11:12]
	v_mul_f64 v[17:18], v[15:16], v[11:12]
	v_fma_f64 v[7:8], -v[7:8], v[17:18], v[15:16]
	v_div_fmas_f64 v[7:8], v[7:8], v[11:12], v[17:18]
	v_fma_f64 v[11:12], v[3:4], v[9:10], v[1:2]
	v_fma_f64 v[1:2], -v[1:2], v[9:10], v[3:4]
	v_div_fixup_f64 v[5:6], v[7:8], v[5:6], 1.0
	v_mul_f64 v[9:10], v[11:12], v[5:6]
	v_mul_f64 v[11:12], v[1:2], v[5:6]
	s_branch .LBB223_69
.LBB223_76:
	s_mov_b64 s[10:11], 0
.LBB223_77:
	s_andn2_b64 vcc, exec, s[10:11]
	s_cbranch_vccnz .LBB223_109
; %bb.78:
	s_andn2_b64 vcc, exec, s[6:7]
	s_mul_i32 s8, s25, 0x140
	s_mov_b32 s11, s13
	s_cbranch_vccnz .LBB223_100
; %bb.79:
	v_lshl_add_u32 v1, v0, 4, s8
	s_mul_i32 s6, s25, 0x150
	v_add_u32_e32 v26, 0x17c0, v1
	s_add_i32 s9, s6, 0xfffffaf0
	s_mov_b32 s10, s13
.LBB223_80:                             ; =>This Loop Header: Depth=1
                                        ;     Child Loop BB223_81 Depth 2
	s_mul_i32 s11, s10, 20
	v_lshl_add_u32 v30, s11, 4, v25
	v_add_u32_e32 v28, 0xfffffd80, v30
	v_add_u32_e32 v29, 0xfffffec0, v30
	ds_read_b128 v[17:20], v30
	ds_read_b128 v[13:16], v29
	v_add_u32_e32 v27, 0xfffffc40, v30
	ds_read_b128 v[5:8], v28
	ds_read_b128 v[1:4], v27
	s_cmp_le_i32 s13, s10
	s_mov_b32 s6, s9
	v_mov_b32_e32 v9, v26
	s_mov_b32 s7, s13
	s_cbranch_scc1 .LBB223_82
.LBB223_81:                             ;   Parent Loop BB223_80 Depth=1
                                        ; =>  This Inner Loop Header: Depth=2
	v_mov_b32_e32 v10, s6
	ds_read_b128 v[21:24], v9
	ds_read_b128 v[31:34], v10 offset:960
	ds_read_b128 v[35:38], v10 offset:640
	;; [unrolled: 1-line block ×3, first 2 shown]
	ds_read_b128 v[43:46], v10
	s_add_i32 s7, s7, -1
	s_add_i32 s6, s6, -16
	s_cmp_le_i32 s7, s10
	s_waitcnt lgkmcnt(3)
	v_mul_f64 v[10:11], v[23:24], v[33:34]
	v_mul_f64 v[33:34], v[21:22], v[33:34]
	s_waitcnt lgkmcnt(2)
	v_mul_f64 v[47:48], v[23:24], v[37:38]
	v_mul_f64 v[37:38], v[21:22], v[37:38]
	;; [unrolled: 3-line block ×4, first 2 shown]
	v_fma_f64 v[10:11], v[21:22], v[31:32], -v[10:11]
	v_fma_f64 v[31:32], v[23:24], v[31:32], v[33:34]
	v_fma_f64 v[33:34], v[21:22], v[35:36], -v[47:48]
	v_fma_f64 v[35:36], v[23:24], v[35:36], v[37:38]
	;; [unrolled: 2-line block ×4, first 2 shown]
	v_add_f64 v[17:18], v[17:18], -v[10:11]
	v_add_f64 v[19:20], v[19:20], -v[31:32]
	;; [unrolled: 1-line block ×8, first 2 shown]
	v_add_u32_e32 v9, 0xfffffec0, v9
	s_cbranch_scc0 .LBB223_81
.LBB223_82:                             ;   in Loop: Header=BB223_80 Depth=1
	s_mul_i32 s6, s10, 0x150
	v_mov_b32_e32 v9, s6
	ds_read_b128 v[21:24], v9
	s_mov_b64 s[6:7], -1
                                        ; implicit-def: $vgpr11_vgpr12
	s_waitcnt lgkmcnt(0)
	v_cmp_ngt_f64_e64 s[14:15], |v[21:22]|, |v[23:24]|
	s_and_b64 vcc, exec, s[14:15]
	s_cbranch_vccz .LBB223_84
; %bb.83:                               ;   in Loop: Header=BB223_80 Depth=1
	v_div_scale_f64 v[9:10], s[6:7], v[23:24], v[23:24], v[21:22]
	v_rcp_f64_e32 v[11:12], v[9:10]
	v_fma_f64 v[31:32], -v[9:10], v[11:12], 1.0
	v_fma_f64 v[11:12], v[11:12], v[31:32], v[11:12]
	v_div_scale_f64 v[31:32], vcc, v[21:22], v[23:24], v[21:22]
	v_fma_f64 v[33:34], -v[9:10], v[11:12], 1.0
	v_fma_f64 v[11:12], v[11:12], v[33:34], v[11:12]
	v_mul_f64 v[33:34], v[31:32], v[11:12]
	v_fma_f64 v[9:10], -v[9:10], v[33:34], v[31:32]
	v_div_fmas_f64 v[9:10], v[9:10], v[11:12], v[33:34]
	v_div_fixup_f64 v[9:10], v[9:10], v[23:24], v[21:22]
	v_fma_f64 v[11:12], v[21:22], v[9:10], v[23:24]
	v_div_scale_f64 v[31:32], s[6:7], v[11:12], v[11:12], 1.0
	s_mov_b64 s[6:7], 0
	v_rcp_f64_e32 v[33:34], v[31:32]
	v_fma_f64 v[35:36], -v[31:32], v[33:34], 1.0
	v_fma_f64 v[33:34], v[33:34], v[35:36], v[33:34]
	v_div_scale_f64 v[35:36], vcc, 1.0, v[11:12], 1.0
	v_fma_f64 v[37:38], -v[31:32], v[33:34], 1.0
	v_fma_f64 v[33:34], v[33:34], v[37:38], v[33:34]
	v_mul_f64 v[37:38], v[35:36], v[33:34]
	v_fma_f64 v[31:32], -v[31:32], v[37:38], v[35:36]
	v_div_fmas_f64 v[31:32], v[31:32], v[33:34], v[37:38]
	v_fma_f64 v[33:34], v[17:18], v[9:10], v[19:20]
	v_div_fixup_f64 v[11:12], v[31:32], v[11:12], 1.0
	v_fma_f64 v[31:32], v[19:20], v[9:10], -v[17:18]
	v_mul_f64 v[9:10], v[33:34], v[11:12]
	v_mul_f64 v[11:12], v[31:32], v[11:12]
.LBB223_84:                             ;   in Loop: Header=BB223_80 Depth=1
	s_andn2_b64 vcc, exec, s[6:7]
	s_cbranch_vccnz .LBB223_86
; %bb.85:                               ;   in Loop: Header=BB223_80 Depth=1
	v_div_scale_f64 v[9:10], s[6:7], v[21:22], v[21:22], v[23:24]
	v_rcp_f64_e32 v[11:12], v[9:10]
	v_fma_f64 v[31:32], -v[9:10], v[11:12], 1.0
	v_fma_f64 v[11:12], v[11:12], v[31:32], v[11:12]
	v_div_scale_f64 v[31:32], vcc, v[23:24], v[21:22], v[23:24]
	v_fma_f64 v[33:34], -v[9:10], v[11:12], 1.0
	v_fma_f64 v[11:12], v[11:12], v[33:34], v[11:12]
	v_mul_f64 v[33:34], v[31:32], v[11:12]
	v_fma_f64 v[9:10], -v[9:10], v[33:34], v[31:32]
	v_div_fmas_f64 v[9:10], v[9:10], v[11:12], v[33:34]
	v_div_fixup_f64 v[9:10], v[9:10], v[21:22], v[23:24]
	v_fma_f64 v[11:12], v[23:24], v[9:10], v[21:22]
	v_div_scale_f64 v[21:22], s[6:7], v[11:12], v[11:12], 1.0
	v_rcp_f64_e32 v[23:24], v[21:22]
	v_fma_f64 v[31:32], -v[21:22], v[23:24], 1.0
	v_fma_f64 v[23:24], v[23:24], v[31:32], v[23:24]
	v_div_scale_f64 v[31:32], vcc, 1.0, v[11:12], 1.0
	v_fma_f64 v[33:34], -v[21:22], v[23:24], 1.0
	v_fma_f64 v[23:24], v[23:24], v[33:34], v[23:24]
	v_mul_f64 v[33:34], v[31:32], v[23:24]
	v_fma_f64 v[21:22], -v[21:22], v[33:34], v[31:32]
	v_div_fmas_f64 v[21:22], v[21:22], v[23:24], v[33:34]
	v_fma_f64 v[23:24], v[19:20], v[9:10], v[17:18]
	v_fma_f64 v[17:18], -v[17:18], v[9:10], v[19:20]
	v_div_fixup_f64 v[11:12], v[21:22], v[11:12], 1.0
	v_mul_f64 v[9:10], v[23:24], v[11:12]
	v_mul_f64 v[11:12], v[17:18], v[11:12]
.LBB223_86:                             ;   in Loop: Header=BB223_80 Depth=1
	s_lshl_b32 s11, s11, 4
	s_addk_i32 s11, 0xfec0
	s_lshl_b32 s14, s10, 4
	s_add_i32 s6, s11, s14
	v_mov_b32_e32 v17, s6
	ds_read_b128 v[21:24], v17
	s_add_i32 s6, s6, -16
	v_mov_b32_e32 v17, s6
	ds_read_b128 v[17:20], v17
	s_mov_b64 s[6:7], -1
	s_waitcnt lgkmcnt(1)
	v_mul_f64 v[31:32], v[11:12], v[23:24]
	v_mul_f64 v[23:24], v[9:10], v[23:24]
	ds_write_b128 v30, v[9:12]
	s_waitcnt lgkmcnt(1)
	v_cmp_ngt_f64_e64 s[16:17], |v[17:18]|, |v[19:20]|
	v_fma_f64 v[31:32], v[9:10], v[21:22], -v[31:32]
	v_fma_f64 v[23:24], v[11:12], v[21:22], v[23:24]
	s_and_b64 vcc, exec, s[16:17]
	v_add_f64 v[21:22], v[13:14], -v[31:32]
	v_add_f64 v[23:24], v[15:16], -v[23:24]
                                        ; implicit-def: $vgpr15_vgpr16
	s_cbranch_vccz .LBB223_88
; %bb.87:                               ;   in Loop: Header=BB223_80 Depth=1
	v_div_scale_f64 v[13:14], s[6:7], v[19:20], v[19:20], v[17:18]
	v_rcp_f64_e32 v[15:16], v[13:14]
	v_fma_f64 v[30:31], -v[13:14], v[15:16], 1.0
	v_fma_f64 v[15:16], v[15:16], v[30:31], v[15:16]
	v_div_scale_f64 v[30:31], vcc, v[17:18], v[19:20], v[17:18]
	v_fma_f64 v[32:33], -v[13:14], v[15:16], 1.0
	v_fma_f64 v[15:16], v[15:16], v[32:33], v[15:16]
	v_mul_f64 v[32:33], v[30:31], v[15:16]
	v_fma_f64 v[13:14], -v[13:14], v[32:33], v[30:31]
	v_div_fmas_f64 v[13:14], v[13:14], v[15:16], v[32:33]
	v_div_fixup_f64 v[13:14], v[13:14], v[19:20], v[17:18]
	v_fma_f64 v[15:16], v[17:18], v[13:14], v[19:20]
	v_div_scale_f64 v[30:31], s[6:7], v[15:16], v[15:16], 1.0
	s_mov_b64 s[6:7], 0
	v_rcp_f64_e32 v[32:33], v[30:31]
	v_fma_f64 v[34:35], -v[30:31], v[32:33], 1.0
	v_fma_f64 v[32:33], v[32:33], v[34:35], v[32:33]
	v_div_scale_f64 v[34:35], vcc, 1.0, v[15:16], 1.0
	v_fma_f64 v[36:37], -v[30:31], v[32:33], 1.0
	v_fma_f64 v[32:33], v[32:33], v[36:37], v[32:33]
	v_mul_f64 v[36:37], v[34:35], v[32:33]
	v_fma_f64 v[30:31], -v[30:31], v[36:37], v[34:35]
	v_div_fmas_f64 v[30:31], v[30:31], v[32:33], v[36:37]
	v_fma_f64 v[32:33], v[13:14], v[21:22], v[23:24]
	v_div_fixup_f64 v[15:16], v[30:31], v[15:16], 1.0
	v_fma_f64 v[30:31], v[13:14], v[23:24], -v[21:22]
	v_mul_f64 v[13:14], v[32:33], v[15:16]
	v_mul_f64 v[15:16], v[30:31], v[15:16]
.LBB223_88:                             ;   in Loop: Header=BB223_80 Depth=1
	s_andn2_b64 vcc, exec, s[6:7]
	s_cbranch_vccnz .LBB223_90
; %bb.89:                               ;   in Loop: Header=BB223_80 Depth=1
	v_div_scale_f64 v[13:14], s[6:7], v[17:18], v[17:18], v[19:20]
	v_rcp_f64_e32 v[15:16], v[13:14]
	v_fma_f64 v[30:31], -v[13:14], v[15:16], 1.0
	v_fma_f64 v[15:16], v[15:16], v[30:31], v[15:16]
	v_div_scale_f64 v[30:31], vcc, v[19:20], v[17:18], v[19:20]
	v_fma_f64 v[32:33], -v[13:14], v[15:16], 1.0
	v_fma_f64 v[15:16], v[15:16], v[32:33], v[15:16]
	v_mul_f64 v[32:33], v[30:31], v[15:16]
	v_fma_f64 v[13:14], -v[13:14], v[32:33], v[30:31]
	v_div_fmas_f64 v[13:14], v[13:14], v[15:16], v[32:33]
	v_div_fixup_f64 v[13:14], v[13:14], v[17:18], v[19:20]
	v_fma_f64 v[15:16], v[19:20], v[13:14], v[17:18]
	v_div_scale_f64 v[17:18], s[6:7], v[15:16], v[15:16], 1.0
	v_rcp_f64_e32 v[19:20], v[17:18]
	v_fma_f64 v[30:31], -v[17:18], v[19:20], 1.0
	v_fma_f64 v[19:20], v[19:20], v[30:31], v[19:20]
	v_div_scale_f64 v[30:31], vcc, 1.0, v[15:16], 1.0
	v_fma_f64 v[32:33], -v[17:18], v[19:20], 1.0
	v_fma_f64 v[19:20], v[19:20], v[32:33], v[19:20]
	v_mul_f64 v[32:33], v[30:31], v[19:20]
	v_fma_f64 v[17:18], -v[17:18], v[32:33], v[30:31]
	v_div_fmas_f64 v[17:18], v[17:18], v[19:20], v[32:33]
	v_fma_f64 v[19:20], v[13:14], v[23:24], v[21:22]
	v_div_fixup_f64 v[15:16], v[17:18], v[15:16], 1.0
	v_fma_f64 v[17:18], -v[13:14], v[21:22], v[23:24]
	v_mul_f64 v[13:14], v[19:20], v[15:16]
	v_mul_f64 v[15:16], v[17:18], v[15:16]
.LBB223_90:                             ;   in Loop: Header=BB223_80 Depth=1
	s_addk_i32 s11, 0xfec0
	s_add_i32 s11, s11, s14
	v_mov_b32_e32 v17, s11
	ds_read_b128 v[17:20], v17
	s_add_i32 s6, s11, -16
	v_mov_b32_e32 v21, s6
	ds_read_b128 v[21:24], v21
	s_sub_i32 s6, s11, 32
	s_waitcnt lgkmcnt(1)
	v_mul_f64 v[30:31], v[11:12], v[19:20]
	v_mul_f64 v[19:20], v[9:10], v[19:20]
	ds_write_b128 v29, v[13:16]
	s_waitcnt lgkmcnt(1)
	v_mul_f64 v[32:33], v[15:16], v[23:24]
	v_mul_f64 v[23:24], v[13:14], v[23:24]
	v_fma_f64 v[30:31], v[9:10], v[17:18], -v[30:31]
	v_fma_f64 v[34:35], v[11:12], v[17:18], v[19:20]
	v_mov_b32_e32 v17, s6
	v_fma_f64 v[32:33], v[13:14], v[21:22], -v[32:33]
	v_fma_f64 v[23:24], v[15:16], v[21:22], v[23:24]
	ds_read_b128 v[17:20], v17
	s_mov_b64 s[6:7], -1
	v_add_f64 v[5:6], v[5:6], -v[30:31]
	v_add_f64 v[7:8], v[7:8], -v[34:35]
	s_waitcnt lgkmcnt(0)
	v_cmp_ngt_f64_e64 s[14:15], |v[17:18]|, |v[19:20]|
	v_add_f64 v[21:22], v[5:6], -v[32:33]
	v_add_f64 v[23:24], v[7:8], -v[23:24]
	s_and_b64 vcc, exec, s[14:15]
                                        ; implicit-def: $vgpr7_vgpr8
	s_cbranch_vccz .LBB223_92
; %bb.91:                               ;   in Loop: Header=BB223_80 Depth=1
	v_div_scale_f64 v[5:6], s[6:7], v[19:20], v[19:20], v[17:18]
	v_rcp_f64_e32 v[7:8], v[5:6]
	v_fma_f64 v[29:30], -v[5:6], v[7:8], 1.0
	v_fma_f64 v[7:8], v[7:8], v[29:30], v[7:8]
	v_div_scale_f64 v[29:30], vcc, v[17:18], v[19:20], v[17:18]
	v_fma_f64 v[31:32], -v[5:6], v[7:8], 1.0
	v_fma_f64 v[7:8], v[7:8], v[31:32], v[7:8]
	v_mul_f64 v[31:32], v[29:30], v[7:8]
	v_fma_f64 v[5:6], -v[5:6], v[31:32], v[29:30]
	v_div_fmas_f64 v[5:6], v[5:6], v[7:8], v[31:32]
	v_div_fixup_f64 v[5:6], v[5:6], v[19:20], v[17:18]
	v_fma_f64 v[7:8], v[17:18], v[5:6], v[19:20]
	v_div_scale_f64 v[29:30], s[6:7], v[7:8], v[7:8], 1.0
	s_mov_b64 s[6:7], 0
	v_rcp_f64_e32 v[31:32], v[29:30]
	v_fma_f64 v[33:34], -v[29:30], v[31:32], 1.0
	v_fma_f64 v[31:32], v[31:32], v[33:34], v[31:32]
	v_div_scale_f64 v[33:34], vcc, 1.0, v[7:8], 1.0
	v_fma_f64 v[35:36], -v[29:30], v[31:32], 1.0
	v_fma_f64 v[31:32], v[31:32], v[35:36], v[31:32]
	v_mul_f64 v[35:36], v[33:34], v[31:32]
	v_fma_f64 v[29:30], -v[29:30], v[35:36], v[33:34]
	v_div_fmas_f64 v[29:30], v[29:30], v[31:32], v[35:36]
	v_fma_f64 v[31:32], v[5:6], v[21:22], v[23:24]
	v_div_fixup_f64 v[7:8], v[29:30], v[7:8], 1.0
	v_fma_f64 v[29:30], v[5:6], v[23:24], -v[21:22]
	v_mul_f64 v[5:6], v[31:32], v[7:8]
	v_mul_f64 v[7:8], v[29:30], v[7:8]
.LBB223_92:                             ;   in Loop: Header=BB223_80 Depth=1
	s_andn2_b64 vcc, exec, s[6:7]
	s_cbranch_vccnz .LBB223_94
; %bb.93:                               ;   in Loop: Header=BB223_80 Depth=1
	v_div_scale_f64 v[5:6], s[6:7], v[17:18], v[17:18], v[19:20]
	v_rcp_f64_e32 v[7:8], v[5:6]
	v_fma_f64 v[29:30], -v[5:6], v[7:8], 1.0
	v_fma_f64 v[7:8], v[7:8], v[29:30], v[7:8]
	v_div_scale_f64 v[29:30], vcc, v[19:20], v[17:18], v[19:20]
	v_fma_f64 v[31:32], -v[5:6], v[7:8], 1.0
	v_fma_f64 v[7:8], v[7:8], v[31:32], v[7:8]
	v_mul_f64 v[31:32], v[29:30], v[7:8]
	v_fma_f64 v[5:6], -v[5:6], v[31:32], v[29:30]
	v_div_fmas_f64 v[5:6], v[5:6], v[7:8], v[31:32]
	v_div_fixup_f64 v[5:6], v[5:6], v[17:18], v[19:20]
	v_fma_f64 v[7:8], v[19:20], v[5:6], v[17:18]
	v_div_scale_f64 v[17:18], s[6:7], v[7:8], v[7:8], 1.0
	v_rcp_f64_e32 v[19:20], v[17:18]
	v_fma_f64 v[29:30], -v[17:18], v[19:20], 1.0
	v_fma_f64 v[19:20], v[19:20], v[29:30], v[19:20]
	v_div_scale_f64 v[29:30], vcc, 1.0, v[7:8], 1.0
	v_fma_f64 v[31:32], -v[17:18], v[19:20], 1.0
	v_fma_f64 v[19:20], v[19:20], v[31:32], v[19:20]
	v_mul_f64 v[31:32], v[29:30], v[19:20]
	v_fma_f64 v[17:18], -v[17:18], v[31:32], v[29:30]
	v_div_fmas_f64 v[17:18], v[17:18], v[19:20], v[31:32]
	v_fma_f64 v[19:20], v[5:6], v[23:24], v[21:22]
	v_div_fixup_f64 v[7:8], v[17:18], v[7:8], 1.0
	v_fma_f64 v[17:18], -v[5:6], v[21:22], v[23:24]
	v_mul_f64 v[5:6], v[19:20], v[7:8]
	v_mul_f64 v[7:8], v[17:18], v[7:8]
.LBB223_94:                             ;   in Loop: Header=BB223_80 Depth=1
	s_add_i32 s6, s11, 0xfffffec0
	v_mov_b32_e32 v17, s6
	ds_read_b128 v[17:20], v17
	s_add_i32 s6, s11, 0xfffffeb0
	v_mov_b32_e32 v21, s6
	s_add_i32 s6, s11, 0xfffffea0
	v_mov_b32_e32 v29, s6
	ds_read_b128 v[29:32], v29
	s_waitcnt lgkmcnt(1)
	v_mul_f64 v[33:34], v[11:12], v[19:20]
	v_mul_f64 v[19:20], v[9:10], v[19:20]
	ds_read_b128 v[21:24], v21
	s_add_i32 s7, s11, 0xfffffe90
	ds_write_b128 v28, v[5:8]
	v_fma_f64 v[33:34], v[9:10], v[17:18], -v[33:34]
	v_mov_b32_e32 v9, s7
	v_fma_f64 v[17:18], v[11:12], v[17:18], v[19:20]
	ds_read_b128 v[9:12], v9
	s_waitcnt lgkmcnt(2)
	v_mul_f64 v[35:36], v[15:16], v[23:24]
	v_mul_f64 v[23:24], v[13:14], v[23:24]
	;; [unrolled: 1-line block ×4, first 2 shown]
	v_add_f64 v[1:2], v[1:2], -v[33:34]
	s_waitcnt lgkmcnt(0)
	v_cmp_ngt_f64_e64 s[14:15], |v[9:10]|, |v[11:12]|
	v_add_f64 v[3:4], v[3:4], -v[17:18]
	s_mov_b64 s[6:7], -1
	v_fma_f64 v[13:14], v[13:14], v[21:22], -v[35:36]
	v_fma_f64 v[15:16], v[15:16], v[21:22], v[23:24]
	v_fma_f64 v[17:18], v[5:6], v[29:30], -v[19:20]
	v_fma_f64 v[19:20], v[7:8], v[29:30], v[31:32]
	s_and_b64 vcc, exec, s[14:15]
	v_add_f64 v[1:2], v[1:2], -v[13:14]
	v_add_f64 v[3:4], v[3:4], -v[15:16]
	;; [unrolled: 1-line block ×4, first 2 shown]
                                        ; implicit-def: $vgpr3_vgpr4
	s_cbranch_vccz .LBB223_96
; %bb.95:                               ;   in Loop: Header=BB223_80 Depth=1
	v_div_scale_f64 v[1:2], s[6:7], v[11:12], v[11:12], v[9:10]
	v_rcp_f64_e32 v[3:4], v[1:2]
	v_fma_f64 v[5:6], -v[1:2], v[3:4], 1.0
	v_fma_f64 v[3:4], v[3:4], v[5:6], v[3:4]
	v_div_scale_f64 v[5:6], vcc, v[9:10], v[11:12], v[9:10]
	v_fma_f64 v[7:8], -v[1:2], v[3:4], 1.0
	v_fma_f64 v[3:4], v[3:4], v[7:8], v[3:4]
	v_mul_f64 v[7:8], v[5:6], v[3:4]
	v_fma_f64 v[1:2], -v[1:2], v[7:8], v[5:6]
	v_div_fmas_f64 v[1:2], v[1:2], v[3:4], v[7:8]
	v_div_fixup_f64 v[1:2], v[1:2], v[11:12], v[9:10]
	v_fma_f64 v[3:4], v[9:10], v[1:2], v[11:12]
	v_div_scale_f64 v[5:6], s[6:7], v[3:4], v[3:4], 1.0
	s_mov_b64 s[6:7], 0
	v_rcp_f64_e32 v[7:8], v[5:6]
	v_fma_f64 v[17:18], -v[5:6], v[7:8], 1.0
	v_fma_f64 v[7:8], v[7:8], v[17:18], v[7:8]
	v_div_scale_f64 v[17:18], vcc, 1.0, v[3:4], 1.0
	v_fma_f64 v[19:20], -v[5:6], v[7:8], 1.0
	v_fma_f64 v[7:8], v[7:8], v[19:20], v[7:8]
	v_mul_f64 v[19:20], v[17:18], v[7:8]
	v_fma_f64 v[5:6], -v[5:6], v[19:20], v[17:18]
	v_div_fmas_f64 v[5:6], v[5:6], v[7:8], v[19:20]
	v_fma_f64 v[7:8], v[1:2], v[13:14], v[15:16]
	v_div_fixup_f64 v[3:4], v[5:6], v[3:4], 1.0
	v_fma_f64 v[5:6], v[1:2], v[15:16], -v[13:14]
	v_mul_f64 v[1:2], v[7:8], v[3:4]
	v_mul_f64 v[3:4], v[5:6], v[3:4]
.LBB223_96:                             ;   in Loop: Header=BB223_80 Depth=1
	s_andn2_b64 vcc, exec, s[6:7]
	s_cbranch_vccnz .LBB223_98
; %bb.97:                               ;   in Loop: Header=BB223_80 Depth=1
	v_div_scale_f64 v[1:2], s[6:7], v[9:10], v[9:10], v[11:12]
	v_rcp_f64_e32 v[3:4], v[1:2]
	v_fma_f64 v[5:6], -v[1:2], v[3:4], 1.0
	v_fma_f64 v[3:4], v[3:4], v[5:6], v[3:4]
	v_div_scale_f64 v[5:6], vcc, v[11:12], v[9:10], v[11:12]
	v_fma_f64 v[7:8], -v[1:2], v[3:4], 1.0
	v_fma_f64 v[3:4], v[3:4], v[7:8], v[3:4]
	v_mul_f64 v[7:8], v[5:6], v[3:4]
	v_fma_f64 v[1:2], -v[1:2], v[7:8], v[5:6]
	v_div_fmas_f64 v[1:2], v[1:2], v[3:4], v[7:8]
	v_div_fixup_f64 v[1:2], v[1:2], v[9:10], v[11:12]
	v_fma_f64 v[3:4], v[11:12], v[1:2], v[9:10]
	v_div_scale_f64 v[5:6], s[6:7], v[3:4], v[3:4], 1.0
	v_rcp_f64_e32 v[7:8], v[5:6]
	v_fma_f64 v[9:10], -v[5:6], v[7:8], 1.0
	v_fma_f64 v[7:8], v[7:8], v[9:10], v[7:8]
	v_div_scale_f64 v[9:10], vcc, 1.0, v[3:4], 1.0
	v_fma_f64 v[11:12], -v[5:6], v[7:8], 1.0
	v_fma_f64 v[7:8], v[7:8], v[11:12], v[7:8]
	v_mul_f64 v[11:12], v[9:10], v[7:8]
	v_fma_f64 v[5:6], -v[5:6], v[11:12], v[9:10]
	v_div_fmas_f64 v[5:6], v[5:6], v[7:8], v[11:12]
	v_fma_f64 v[7:8], v[1:2], v[15:16], v[13:14]
	v_div_fixup_f64 v[3:4], v[5:6], v[3:4], 1.0
	v_fma_f64 v[5:6], -v[1:2], v[13:14], v[15:16]
	v_mul_f64 v[1:2], v[7:8], v[3:4]
	v_mul_f64 v[3:4], v[5:6], v[3:4]
.LBB223_98:                             ;   in Loop: Header=BB223_80 Depth=1
	s_add_i32 s11, s10, -4
	s_addk_i32 s9, 0xfb00
	s_cmp_lt_i32 s10, 7
	ds_write_b128 v27, v[1:4]
	s_cbranch_scc1 .LBB223_100
; %bb.99:                               ;   in Loop: Header=BB223_80 Depth=1
	s_mov_b32 s10, s11
	s_branch .LBB223_80
.LBB223_100:
	s_cmp_lt_i32 s11, 0
	s_cbranch_scc1 .LBB223_109
; %bb.101:
	s_mul_i32 s6, s11, 0x140
	s_lshl_b32 s7, s25, 4
	v_lshl_add_u32 v1, v0, 4, s8
	s_add_i32 s6, s6, s7
	v_add_u32_e32 v13, 0x17c0, v1
	s_add_i32 s8, s6, -16
	s_branch .LBB223_103
.LBB223_102:                            ;   in Loop: Header=BB223_103 Depth=1
	v_sub_co_u32_e64 v1, s[6:7], s11, 1
	v_readfirstlane_b32 s11, v1
	s_addk_i32 s8, 0xfec0
	s_and_b64 vcc, exec, s[6:7]
	ds_write_b128 v14, v[9:12]
	s_cbranch_vccnz .LBB223_109
.LBB223_103:                            ; =>This Loop Header: Depth=1
                                        ;     Child Loop BB223_104 Depth 2
	s_mul_i32 s6, s11, 0x140
	v_add_u32_e32 v14, s6, v25
	ds_read_b128 v[1:4], v14
	s_cmp_le_i32 s13, s11
	s_mov_b32 s6, s8
	v_mov_b32_e32 v5, v13
	s_mov_b32 s7, s13
	s_cbranch_scc1 .LBB223_105
.LBB223_104:                            ;   Parent Loop BB223_103 Depth=1
                                        ; =>  This Inner Loop Header: Depth=2
	v_mov_b32_e32 v10, s6
	ds_read_b128 v[6:9], v5
	ds_read_b128 v[15:18], v10
	s_add_i32 s7, s7, -1
	s_add_i32 s6, s6, -16
	s_cmp_le_u32 s7, s11
	v_add_u32_e32 v5, 0xfffffec0, v5
	s_waitcnt lgkmcnt(0)
	v_mul_f64 v[10:11], v[17:18], v[8:9]
	v_mul_f64 v[8:9], v[15:16], v[8:9]
	v_fma_f64 v[10:11], v[15:16], v[6:7], -v[10:11]
	v_fma_f64 v[6:7], v[17:18], v[6:7], v[8:9]
	v_add_f64 v[1:2], v[1:2], -v[10:11]
	v_add_f64 v[3:4], v[3:4], -v[6:7]
	s_cbranch_scc0 .LBB223_104
.LBB223_105:                            ;   in Loop: Header=BB223_103 Depth=1
	s_mul_i32 s6, s11, 0x150
	v_mov_b32_e32 v5, s6
	ds_read_b128 v[5:8], v5
	s_mov_b64 s[6:7], -1
                                        ; implicit-def: $vgpr9_vgpr10
	s_waitcnt lgkmcnt(0)
	v_cmp_ngt_f64_e64 s[14:15], |v[5:6]|, |v[7:8]|
	s_and_b64 vcc, exec, s[14:15]
	s_cbranch_vccz .LBB223_107
; %bb.106:                              ;   in Loop: Header=BB223_103 Depth=1
	v_div_scale_f64 v[9:10], s[6:7], v[7:8], v[7:8], v[5:6]
	v_rcp_f64_e32 v[11:12], v[9:10]
	v_fma_f64 v[15:16], -v[9:10], v[11:12], 1.0
	v_fma_f64 v[11:12], v[11:12], v[15:16], v[11:12]
	v_div_scale_f64 v[15:16], vcc, v[5:6], v[7:8], v[5:6]
	v_fma_f64 v[17:18], -v[9:10], v[11:12], 1.0
	v_fma_f64 v[11:12], v[11:12], v[17:18], v[11:12]
	v_mul_f64 v[17:18], v[15:16], v[11:12]
	v_fma_f64 v[9:10], -v[9:10], v[17:18], v[15:16]
	v_div_fmas_f64 v[9:10], v[9:10], v[11:12], v[17:18]
	v_div_fixup_f64 v[9:10], v[9:10], v[7:8], v[5:6]
	v_fma_f64 v[11:12], v[5:6], v[9:10], v[7:8]
	v_div_scale_f64 v[15:16], s[6:7], v[11:12], v[11:12], 1.0
	s_mov_b64 s[6:7], 0
	v_rcp_f64_e32 v[17:18], v[15:16]
	v_fma_f64 v[19:20], -v[15:16], v[17:18], 1.0
	v_fma_f64 v[17:18], v[17:18], v[19:20], v[17:18]
	v_div_scale_f64 v[19:20], vcc, 1.0, v[11:12], 1.0
	v_fma_f64 v[21:22], -v[15:16], v[17:18], 1.0
	v_fma_f64 v[17:18], v[17:18], v[21:22], v[17:18]
	v_mul_f64 v[21:22], v[19:20], v[17:18]
	v_fma_f64 v[15:16], -v[15:16], v[21:22], v[19:20]
	v_div_fmas_f64 v[15:16], v[15:16], v[17:18], v[21:22]
	v_fma_f64 v[17:18], v[1:2], v[9:10], v[3:4]
	v_div_fixup_f64 v[11:12], v[15:16], v[11:12], 1.0
	v_fma_f64 v[15:16], v[3:4], v[9:10], -v[1:2]
	v_mul_f64 v[9:10], v[17:18], v[11:12]
	v_mul_f64 v[11:12], v[15:16], v[11:12]
.LBB223_107:                            ;   in Loop: Header=BB223_103 Depth=1
	s_andn2_b64 vcc, exec, s[6:7]
	s_cbranch_vccnz .LBB223_102
; %bb.108:                              ;   in Loop: Header=BB223_103 Depth=1
	v_div_scale_f64 v[9:10], s[6:7], v[5:6], v[5:6], v[7:8]
	v_rcp_f64_e32 v[11:12], v[9:10]
	v_fma_f64 v[15:16], -v[9:10], v[11:12], 1.0
	v_fma_f64 v[11:12], v[11:12], v[15:16], v[11:12]
	v_div_scale_f64 v[15:16], vcc, v[7:8], v[5:6], v[7:8]
	v_fma_f64 v[17:18], -v[9:10], v[11:12], 1.0
	v_fma_f64 v[11:12], v[11:12], v[17:18], v[11:12]
	v_mul_f64 v[17:18], v[15:16], v[11:12]
	v_fma_f64 v[9:10], -v[9:10], v[17:18], v[15:16]
	v_div_fmas_f64 v[9:10], v[9:10], v[11:12], v[17:18]
	v_div_fixup_f64 v[9:10], v[9:10], v[5:6], v[7:8]
	v_fma_f64 v[5:6], v[7:8], v[9:10], v[5:6]
	v_div_scale_f64 v[7:8], s[6:7], v[5:6], v[5:6], 1.0
	v_rcp_f64_e32 v[11:12], v[7:8]
	v_fma_f64 v[15:16], -v[7:8], v[11:12], 1.0
	v_fma_f64 v[11:12], v[11:12], v[15:16], v[11:12]
	v_div_scale_f64 v[15:16], vcc, 1.0, v[5:6], 1.0
	v_fma_f64 v[17:18], -v[7:8], v[11:12], 1.0
	v_fma_f64 v[11:12], v[11:12], v[17:18], v[11:12]
	v_mul_f64 v[17:18], v[15:16], v[11:12]
	v_fma_f64 v[7:8], -v[7:8], v[17:18], v[15:16]
	v_div_fmas_f64 v[7:8], v[7:8], v[11:12], v[17:18]
	v_fma_f64 v[11:12], v[3:4], v[9:10], v[1:2]
	v_fma_f64 v[1:2], -v[1:2], v[9:10], v[3:4]
	v_div_fixup_f64 v[5:6], v[7:8], v[5:6], 1.0
	v_mul_f64 v[9:10], v[11:12], v[5:6]
	v_mul_f64 v[11:12], v[1:2], v[5:6]
	s_branch .LBB223_102
.LBB223_109:
	s_mov_b64 s[10:11], 0
.LBB223_110:
	s_andn2_b64 vcc, exec, s[10:11]
	s_cbranch_vccnz .LBB223_142
; %bb.111:
	v_mov_b32_e32 v1, 0x1900
	v_lshl_add_u32 v25, v0, 4, v1
	s_cmp_lt_i32 s24, 4
	s_mov_b32 s10, 0
	s_cbranch_scc1 .LBB223_133
; %bb.112:
	s_mov_b32 s8, 0
	s_mov_b32 s9, 0
.LBB223_113:                            ; =>This Loop Header: Depth=1
                                        ;     Child Loop BB223_114 Depth 2
	s_mul_i32 s10, s9, 20
	v_lshl_add_u32 v26, s10, 4, v25
	ds_read_b128 v[17:20], v26
	ds_read_b128 v[13:16], v26 offset:320
	ds_read_b128 v[5:8], v26 offset:640
	;; [unrolled: 1-line block ×3, first 2 shown]
	s_cmp_eq_u32 s9, 0
	s_mov_b32 s6, s8
	v_mov_b32_e32 v9, v25
	s_mov_b32 s7, s9
	s_cbranch_scc1 .LBB223_115
.LBB223_114:                            ;   Parent Loop BB223_113 Depth=1
                                        ; =>  This Inner Loop Header: Depth=2
	v_mov_b32_e32 v10, s6
	ds_read_b128 v[21:24], v9
	ds_read_b128 v[27:30], v10
	ds_read_b128 v[31:34], v10 offset:320
	ds_read_b128 v[35:38], v10 offset:640
	;; [unrolled: 1-line block ×3, first 2 shown]
	s_add_i32 s7, s7, -1
	s_add_i32 s6, s6, 16
	s_cmp_eq_u32 s7, 0
	s_waitcnt lgkmcnt(3)
	v_mul_f64 v[10:11], v[23:24], v[29:30]
	v_mul_f64 v[29:30], v[21:22], v[29:30]
	s_waitcnt lgkmcnt(2)
	v_mul_f64 v[43:44], v[23:24], v[33:34]
	v_mul_f64 v[33:34], v[21:22], v[33:34]
	;; [unrolled: 3-line block ×4, first 2 shown]
	v_fma_f64 v[10:11], v[21:22], v[27:28], -v[10:11]
	v_fma_f64 v[27:28], v[23:24], v[27:28], v[29:30]
	v_fma_f64 v[29:30], v[21:22], v[31:32], -v[43:44]
	v_fma_f64 v[31:32], v[23:24], v[31:32], v[33:34]
	;; [unrolled: 2-line block ×4, first 2 shown]
	v_add_f64 v[17:18], v[17:18], -v[10:11]
	v_add_f64 v[19:20], v[19:20], -v[27:28]
	;; [unrolled: 1-line block ×8, first 2 shown]
	v_add_u32_e32 v9, 0x140, v9
	s_cbranch_scc0 .LBB223_114
.LBB223_115:                            ;   in Loop: Header=BB223_113 Depth=1
	s_mul_i32 s6, s9, 0x150
	v_mov_b32_e32 v9, s6
	ds_read_b128 v[21:24], v9
	s_mov_b64 s[6:7], -1
                                        ; implicit-def: $vgpr11_vgpr12
	s_waitcnt lgkmcnt(0)
	v_cmp_ngt_f64_e64 s[14:15], |v[21:22]|, |v[23:24]|
	s_and_b64 vcc, exec, s[14:15]
	s_cbranch_vccz .LBB223_117
; %bb.116:                              ;   in Loop: Header=BB223_113 Depth=1
	v_div_scale_f64 v[9:10], s[6:7], v[23:24], v[23:24], v[21:22]
	v_rcp_f64_e32 v[11:12], v[9:10]
	v_fma_f64 v[27:28], -v[9:10], v[11:12], 1.0
	v_fma_f64 v[11:12], v[11:12], v[27:28], v[11:12]
	v_div_scale_f64 v[27:28], vcc, v[21:22], v[23:24], v[21:22]
	v_fma_f64 v[29:30], -v[9:10], v[11:12], 1.0
	v_fma_f64 v[11:12], v[11:12], v[29:30], v[11:12]
	v_mul_f64 v[29:30], v[27:28], v[11:12]
	v_fma_f64 v[9:10], -v[9:10], v[29:30], v[27:28]
	v_div_fmas_f64 v[9:10], v[9:10], v[11:12], v[29:30]
	v_div_fixup_f64 v[9:10], v[9:10], v[23:24], v[21:22]
	v_fma_f64 v[11:12], v[21:22], v[9:10], v[23:24]
	v_div_scale_f64 v[27:28], s[6:7], v[11:12], v[11:12], 1.0
	s_mov_b64 s[6:7], 0
	v_rcp_f64_e32 v[29:30], v[27:28]
	v_fma_f64 v[31:32], -v[27:28], v[29:30], 1.0
	v_fma_f64 v[29:30], v[29:30], v[31:32], v[29:30]
	v_div_scale_f64 v[31:32], vcc, 1.0, v[11:12], 1.0
	v_fma_f64 v[33:34], -v[27:28], v[29:30], 1.0
	v_fma_f64 v[29:30], v[29:30], v[33:34], v[29:30]
	v_mul_f64 v[33:34], v[31:32], v[29:30]
	v_fma_f64 v[27:28], -v[27:28], v[33:34], v[31:32]
	v_div_fmas_f64 v[27:28], v[27:28], v[29:30], v[33:34]
	v_fma_f64 v[29:30], v[17:18], v[9:10], v[19:20]
	v_div_fixup_f64 v[11:12], v[27:28], v[11:12], 1.0
	v_fma_f64 v[27:28], v[19:20], v[9:10], -v[17:18]
	v_mul_f64 v[9:10], v[29:30], v[11:12]
	v_mul_f64 v[11:12], v[27:28], v[11:12]
.LBB223_117:                            ;   in Loop: Header=BB223_113 Depth=1
	s_andn2_b64 vcc, exec, s[6:7]
	s_cbranch_vccnz .LBB223_119
; %bb.118:                              ;   in Loop: Header=BB223_113 Depth=1
	v_div_scale_f64 v[9:10], s[6:7], v[21:22], v[21:22], v[23:24]
	v_rcp_f64_e32 v[11:12], v[9:10]
	v_fma_f64 v[27:28], -v[9:10], v[11:12], 1.0
	v_fma_f64 v[11:12], v[11:12], v[27:28], v[11:12]
	v_div_scale_f64 v[27:28], vcc, v[23:24], v[21:22], v[23:24]
	v_fma_f64 v[29:30], -v[9:10], v[11:12], 1.0
	v_fma_f64 v[11:12], v[11:12], v[29:30], v[11:12]
	v_mul_f64 v[29:30], v[27:28], v[11:12]
	v_fma_f64 v[9:10], -v[9:10], v[29:30], v[27:28]
	v_div_fmas_f64 v[9:10], v[9:10], v[11:12], v[29:30]
	v_div_fixup_f64 v[9:10], v[9:10], v[21:22], v[23:24]
	v_fma_f64 v[11:12], v[23:24], v[9:10], v[21:22]
	v_div_scale_f64 v[21:22], s[6:7], v[11:12], v[11:12], 1.0
	v_rcp_f64_e32 v[23:24], v[21:22]
	v_fma_f64 v[27:28], -v[21:22], v[23:24], 1.0
	v_fma_f64 v[23:24], v[23:24], v[27:28], v[23:24]
	v_div_scale_f64 v[27:28], vcc, 1.0, v[11:12], 1.0
	v_fma_f64 v[29:30], -v[21:22], v[23:24], 1.0
	v_fma_f64 v[23:24], v[23:24], v[29:30], v[23:24]
	v_mul_f64 v[29:30], v[27:28], v[23:24]
	v_fma_f64 v[21:22], -v[21:22], v[29:30], v[27:28]
	v_div_fmas_f64 v[21:22], v[21:22], v[23:24], v[29:30]
	v_fma_f64 v[23:24], v[19:20], v[9:10], v[17:18]
	v_fma_f64 v[17:18], -v[17:18], v[9:10], v[19:20]
	v_div_fixup_f64 v[11:12], v[21:22], v[11:12], 1.0
	v_mul_f64 v[9:10], v[23:24], v[11:12]
	v_mul_f64 v[11:12], v[17:18], v[11:12]
.LBB223_119:                            ;   in Loop: Header=BB223_113 Depth=1
	s_lshl_b32 s10, s10, 4
	s_addk_i32 s10, 0x140
	s_lshl_b32 s11, s9, 4
	s_add_i32 s6, s10, s11
	v_mov_b32_e32 v17, s6
	ds_read_b128 v[21:24], v17
	ds_read_b128 v[17:20], v17 offset:16
	s_mov_b64 s[6:7], -1
	ds_write_b128 v26, v[9:12]
	s_waitcnt lgkmcnt(2)
	v_mul_f64 v[27:28], v[11:12], v[23:24]
	v_mul_f64 v[23:24], v[9:10], v[23:24]
	s_waitcnt lgkmcnt(1)
	v_cmp_ngt_f64_e64 s[14:15], |v[17:18]|, |v[19:20]|
	v_fma_f64 v[27:28], v[9:10], v[21:22], -v[27:28]
	v_fma_f64 v[23:24], v[11:12], v[21:22], v[23:24]
	s_and_b64 vcc, exec, s[14:15]
	v_add_f64 v[21:22], v[13:14], -v[27:28]
	v_add_f64 v[23:24], v[15:16], -v[23:24]
                                        ; implicit-def: $vgpr15_vgpr16
	s_cbranch_vccz .LBB223_121
; %bb.120:                              ;   in Loop: Header=BB223_113 Depth=1
	v_div_scale_f64 v[13:14], s[6:7], v[19:20], v[19:20], v[17:18]
	v_rcp_f64_e32 v[15:16], v[13:14]
	v_fma_f64 v[27:28], -v[13:14], v[15:16], 1.0
	v_fma_f64 v[15:16], v[15:16], v[27:28], v[15:16]
	v_div_scale_f64 v[27:28], vcc, v[17:18], v[19:20], v[17:18]
	v_fma_f64 v[29:30], -v[13:14], v[15:16], 1.0
	v_fma_f64 v[15:16], v[15:16], v[29:30], v[15:16]
	v_mul_f64 v[29:30], v[27:28], v[15:16]
	v_fma_f64 v[13:14], -v[13:14], v[29:30], v[27:28]
	v_div_fmas_f64 v[13:14], v[13:14], v[15:16], v[29:30]
	v_div_fixup_f64 v[13:14], v[13:14], v[19:20], v[17:18]
	v_fma_f64 v[15:16], v[17:18], v[13:14], v[19:20]
	v_div_scale_f64 v[27:28], s[6:7], v[15:16], v[15:16], 1.0
	s_mov_b64 s[6:7], 0
	v_rcp_f64_e32 v[29:30], v[27:28]
	v_fma_f64 v[31:32], -v[27:28], v[29:30], 1.0
	v_fma_f64 v[29:30], v[29:30], v[31:32], v[29:30]
	v_div_scale_f64 v[31:32], vcc, 1.0, v[15:16], 1.0
	v_fma_f64 v[33:34], -v[27:28], v[29:30], 1.0
	v_fma_f64 v[29:30], v[29:30], v[33:34], v[29:30]
	v_mul_f64 v[33:34], v[31:32], v[29:30]
	v_fma_f64 v[27:28], -v[27:28], v[33:34], v[31:32]
	v_div_fmas_f64 v[27:28], v[27:28], v[29:30], v[33:34]
	v_fma_f64 v[29:30], v[13:14], v[21:22], v[23:24]
	v_div_fixup_f64 v[15:16], v[27:28], v[15:16], 1.0
	v_fma_f64 v[27:28], v[13:14], v[23:24], -v[21:22]
	v_mul_f64 v[13:14], v[29:30], v[15:16]
	v_mul_f64 v[15:16], v[27:28], v[15:16]
.LBB223_121:                            ;   in Loop: Header=BB223_113 Depth=1
	s_andn2_b64 vcc, exec, s[6:7]
	s_cbranch_vccnz .LBB223_123
; %bb.122:                              ;   in Loop: Header=BB223_113 Depth=1
	v_div_scale_f64 v[13:14], s[6:7], v[17:18], v[17:18], v[19:20]
	v_rcp_f64_e32 v[15:16], v[13:14]
	v_fma_f64 v[27:28], -v[13:14], v[15:16], 1.0
	v_fma_f64 v[15:16], v[15:16], v[27:28], v[15:16]
	v_div_scale_f64 v[27:28], vcc, v[19:20], v[17:18], v[19:20]
	v_fma_f64 v[29:30], -v[13:14], v[15:16], 1.0
	v_fma_f64 v[15:16], v[15:16], v[29:30], v[15:16]
	v_mul_f64 v[29:30], v[27:28], v[15:16]
	v_fma_f64 v[13:14], -v[13:14], v[29:30], v[27:28]
	v_div_fmas_f64 v[13:14], v[13:14], v[15:16], v[29:30]
	v_div_fixup_f64 v[13:14], v[13:14], v[17:18], v[19:20]
	v_fma_f64 v[15:16], v[19:20], v[13:14], v[17:18]
	v_div_scale_f64 v[17:18], s[6:7], v[15:16], v[15:16], 1.0
	v_rcp_f64_e32 v[19:20], v[17:18]
	v_fma_f64 v[27:28], -v[17:18], v[19:20], 1.0
	v_fma_f64 v[19:20], v[19:20], v[27:28], v[19:20]
	v_div_scale_f64 v[27:28], vcc, 1.0, v[15:16], 1.0
	v_fma_f64 v[29:30], -v[17:18], v[19:20], 1.0
	v_fma_f64 v[19:20], v[19:20], v[29:30], v[19:20]
	v_mul_f64 v[29:30], v[27:28], v[19:20]
	v_fma_f64 v[17:18], -v[17:18], v[29:30], v[27:28]
	v_div_fmas_f64 v[17:18], v[17:18], v[19:20], v[29:30]
	v_fma_f64 v[19:20], v[13:14], v[23:24], v[21:22]
	v_div_fixup_f64 v[15:16], v[17:18], v[15:16], 1.0
	v_fma_f64 v[17:18], -v[13:14], v[21:22], v[23:24]
	v_mul_f64 v[13:14], v[19:20], v[15:16]
	v_mul_f64 v[15:16], v[17:18], v[15:16]
.LBB223_123:                            ;   in Loop: Header=BB223_113 Depth=1
	s_addk_i32 s10, 0x140
	s_add_i32 s10, s10, s11
	v_mov_b32_e32 v33, s10
	ds_read_b128 v[17:20], v33
	ds_read_b128 v[21:24], v33 offset:16
	s_mov_b64 s[6:7], -1
	ds_write_b128 v26, v[13:16] offset:320
	s_waitcnt lgkmcnt(2)
	v_mul_f64 v[27:28], v[11:12], v[19:20]
	v_mul_f64 v[19:20], v[9:10], v[19:20]
	s_waitcnt lgkmcnt(1)
	v_mul_f64 v[29:30], v[15:16], v[23:24]
	v_mul_f64 v[23:24], v[13:14], v[23:24]
	v_fma_f64 v[27:28], v[9:10], v[17:18], -v[27:28]
	v_fma_f64 v[31:32], v[11:12], v[17:18], v[19:20]
	v_fma_f64 v[29:30], v[13:14], v[21:22], -v[29:30]
	v_fma_f64 v[21:22], v[15:16], v[21:22], v[23:24]
	ds_read_b128 v[17:20], v33 offset:32
	v_add_f64 v[5:6], v[5:6], -v[27:28]
	v_add_f64 v[7:8], v[7:8], -v[31:32]
	s_waitcnt lgkmcnt(0)
	v_cmp_ngt_f64_e64 s[14:15], |v[17:18]|, |v[19:20]|
	v_add_f64 v[5:6], v[5:6], -v[29:30]
	v_add_f64 v[7:8], v[7:8], -v[21:22]
	s_and_b64 vcc, exec, s[14:15]
                                        ; implicit-def: $vgpr23_vgpr24
	s_cbranch_vccz .LBB223_125
; %bb.124:                              ;   in Loop: Header=BB223_113 Depth=1
	v_div_scale_f64 v[21:22], s[6:7], v[19:20], v[19:20], v[17:18]
	v_rcp_f64_e32 v[23:24], v[21:22]
	v_fma_f64 v[27:28], -v[21:22], v[23:24], 1.0
	v_fma_f64 v[23:24], v[23:24], v[27:28], v[23:24]
	v_div_scale_f64 v[27:28], vcc, v[17:18], v[19:20], v[17:18]
	v_fma_f64 v[29:30], -v[21:22], v[23:24], 1.0
	v_fma_f64 v[23:24], v[23:24], v[29:30], v[23:24]
	v_mul_f64 v[29:30], v[27:28], v[23:24]
	v_fma_f64 v[21:22], -v[21:22], v[29:30], v[27:28]
	v_div_fmas_f64 v[21:22], v[21:22], v[23:24], v[29:30]
	v_div_fixup_f64 v[21:22], v[21:22], v[19:20], v[17:18]
	v_fma_f64 v[23:24], v[17:18], v[21:22], v[19:20]
	v_div_scale_f64 v[27:28], s[6:7], v[23:24], v[23:24], 1.0
	s_mov_b64 s[6:7], 0
	v_rcp_f64_e32 v[29:30], v[27:28]
	v_fma_f64 v[31:32], -v[27:28], v[29:30], 1.0
	v_fma_f64 v[29:30], v[29:30], v[31:32], v[29:30]
	v_div_scale_f64 v[31:32], vcc, 1.0, v[23:24], 1.0
	v_fma_f64 v[33:34], -v[27:28], v[29:30], 1.0
	v_fma_f64 v[29:30], v[29:30], v[33:34], v[29:30]
	v_mul_f64 v[33:34], v[31:32], v[29:30]
	v_fma_f64 v[27:28], -v[27:28], v[33:34], v[31:32]
	v_div_fmas_f64 v[27:28], v[27:28], v[29:30], v[33:34]
	v_fma_f64 v[29:30], v[21:22], v[5:6], v[7:8]
	v_div_fixup_f64 v[23:24], v[27:28], v[23:24], 1.0
	v_fma_f64 v[27:28], v[21:22], v[7:8], -v[5:6]
	v_mul_f64 v[21:22], v[29:30], v[23:24]
	v_mul_f64 v[23:24], v[27:28], v[23:24]
.LBB223_125:                            ;   in Loop: Header=BB223_113 Depth=1
	s_andn2_b64 vcc, exec, s[6:7]
	s_cbranch_vccnz .LBB223_127
; %bb.126:                              ;   in Loop: Header=BB223_113 Depth=1
	v_div_scale_f64 v[21:22], s[6:7], v[17:18], v[17:18], v[19:20]
	v_rcp_f64_e32 v[23:24], v[21:22]
	v_fma_f64 v[27:28], -v[21:22], v[23:24], 1.0
	v_fma_f64 v[23:24], v[23:24], v[27:28], v[23:24]
	v_div_scale_f64 v[27:28], vcc, v[19:20], v[17:18], v[19:20]
	v_fma_f64 v[29:30], -v[21:22], v[23:24], 1.0
	v_fma_f64 v[23:24], v[23:24], v[29:30], v[23:24]
	v_mul_f64 v[29:30], v[27:28], v[23:24]
	v_fma_f64 v[21:22], -v[21:22], v[29:30], v[27:28]
	v_div_fmas_f64 v[21:22], v[21:22], v[23:24], v[29:30]
	v_div_fixup_f64 v[21:22], v[21:22], v[17:18], v[19:20]
	v_fma_f64 v[17:18], v[19:20], v[21:22], v[17:18]
	v_div_scale_f64 v[19:20], s[6:7], v[17:18], v[17:18], 1.0
	v_rcp_f64_e32 v[23:24], v[19:20]
	v_fma_f64 v[27:28], -v[19:20], v[23:24], 1.0
	v_fma_f64 v[23:24], v[23:24], v[27:28], v[23:24]
	v_div_scale_f64 v[27:28], vcc, 1.0, v[17:18], 1.0
	v_fma_f64 v[29:30], -v[19:20], v[23:24], 1.0
	v_fma_f64 v[23:24], v[23:24], v[29:30], v[23:24]
	v_mul_f64 v[29:30], v[27:28], v[23:24]
	v_fma_f64 v[19:20], -v[19:20], v[29:30], v[27:28]
	v_div_fmas_f64 v[19:20], v[19:20], v[23:24], v[29:30]
	v_fma_f64 v[23:24], v[21:22], v[7:8], v[5:6]
	v_fma_f64 v[5:6], -v[21:22], v[5:6], v[7:8]
	v_div_fixup_f64 v[17:18], v[19:20], v[17:18], 1.0
	v_mul_f64 v[21:22], v[23:24], v[17:18]
	v_mul_f64 v[23:24], v[5:6], v[17:18]
.LBB223_127:                            ;   in Loop: Header=BB223_113 Depth=1
	v_mov_b32_e32 v35, s10
	ds_read_b128 v[5:8], v35 offset:320
	ds_read_b128 v[17:20], v35 offset:336
	;; [unrolled: 1-line block ×3, first 2 shown]
	s_mov_b64 s[6:7], -1
	ds_write_b128 v26, v[21:24] offset:640
	s_waitcnt lgkmcnt(3)
	v_mul_f64 v[31:32], v[11:12], v[7:8]
	v_mul_f64 v[7:8], v[9:10], v[7:8]
	s_waitcnt lgkmcnt(2)
	v_mul_f64 v[33:34], v[15:16], v[19:20]
	v_mul_f64 v[19:20], v[13:14], v[19:20]
	v_fma_f64 v[9:10], v[9:10], v[5:6], -v[31:32]
	v_fma_f64 v[11:12], v[11:12], v[5:6], v[7:8]
	ds_read_b128 v[5:8], v35 offset:368
	s_waitcnt lgkmcnt(2)
	v_mul_f64 v[31:32], v[23:24], v[29:30]
	v_mul_f64 v[29:30], v[21:22], v[29:30]
	v_fma_f64 v[13:14], v[13:14], v[17:18], -v[33:34]
	v_fma_f64 v[15:16], v[15:16], v[17:18], v[19:20]
	s_waitcnt lgkmcnt(0)
	v_cmp_ngt_f64_e64 s[10:11], |v[5:6]|, |v[7:8]|
	v_add_f64 v[1:2], v[1:2], -v[9:10]
	v_add_f64 v[3:4], v[3:4], -v[11:12]
	v_fma_f64 v[9:10], v[21:22], v[27:28], -v[31:32]
	v_fma_f64 v[11:12], v[23:24], v[27:28], v[29:30]
	s_and_b64 vcc, exec, s[10:11]
	v_add_f64 v[1:2], v[1:2], -v[13:14]
	v_add_f64 v[3:4], v[3:4], -v[15:16]
	;; [unrolled: 1-line block ×4, first 2 shown]
                                        ; implicit-def: $vgpr3_vgpr4
	s_cbranch_vccz .LBB223_129
; %bb.128:                              ;   in Loop: Header=BB223_113 Depth=1
	v_div_scale_f64 v[1:2], s[6:7], v[7:8], v[7:8], v[5:6]
	v_rcp_f64_e32 v[3:4], v[1:2]
	v_fma_f64 v[13:14], -v[1:2], v[3:4], 1.0
	v_fma_f64 v[3:4], v[3:4], v[13:14], v[3:4]
	v_div_scale_f64 v[13:14], vcc, v[5:6], v[7:8], v[5:6]
	v_fma_f64 v[15:16], -v[1:2], v[3:4], 1.0
	v_fma_f64 v[3:4], v[3:4], v[15:16], v[3:4]
	v_mul_f64 v[15:16], v[13:14], v[3:4]
	v_fma_f64 v[1:2], -v[1:2], v[15:16], v[13:14]
	v_div_fmas_f64 v[1:2], v[1:2], v[3:4], v[15:16]
	v_div_fixup_f64 v[1:2], v[1:2], v[7:8], v[5:6]
	v_fma_f64 v[3:4], v[5:6], v[1:2], v[7:8]
	v_div_scale_f64 v[13:14], s[6:7], v[3:4], v[3:4], 1.0
	s_mov_b64 s[6:7], 0
	v_rcp_f64_e32 v[15:16], v[13:14]
	v_fma_f64 v[17:18], -v[13:14], v[15:16], 1.0
	v_fma_f64 v[15:16], v[15:16], v[17:18], v[15:16]
	v_div_scale_f64 v[17:18], vcc, 1.0, v[3:4], 1.0
	v_fma_f64 v[19:20], -v[13:14], v[15:16], 1.0
	v_fma_f64 v[15:16], v[15:16], v[19:20], v[15:16]
	v_mul_f64 v[19:20], v[17:18], v[15:16]
	v_fma_f64 v[13:14], -v[13:14], v[19:20], v[17:18]
	v_div_fmas_f64 v[13:14], v[13:14], v[15:16], v[19:20]
	v_fma_f64 v[15:16], v[1:2], v[9:10], v[11:12]
	v_div_fixup_f64 v[3:4], v[13:14], v[3:4], 1.0
	v_fma_f64 v[13:14], v[1:2], v[11:12], -v[9:10]
	v_mul_f64 v[1:2], v[15:16], v[3:4]
	v_mul_f64 v[3:4], v[13:14], v[3:4]
.LBB223_129:                            ;   in Loop: Header=BB223_113 Depth=1
	s_andn2_b64 vcc, exec, s[6:7]
	s_cbranch_vccnz .LBB223_131
; %bb.130:                              ;   in Loop: Header=BB223_113 Depth=1
	v_div_scale_f64 v[1:2], s[6:7], v[5:6], v[5:6], v[7:8]
	v_rcp_f64_e32 v[3:4], v[1:2]
	v_fma_f64 v[13:14], -v[1:2], v[3:4], 1.0
	v_fma_f64 v[3:4], v[3:4], v[13:14], v[3:4]
	v_div_scale_f64 v[13:14], vcc, v[7:8], v[5:6], v[7:8]
	v_fma_f64 v[15:16], -v[1:2], v[3:4], 1.0
	v_fma_f64 v[3:4], v[3:4], v[15:16], v[3:4]
	v_mul_f64 v[15:16], v[13:14], v[3:4]
	v_fma_f64 v[1:2], -v[1:2], v[15:16], v[13:14]
	v_div_fmas_f64 v[1:2], v[1:2], v[3:4], v[15:16]
	v_div_fixup_f64 v[1:2], v[1:2], v[5:6], v[7:8]
	v_fma_f64 v[3:4], v[7:8], v[1:2], v[5:6]
	v_div_scale_f64 v[5:6], s[6:7], v[3:4], v[3:4], 1.0
	v_rcp_f64_e32 v[7:8], v[5:6]
	v_fma_f64 v[13:14], -v[5:6], v[7:8], 1.0
	v_fma_f64 v[7:8], v[7:8], v[13:14], v[7:8]
	v_div_scale_f64 v[13:14], vcc, 1.0, v[3:4], 1.0
	v_fma_f64 v[15:16], -v[5:6], v[7:8], 1.0
	v_fma_f64 v[7:8], v[7:8], v[15:16], v[7:8]
	v_mul_f64 v[15:16], v[13:14], v[7:8]
	v_fma_f64 v[5:6], -v[5:6], v[15:16], v[13:14]
	v_div_fmas_f64 v[5:6], v[5:6], v[7:8], v[15:16]
	v_fma_f64 v[7:8], v[1:2], v[11:12], v[9:10]
	v_div_fixup_f64 v[3:4], v[5:6], v[3:4], 1.0
	v_fma_f64 v[5:6], -v[1:2], v[9:10], v[11:12]
	v_mul_f64 v[1:2], v[7:8], v[3:4]
	v_mul_f64 v[3:4], v[5:6], v[3:4]
.LBB223_131:                            ;   in Loop: Header=BB223_113 Depth=1
	s_add_i32 s10, s9, 4
	s_add_i32 s6, s9, 7
	s_addk_i32 s8, 0x500
	s_cmp_ge_i32 s6, s25
	ds_write_b128 v26, v[1:4] offset:960
	s_cbranch_scc1 .LBB223_133
; %bb.132:                              ;   in Loop: Header=BB223_113 Depth=1
	s_mov_b32 s9, s10
	s_branch .LBB223_113
.LBB223_133:
	s_cmp_ge_i32 s10, s25
	s_cbranch_scc1 .LBB223_142
; %bb.134:
	v_mov_b32_e32 v1, 0x1900
	v_lshl_add_u32 v13, v0, 4, v1
	s_mul_i32 s8, s10, 0x140
	s_branch .LBB223_136
.LBB223_135:                            ;   in Loop: Header=BB223_136 Depth=1
	s_add_i32 s10, s10, 1
	s_addk_i32 s8, 0x140
	s_cmp_ge_i32 s10, s25
	ds_write_b128 v14, v[9:12]
	s_cbranch_scc1 .LBB223_142
.LBB223_136:                            ; =>This Loop Header: Depth=1
                                        ;     Child Loop BB223_137 Depth 2
	s_mul_i32 s6, s10, 0x140
	v_add_u32_e32 v14, s6, v25
	ds_read_b128 v[1:4], v14
	s_cmp_eq_u32 s10, 0
	s_mov_b32 s6, s8
	v_mov_b32_e32 v5, v13
	s_mov_b32 s7, s10
	s_cbranch_scc1 .LBB223_138
.LBB223_137:                            ;   Parent Loop BB223_136 Depth=1
                                        ; =>  This Inner Loop Header: Depth=2
	v_mov_b32_e32 v10, s6
	ds_read_b128 v[6:9], v5
	ds_read_b128 v[15:18], v10
	s_add_i32 s7, s7, -1
	s_add_i32 s6, s6, 16
	s_cmp_eq_u32 s7, 0
	v_add_u32_e32 v5, 0x140, v5
	s_waitcnt lgkmcnt(0)
	v_mul_f64 v[10:11], v[17:18], v[8:9]
	v_mul_f64 v[8:9], v[15:16], v[8:9]
	v_fma_f64 v[10:11], v[15:16], v[6:7], -v[10:11]
	v_fma_f64 v[6:7], v[17:18], v[6:7], v[8:9]
	v_add_f64 v[1:2], v[1:2], -v[10:11]
	v_add_f64 v[3:4], v[3:4], -v[6:7]
	s_cbranch_scc0 .LBB223_137
.LBB223_138:                            ;   in Loop: Header=BB223_136 Depth=1
	s_mul_i32 s6, s10, 0x150
	v_mov_b32_e32 v5, s6
	ds_read_b128 v[5:8], v5
	s_mov_b64 s[6:7], -1
                                        ; implicit-def: $vgpr9_vgpr10
	s_waitcnt lgkmcnt(0)
	v_cmp_ngt_f64_e64 s[14:15], |v[5:6]|, |v[7:8]|
	s_and_b64 vcc, exec, s[14:15]
	s_cbranch_vccz .LBB223_140
; %bb.139:                              ;   in Loop: Header=BB223_136 Depth=1
	v_div_scale_f64 v[9:10], s[6:7], v[7:8], v[7:8], v[5:6]
	v_rcp_f64_e32 v[11:12], v[9:10]
	v_fma_f64 v[15:16], -v[9:10], v[11:12], 1.0
	v_fma_f64 v[11:12], v[11:12], v[15:16], v[11:12]
	v_div_scale_f64 v[15:16], vcc, v[5:6], v[7:8], v[5:6]
	v_fma_f64 v[17:18], -v[9:10], v[11:12], 1.0
	v_fma_f64 v[11:12], v[11:12], v[17:18], v[11:12]
	v_mul_f64 v[17:18], v[15:16], v[11:12]
	v_fma_f64 v[9:10], -v[9:10], v[17:18], v[15:16]
	v_div_fmas_f64 v[9:10], v[9:10], v[11:12], v[17:18]
	v_div_fixup_f64 v[9:10], v[9:10], v[7:8], v[5:6]
	v_fma_f64 v[11:12], v[5:6], v[9:10], v[7:8]
	v_div_scale_f64 v[15:16], s[6:7], v[11:12], v[11:12], 1.0
	s_mov_b64 s[6:7], 0
	v_rcp_f64_e32 v[17:18], v[15:16]
	v_fma_f64 v[19:20], -v[15:16], v[17:18], 1.0
	v_fma_f64 v[17:18], v[17:18], v[19:20], v[17:18]
	v_div_scale_f64 v[19:20], vcc, 1.0, v[11:12], 1.0
	v_fma_f64 v[21:22], -v[15:16], v[17:18], 1.0
	v_fma_f64 v[17:18], v[17:18], v[21:22], v[17:18]
	v_mul_f64 v[21:22], v[19:20], v[17:18]
	v_fma_f64 v[15:16], -v[15:16], v[21:22], v[19:20]
	v_div_fmas_f64 v[15:16], v[15:16], v[17:18], v[21:22]
	v_fma_f64 v[17:18], v[1:2], v[9:10], v[3:4]
	v_div_fixup_f64 v[11:12], v[15:16], v[11:12], 1.0
	v_fma_f64 v[15:16], v[3:4], v[9:10], -v[1:2]
	v_mul_f64 v[9:10], v[17:18], v[11:12]
	v_mul_f64 v[11:12], v[15:16], v[11:12]
.LBB223_140:                            ;   in Loop: Header=BB223_136 Depth=1
	s_andn2_b64 vcc, exec, s[6:7]
	s_cbranch_vccnz .LBB223_135
; %bb.141:                              ;   in Loop: Header=BB223_136 Depth=1
	v_div_scale_f64 v[9:10], s[6:7], v[5:6], v[5:6], v[7:8]
	v_rcp_f64_e32 v[11:12], v[9:10]
	v_fma_f64 v[15:16], -v[9:10], v[11:12], 1.0
	v_fma_f64 v[11:12], v[11:12], v[15:16], v[11:12]
	v_div_scale_f64 v[15:16], vcc, v[7:8], v[5:6], v[7:8]
	v_fma_f64 v[17:18], -v[9:10], v[11:12], 1.0
	v_fma_f64 v[11:12], v[11:12], v[17:18], v[11:12]
	v_mul_f64 v[17:18], v[15:16], v[11:12]
	v_fma_f64 v[9:10], -v[9:10], v[17:18], v[15:16]
	v_div_fmas_f64 v[9:10], v[9:10], v[11:12], v[17:18]
	v_div_fixup_f64 v[9:10], v[9:10], v[5:6], v[7:8]
	v_fma_f64 v[5:6], v[7:8], v[9:10], v[5:6]
	v_div_scale_f64 v[7:8], s[6:7], v[5:6], v[5:6], 1.0
	v_rcp_f64_e32 v[11:12], v[7:8]
	v_fma_f64 v[15:16], -v[7:8], v[11:12], 1.0
	v_fma_f64 v[11:12], v[11:12], v[15:16], v[11:12]
	v_div_scale_f64 v[15:16], vcc, 1.0, v[5:6], 1.0
	v_fma_f64 v[17:18], -v[7:8], v[11:12], 1.0
	v_fma_f64 v[11:12], v[11:12], v[17:18], v[11:12]
	v_mul_f64 v[17:18], v[15:16], v[11:12]
	v_fma_f64 v[7:8], -v[7:8], v[17:18], v[15:16]
	v_div_fmas_f64 v[7:8], v[7:8], v[11:12], v[17:18]
	v_fma_f64 v[11:12], v[3:4], v[9:10], v[1:2]
	v_fma_f64 v[1:2], -v[1:2], v[9:10], v[3:4]
	v_div_fixup_f64 v[5:6], v[7:8], v[5:6], 1.0
	v_mul_f64 v[9:10], v[11:12], v[5:6]
	v_mul_f64 v[11:12], v[1:2], v[5:6]
	s_branch .LBB223_135
.LBB223_142:
	s_and_saveexec_b64 s[6:7], s[0:1]
	s_cbranch_execz .LBB223_146
; %bb.143:
	s_cmp_lt_i32 s24, 1
	s_cbranch_scc1 .LBB223_146
; %bb.144:
	s_lshl_b64 s[0:1], s[4:5], 4
	s_add_u32 s2, s2, s0
	s_addc_u32 s3, s3, s1
	s_lshl_b64 s[0:1], s[20:21], 4
	s_add_u32 s0, s2, s0
	s_addc_u32 s1, s3, s1
	s_add_u32 s0, s0, s19
	s_addc_u32 s1, s1, s18
	s_ashr_i32 s13, s12, 31
	v_lshlrev_b32_e32 v2, 4, v0
	v_mov_b32_e32 v1, s1
	v_add_co_u32_e32 v0, vcc, s0, v2
	s_lshl_b64 s[0:1], s[12:13], 4
	v_addc_co_u32_e32 v1, vcc, 0, v1, vcc
	v_add_u32_e32 v2, 0x1900, v2
	v_mov_b32_e32 v3, s1
.LBB223_145:                            ; =>This Inner Loop Header: Depth=1
	ds_read2_b64 v[4:7], v2 offset1:1
	s_add_i32 s24, s24, -1
	v_add_u32_e32 v2, 0x140, v2
	s_cmp_lg_u32 s24, 0
	s_waitcnt lgkmcnt(0)
	global_store_dwordx4 v[0:1], v[4:7], off
	v_add_co_u32_e32 v0, vcc, s0, v0
	v_addc_co_u32_e32 v1, vcc, v1, v3, vcc
	s_cbranch_scc1 .LBB223_145
.LBB223_146:
	s_endpgm
	.section	.rodata,"a",@progbits
	.p2align	6, 0x0
	.amdhsa_kernel _ZL31rocblas_trsm_small_right_deviceI19rocblas_complex_numIdES1_PKS1_PS1_Li20EEv13rocblas_fill_18rocblas_operation_17rocblas_diagonal_iiT0_T1_lilT2_lili
		.amdhsa_group_segment_fixed_size 12800
		.amdhsa_private_segment_fixed_size 0
		.amdhsa_kernarg_size 368
		.amdhsa_user_sgpr_count 6
		.amdhsa_user_sgpr_private_segment_buffer 1
		.amdhsa_user_sgpr_dispatch_ptr 0
		.amdhsa_user_sgpr_queue_ptr 0
		.amdhsa_user_sgpr_kernarg_segment_ptr 1
		.amdhsa_user_sgpr_dispatch_id 0
		.amdhsa_user_sgpr_flat_scratch_init 0
		.amdhsa_user_sgpr_private_segment_size 0
		.amdhsa_uses_dynamic_stack 0
		.amdhsa_system_sgpr_private_segment_wavefront_offset 0
		.amdhsa_system_sgpr_workgroup_id_x 1
		.amdhsa_system_sgpr_workgroup_id_y 0
		.amdhsa_system_sgpr_workgroup_id_z 1
		.amdhsa_system_sgpr_workgroup_info 0
		.amdhsa_system_vgpr_workitem_id 0
		.amdhsa_next_free_vgpr 85
		.amdhsa_next_free_sgpr 98
		.amdhsa_reserve_vcc 1
		.amdhsa_reserve_flat_scratch 0
		.amdhsa_float_round_mode_32 0
		.amdhsa_float_round_mode_16_64 0
		.amdhsa_float_denorm_mode_32 3
		.amdhsa_float_denorm_mode_16_64 3
		.amdhsa_dx10_clamp 1
		.amdhsa_ieee_mode 1
		.amdhsa_fp16_overflow 0
		.amdhsa_exception_fp_ieee_invalid_op 0
		.amdhsa_exception_fp_denorm_src 0
		.amdhsa_exception_fp_ieee_div_zero 0
		.amdhsa_exception_fp_ieee_overflow 0
		.amdhsa_exception_fp_ieee_underflow 0
		.amdhsa_exception_fp_ieee_inexact 0
		.amdhsa_exception_int_div_zero 0
	.end_amdhsa_kernel
	.section	.text._ZL31rocblas_trsm_small_right_deviceI19rocblas_complex_numIdES1_PKS1_PS1_Li20EEv13rocblas_fill_18rocblas_operation_17rocblas_diagonal_iiT0_T1_lilT2_lili,"axG",@progbits,_ZL31rocblas_trsm_small_right_deviceI19rocblas_complex_numIdES1_PKS1_PS1_Li20EEv13rocblas_fill_18rocblas_operation_17rocblas_diagonal_iiT0_T1_lilT2_lili,comdat
.Lfunc_end223:
	.size	_ZL31rocblas_trsm_small_right_deviceI19rocblas_complex_numIdES1_PKS1_PS1_Li20EEv13rocblas_fill_18rocblas_operation_17rocblas_diagonal_iiT0_T1_lilT2_lili, .Lfunc_end223-_ZL31rocblas_trsm_small_right_deviceI19rocblas_complex_numIdES1_PKS1_PS1_Li20EEv13rocblas_fill_18rocblas_operation_17rocblas_diagonal_iiT0_T1_lilT2_lili
                                        ; -- End function
	.set _ZL31rocblas_trsm_small_right_deviceI19rocblas_complex_numIdES1_PKS1_PS1_Li20EEv13rocblas_fill_18rocblas_operation_17rocblas_diagonal_iiT0_T1_lilT2_lili.num_vgpr, 53
	.set _ZL31rocblas_trsm_small_right_deviceI19rocblas_complex_numIdES1_PKS1_PS1_Li20EEv13rocblas_fill_18rocblas_operation_17rocblas_diagonal_iiT0_T1_lilT2_lili.num_agpr, 0
	.set _ZL31rocblas_trsm_small_right_deviceI19rocblas_complex_numIdES1_PKS1_PS1_Li20EEv13rocblas_fill_18rocblas_operation_17rocblas_diagonal_iiT0_T1_lilT2_lili.numbered_sgpr, 29
	.set _ZL31rocblas_trsm_small_right_deviceI19rocblas_complex_numIdES1_PKS1_PS1_Li20EEv13rocblas_fill_18rocblas_operation_17rocblas_diagonal_iiT0_T1_lilT2_lili.num_named_barrier, 0
	.set _ZL31rocblas_trsm_small_right_deviceI19rocblas_complex_numIdES1_PKS1_PS1_Li20EEv13rocblas_fill_18rocblas_operation_17rocblas_diagonal_iiT0_T1_lilT2_lili.private_seg_size, 0
	.set _ZL31rocblas_trsm_small_right_deviceI19rocblas_complex_numIdES1_PKS1_PS1_Li20EEv13rocblas_fill_18rocblas_operation_17rocblas_diagonal_iiT0_T1_lilT2_lili.uses_vcc, 1
	.set _ZL31rocblas_trsm_small_right_deviceI19rocblas_complex_numIdES1_PKS1_PS1_Li20EEv13rocblas_fill_18rocblas_operation_17rocblas_diagonal_iiT0_T1_lilT2_lili.uses_flat_scratch, 0
	.set _ZL31rocblas_trsm_small_right_deviceI19rocblas_complex_numIdES1_PKS1_PS1_Li20EEv13rocblas_fill_18rocblas_operation_17rocblas_diagonal_iiT0_T1_lilT2_lili.has_dyn_sized_stack, 0
	.set _ZL31rocblas_trsm_small_right_deviceI19rocblas_complex_numIdES1_PKS1_PS1_Li20EEv13rocblas_fill_18rocblas_operation_17rocblas_diagonal_iiT0_T1_lilT2_lili.has_recursion, 0
	.set _ZL31rocblas_trsm_small_right_deviceI19rocblas_complex_numIdES1_PKS1_PS1_Li20EEv13rocblas_fill_18rocblas_operation_17rocblas_diagonal_iiT0_T1_lilT2_lili.has_indirect_call, 0
	.section	.AMDGPU.csdata,"",@progbits
; Kernel info:
; codeLenInByte = 14568
; TotalNumSgprs: 33
; NumVgprs: 53
; ScratchSize: 0
; MemoryBound: 0
; FloatMode: 240
; IeeeMode: 1
; LDSByteSize: 12800 bytes/workgroup (compile time only)
; SGPRBlocks: 12
; VGPRBlocks: 21
; NumSGPRsForWavesPerEU: 102
; NumVGPRsForWavesPerEU: 85
; Occupancy: 2
; WaveLimiterHint : 0
; COMPUTE_PGM_RSRC2:SCRATCH_EN: 0
; COMPUTE_PGM_RSRC2:USER_SGPR: 6
; COMPUTE_PGM_RSRC2:TRAP_HANDLER: 0
; COMPUTE_PGM_RSRC2:TGID_X_EN: 1
; COMPUTE_PGM_RSRC2:TGID_Y_EN: 0
; COMPUTE_PGM_RSRC2:TGID_Z_EN: 1
; COMPUTE_PGM_RSRC2:TIDIG_COMP_CNT: 0
	.section	.text._ZL38rocblas_trsm_small_left_device_sharedBILi24ELi24ELb0E19rocblas_complex_numIdES1_PKS1_PS1_Ev13rocblas_fill_18rocblas_operation_17rocblas_diagonal_iiT3_T4_lilT5_lili,"axG",@progbits,_ZL38rocblas_trsm_small_left_device_sharedBILi24ELi24ELb0E19rocblas_complex_numIdES1_PKS1_PS1_Ev13rocblas_fill_18rocblas_operation_17rocblas_diagonal_iiT3_T4_lilT5_lili,comdat
	.globl	_ZL38rocblas_trsm_small_left_device_sharedBILi24ELi24ELb0E19rocblas_complex_numIdES1_PKS1_PS1_Ev13rocblas_fill_18rocblas_operation_17rocblas_diagonal_iiT3_T4_lilT5_lili ; -- Begin function _ZL38rocblas_trsm_small_left_device_sharedBILi24ELi24ELb0E19rocblas_complex_numIdES1_PKS1_PS1_Ev13rocblas_fill_18rocblas_operation_17rocblas_diagonal_iiT3_T4_lilT5_lili
	.p2align	8
	.type	_ZL38rocblas_trsm_small_left_device_sharedBILi24ELi24ELb0E19rocblas_complex_numIdES1_PKS1_PS1_Ev13rocblas_fill_18rocblas_operation_17rocblas_diagonal_iiT3_T4_lilT5_lili,@function
_ZL38rocblas_trsm_small_left_device_sharedBILi24ELi24ELb0E19rocblas_complex_numIdES1_PKS1_PS1_Ev13rocblas_fill_18rocblas_operation_17rocblas_diagonal_iiT3_T4_lilT5_lili: ; @_ZL38rocblas_trsm_small_left_device_sharedBILi24ELi24ELb0E19rocblas_complex_numIdES1_PKS1_PS1_Ev13rocblas_fill_18rocblas_operation_17rocblas_diagonal_iiT3_T4_lilT5_lili
; %bb.0:
	s_add_u32 s0, s0, s8
	s_load_dwordx4 s[20:23], s[4:5], 0x4
	s_load_dwordx8 s[12:19], s[4:5], 0x18
	s_load_dwordx4 s[8:11], s[4:5], 0x40
	s_load_dwordx2 s[24:25], s[4:5], 0x50
	s_load_dword s29, s[4:5], 0x70
	s_addc_u32 s1, s1, 0
	s_waitcnt lgkmcnt(0)
	s_min_i32 s28, s22, 24
	v_cmp_gt_i32_e32 vcc, s28, v0
	s_and_saveexec_b64 s[26:27], vcc
	s_cbranch_execz .LBB224_11
; %bb.1:
	s_load_dword s30, s[4:5], 0x38
	s_mul_i32 s9, s9, s7
	s_mul_hi_u32 s33, s8, s7
	s_mul_i32 s8, s8, s7
	v_lshlrev_b32_e32 v3, 4, v0
	s_waitcnt lgkmcnt(0)
	s_ashr_i32 s31, s30, 31
	s_cmpk_eq_i32 s20, 0x71
	s_cselect_b64 vcc, -1, 0
	s_add_i32 s9, s33, s9
	s_lshl_b64 s[8:9], s[8:9], 4
	s_lshl_b64 s[18:19], s[18:19], 4
	s_add_u32 s8, s8, s18
	s_addc_u32 s9, s9, s19
	s_add_u32 s8, s16, s8
	s_addc_u32 s9, s17, s9
	v_mov_b32_e32 v1, s9
	v_add_co_u32_e64 v2, s[8:9], s8, v3
	v_addc_co_u32_e64 v4, s[8:9], 0, v1, s[8:9]
	v_add_co_u32_e64 v1, s[8:9], 8, v2
	s_lshl_b64 s[16:17], s[30:31], 4
	v_addc_co_u32_e64 v2, s[8:9], 0, v4, s[8:9]
	v_mov_b32_e32 v4, s17
	v_mov_b32_e32 v5, v3
	s_mov_b32 s17, s28
.LBB224_2:                              ; =>This Inner Loop Header: Depth=1
	global_load_dwordx4 v[6:9], v[1:2], off offset:-8
	s_add_i32 s17, s17, -1
	v_add_co_u32_e64 v1, s[8:9], s16, v1
	v_addc_co_u32_e64 v2, s[8:9], v2, v4, s[8:9]
	s_cmp_eq_u32 s17, 0
	s_waitcnt vmcnt(0)
	v_xor_b32_e32 v10, 0x80000000, v9
	v_cndmask_b32_e32 v9, v9, v10, vcc
	ds_write_b128 v5, v[6:9]
	v_add_u32_e32 v5, 0x180, v5
	s_cbranch_scc0 .LBB224_2
; %bb.3:
	v_mul_u32_u24_e32 v1, 0x180, v0
	s_cmpk_lg_i32 s21, 0x84
	v_add_u32_e32 v9, v3, v1
	s_cbranch_scc0 .LBB224_9
; %bb.4:
	ds_read_b128 v[1:4], v9
                                        ; implicit-def: $vgpr7_vgpr8
	s_waitcnt lgkmcnt(0)
	v_cmp_ngt_f64_e64 s[8:9], |v[1:2]|, |v[3:4]|
	s_and_saveexec_b64 s[16:17], s[8:9]
	s_xor_b64 s[8:9], exec, s[16:17]
	s_cbranch_execz .LBB224_6
; %bb.5:
	v_div_scale_f64 v[5:6], s[16:17], v[3:4], v[3:4], v[1:2]
	v_rcp_f64_e32 v[7:8], v[5:6]
	v_fma_f64 v[10:11], -v[5:6], v[7:8], 1.0
	v_fma_f64 v[7:8], v[7:8], v[10:11], v[7:8]
	v_div_scale_f64 v[10:11], vcc, v[1:2], v[3:4], v[1:2]
	v_fma_f64 v[12:13], -v[5:6], v[7:8], 1.0
	v_fma_f64 v[7:8], v[7:8], v[12:13], v[7:8]
	v_mul_f64 v[12:13], v[10:11], v[7:8]
	v_fma_f64 v[5:6], -v[5:6], v[12:13], v[10:11]
	v_div_fmas_f64 v[5:6], v[5:6], v[7:8], v[12:13]
	v_div_fixup_f64 v[5:6], v[5:6], v[3:4], v[1:2]
	v_fma_f64 v[1:2], v[1:2], v[5:6], v[3:4]
	v_div_scale_f64 v[3:4], s[16:17], v[1:2], v[1:2], 1.0
	v_rcp_f64_e32 v[7:8], v[3:4]
	v_fma_f64 v[10:11], -v[3:4], v[7:8], 1.0
	v_fma_f64 v[7:8], v[7:8], v[10:11], v[7:8]
	v_div_scale_f64 v[10:11], vcc, 1.0, v[1:2], 1.0
	v_fma_f64 v[12:13], -v[3:4], v[7:8], 1.0
	v_fma_f64 v[7:8], v[7:8], v[12:13], v[7:8]
	v_mul_f64 v[12:13], v[10:11], v[7:8]
	v_fma_f64 v[3:4], -v[3:4], v[12:13], v[10:11]
	v_div_fmas_f64 v[3:4], v[3:4], v[7:8], v[12:13]
	v_add_f64 v[7:8], v[5:6], 0
	v_div_fixup_f64 v[1:2], v[3:4], v[1:2], 1.0
	v_fma_f64 v[3:4], v[5:6], 0, -1.0
	v_mul_f64 v[5:6], v[7:8], v[1:2]
	v_mul_f64 v[7:8], v[3:4], v[1:2]
                                        ; implicit-def: $vgpr1_vgpr2
.LBB224_6:
	s_andn2_saveexec_b64 s[8:9], s[8:9]
	s_cbranch_execz .LBB224_8
; %bb.7:
	v_div_scale_f64 v[5:6], s[16:17], v[1:2], v[1:2], v[3:4]
	v_rcp_f64_e32 v[7:8], v[5:6]
	v_fma_f64 v[10:11], -v[5:6], v[7:8], 1.0
	v_fma_f64 v[7:8], v[7:8], v[10:11], v[7:8]
	v_div_scale_f64 v[10:11], vcc, v[3:4], v[1:2], v[3:4]
	v_fma_f64 v[12:13], -v[5:6], v[7:8], 1.0
	v_fma_f64 v[7:8], v[7:8], v[12:13], v[7:8]
	v_mul_f64 v[12:13], v[10:11], v[7:8]
	v_fma_f64 v[5:6], -v[5:6], v[12:13], v[10:11]
	v_div_fmas_f64 v[5:6], v[5:6], v[7:8], v[12:13]
	v_div_fixup_f64 v[5:6], v[5:6], v[1:2], v[3:4]
	v_fma_f64 v[1:2], v[3:4], v[5:6], v[1:2]
	v_div_scale_f64 v[3:4], s[16:17], v[1:2], v[1:2], 1.0
	v_rcp_f64_e32 v[7:8], v[3:4]
	v_fma_f64 v[10:11], -v[3:4], v[7:8], 1.0
	v_fma_f64 v[7:8], v[7:8], v[10:11], v[7:8]
	v_div_scale_f64 v[10:11], vcc, 1.0, v[1:2], 1.0
	v_fma_f64 v[12:13], -v[3:4], v[7:8], 1.0
	v_fma_f64 v[7:8], v[7:8], v[12:13], v[7:8]
	v_mul_f64 v[12:13], v[10:11], v[7:8]
	v_fma_f64 v[3:4], -v[3:4], v[12:13], v[10:11]
	v_div_fmas_f64 v[3:4], v[3:4], v[7:8], v[12:13]
	v_fma_f64 v[7:8], v[5:6], 0, 1.0
	v_div_fixup_f64 v[1:2], v[3:4], v[1:2], 1.0
	v_add_f64 v[3:4], -v[5:6], 0
	v_mul_f64 v[5:6], v[7:8], v[1:2]
	v_mul_f64 v[7:8], v[3:4], v[1:2]
.LBB224_8:
	s_or_b64 exec, exec, s[8:9]
	s_branch .LBB224_10
.LBB224_9:
	v_mov_b32_e32 v7, 0
	v_mov_b32_e32 v5, 0
	;; [unrolled: 1-line block ×4, first 2 shown]
.LBB224_10:
	ds_write_b128 v9, v[5:8]
.LBB224_11:
	s_or_b64 exec, exec, s[26:27]
	s_load_dword s21, s[4:5], 0x58
	s_load_dwordx2 s[8:9], s[4:5], 0x60
	s_add_i32 s29, s29, -1
	s_waitcnt lgkmcnt(0)
	s_ashr_i32 s26, s21, 31
	s_mul_i32 s4, s9, s7
	s_mul_hi_u32 s5, s8, s7
	s_add_i32 s9, s5, s4
	s_mul_i32 s4, s6, 0xffffffe8
	s_add_i32 s4, s23, s4
	s_cmp_ge_u32 s6, s29
	s_mul_i32 s6, s6, 24
	s_mul_i32 s8, s8, s7
	s_cselect_b32 s4, s4, 24
	s_ashr_i32 s7, s6, 31
	s_cmp_gt_i32 s22, 0
	v_cmp_gt_i32_e64 s[4:5], s4, v0
	s_cselect_b64 s[16:17], -1, 0
	s_and_b64 s[22:23], s[4:5], s[16:17]
	s_and_saveexec_b64 s[18:19], s[22:23]
	s_cbranch_execz .LBB224_14
; %bb.12:
	v_lshlrev_b32_e32 v3, 4, v0
	s_lshl_b64 s[30:31], s[6:7], 4
	s_lshl_b64 s[22:23], s[8:9], 4
	v_mov_b32_e32 v1, s31
	v_add_co_u32_e32 v4, vcc, s30, v3
	s_lshl_b64 s[30:31], s[24:25], 4
	s_add_u32 s7, s10, s30
	s_addc_u32 s27, s11, s31
	s_add_u32 s22, s7, s22
	v_addc_co_u32_e32 v5, vcc, 0, v1, vcc
	s_addc_u32 s23, s27, s23
	v_mov_b32_e32 v1, s22
	v_mov_b32_e32 v2, s23
	v_mad_u64_u32 v[1:2], s[22:23], v4, s21, v[1:2]
	v_mul_lo_u32 v4, v4, s26
	v_mul_lo_u32 v5, v5, s21
	v_add_co_u32_e32 v1, vcc, 8, v1
	v_or_b32_e32 v3, 0x2400, v3
	v_add3_u32 v2, v5, v2, v4
	v_addc_co_u32_e32 v2, vcc, 0, v2, vcc
	s_mov_b32 s7, s28
.LBB224_13:                             ; =>This Inner Loop Header: Depth=1
	global_load_dwordx4 v[4:7], v[1:2], off offset:-8
	s_add_i32 s7, s7, -1
	v_add_co_u32_e32 v1, vcc, 16, v1
	v_addc_co_u32_e32 v2, vcc, 0, v2, vcc
	s_cmp_lg_u32 s7, 0
	s_waitcnt vmcnt(0)
	v_mul_f64 v[8:9], s[14:15], v[6:7]
	v_mul_f64 v[10:11], s[12:13], v[6:7]
	v_fma_f64 v[6:7], s[12:13], v[4:5], -v[8:9]
	v_fma_f64 v[8:9], s[14:15], v[4:5], v[10:11]
	ds_write_b128 v3, v[6:9]
	v_add_u32_e32 v3, 0x180, v3
	s_cbranch_scc1 .LBB224_13
.LBB224_14:
	s_or_b64 exec, exec, s[18:19]
	v_mov_b32_e32 v1, 0x2400
	s_cmpk_eq_i32 s20, 0x6f
	v_lshl_or_b32 v5, v0, 4, v1
	s_mov_b64 s[12:13], -1
	s_waitcnt lgkmcnt(0)
	; wave barrier
	s_cbranch_scc1 .LBB224_36
; %bb.15:
	s_mov_b32 s13, 0
	s_mov_b32 s12, s13
	;; [unrolled: 1-line block ×3, first 2 shown]
	s_branch .LBB224_17
.LBB224_16:                             ;   in Loop: Header=BB224_17 Depth=1
	s_cmp_ge_i32 s7, s28
	s_cselect_b64 s[14:15], -1, 0
	s_add_i32 s12, s12, 1
	s_cmp_eq_u32 s12, 3
	s_cselect_b64 s[18:19], -1, 0
	s_or_b64 s[14:15], s[14:15], s[18:19]
	s_andn2_b64 vcc, exec, s[14:15]
	s_cbranch_vccz .LBB224_35
.LBB224_17:                             ; =>This Loop Header: Depth=1
                                        ;     Child Loop BB224_20 Depth 2
                                        ;       Child Loop BB224_21 Depth 3
                                        ;       Child Loop BB224_24 Depth 3
                                        ;         Child Loop BB224_25 Depth 4
                                        ;       Child Loop BB224_29 Depth 3
                                        ;         Child Loop BB224_31 Depth 4
	s_lshl_b64 s[14:15], s[12:13], 2
	s_getpc_b64 s[18:19]
	s_add_u32 s18, s18, __const._ZL38rocblas_trsm_small_left_device_sharedBILi24ELi24ELb0E19rocblas_complex_numIdES1_PKS1_PS1_Ev13rocblas_fill_18rocblas_operation_17rocblas_diagonal_iiT3_T4_lilT5_lili.step_sizes@rel32@lo+4
	s_addc_u32 s19, s19, __const._ZL38rocblas_trsm_small_left_device_sharedBILi24ELi24ELb0E19rocblas_complex_numIdES1_PKS1_PS1_Ev13rocblas_fill_18rocblas_operation_17rocblas_diagonal_iiT3_T4_lilT5_lili.step_sizes@rel32@hi+12
	s_add_u32 s14, s18, s14
	s_addc_u32 s15, s19, s15
	s_load_dword s18, s[14:15], 0x0
	s_waitcnt lgkmcnt(0)
	s_add_i32 s19, s18, -1
	s_add_i32 s14, s19, s7
	s_cmp_ge_i32 s14, s28
	s_cbranch_scc1 .LBB224_16
; %bb.18:                               ;   in Loop: Header=BB224_17 Depth=1
	s_mul_i32 s22, s7, 0x180
	s_max_i32 s20, s18, 1
	v_add_u32_e32 v6, s22, v5
	s_mul_i32 s23, s18, 0x180
	s_mul_i32 s26, s7, 0x190
	;; [unrolled: 1-line block ×3, first 2 shown]
	s_branch .LBB224_20
.LBB224_19:                             ;   in Loop: Header=BB224_20 Depth=2
	s_add_i32 s7, s7, s18
	s_add_i32 s14, s19, s7
	;; [unrolled: 1-line block ×4, first 2 shown]
	s_cmp_ge_i32 s14, s28
	v_add_u32_e32 v6, s23, v6
	s_cbranch_scc1 .LBB224_16
.LBB224_20:                             ;   Parent Loop BB224_17 Depth=1
                                        ; =>  This Loop Header: Depth=2
                                        ;       Child Loop BB224_21 Depth 3
                                        ;       Child Loop BB224_24 Depth 3
                                        ;         Child Loop BB224_25 Depth 4
                                        ;       Child Loop BB224_29 Depth 3
                                        ;         Child Loop BB224_31 Depth 4
	s_mov_b32 s14, 0
	v_mov_b32_e32 v1, v6
	s_mov_b32 s15, s20
.LBB224_21:                             ;   Parent Loop BB224_17 Depth=1
                                        ;     Parent Loop BB224_20 Depth=2
                                        ; =>    This Inner Loop Header: Depth=3
	ds_read_b128 v[7:10], v1
	v_mov_b32_e32 v2, s14
	s_add_i32 s15, s15, -1
	s_add_i32 s14, s14, 16
	v_add_u32_e32 v1, 0x180, v1
	s_cmp_eq_u32 s15, 0
	s_waitcnt lgkmcnt(0)
	buffer_store_dword v10, v2, s[0:3], 0 offen offset:12
	buffer_store_dword v9, v2, s[0:3], 0 offen offset:8
	;; [unrolled: 1-line block ×3, first 2 shown]
	buffer_store_dword v7, v2, s[0:3], 0 offen
	s_cbranch_scc0 .LBB224_21
; %bb.22:                               ;   in Loop: Header=BB224_20 Depth=2
	s_cmp_lt_i32 s7, 1
	s_cbranch_scc1 .LBB224_27
; %bb.23:                               ;   in Loop: Header=BB224_20 Depth=2
	s_mov_b32 s14, 0
	s_mov_b32 s15, s22
.LBB224_24:                             ;   Parent Loop BB224_17 Depth=1
                                        ;     Parent Loop BB224_20 Depth=2
                                        ; =>    This Loop Header: Depth=3
                                        ;         Child Loop BB224_25 Depth 4
	s_mul_i32 s29, s14, 0x180
	v_add_u32_e32 v1, s29, v5
	ds_read_b128 v[1:4], v1
	s_mov_b32 s29, 0
	s_mov_b32 s30, s15
	;; [unrolled: 1-line block ×3, first 2 shown]
.LBB224_25:                             ;   Parent Loop BB224_17 Depth=1
                                        ;     Parent Loop BB224_20 Depth=2
                                        ;       Parent Loop BB224_24 Depth=3
                                        ; =>      This Inner Loop Header: Depth=4
	v_mov_b32_e32 v17, s29
	buffer_load_dword v11, v17, s[0:3], 0 offen
	buffer_load_dword v12, v17, s[0:3], 0 offen offset:4
	buffer_load_dword v13, v17, s[0:3], 0 offen offset:8
	;; [unrolled: 1-line block ×3, first 2 shown]
	v_mov_b32_e32 v7, s30
	ds_read_b128 v[7:10], v7
	s_add_i32 s31, s31, -1
	s_addk_i32 s30, 0x180
	s_add_i32 s29, s29, 16
	s_cmp_eq_u32 s31, 0
	s_waitcnt lgkmcnt(0)
	v_mul_f64 v[15:16], v[3:4], v[9:10]
	v_mul_f64 v[9:10], v[1:2], v[9:10]
	v_fma_f64 v[15:16], v[1:2], v[7:8], -v[15:16]
	v_fma_f64 v[7:8], v[3:4], v[7:8], v[9:10]
	s_waitcnt vmcnt(2)
	v_add_f64 v[9:10], v[11:12], -v[15:16]
	s_waitcnt vmcnt(0)
	v_add_f64 v[7:8], v[13:14], -v[7:8]
	buffer_store_dword v9, v17, s[0:3], 0 offen
	buffer_store_dword v10, v17, s[0:3], 0 offen offset:4
	buffer_store_dword v7, v17, s[0:3], 0 offen offset:8
	;; [unrolled: 1-line block ×3, first 2 shown]
	s_cbranch_scc0 .LBB224_25
; %bb.26:                               ;   in Loop: Header=BB224_24 Depth=3
	s_add_i32 s14, s14, 1
	s_add_i32 s15, s15, 16
	s_cmp_eq_u32 s14, s7
	s_cbranch_scc0 .LBB224_24
.LBB224_27:                             ;   in Loop: Header=BB224_20 Depth=2
	s_mul_i32 s29, s7, 0x180
	s_mov_b32 s30, 0
	s_mov_b32 s31, s26
	s_branch .LBB224_29
.LBB224_28:                             ;   in Loop: Header=BB224_29 Depth=3
	s_mul_i32 s14, s34, 0x190
	v_mov_b32_e32 v7, s14
	ds_read_b128 v[7:10], v7
	s_lshl_b32 s14, s30, 4
	s_add_i32 s30, s30, 1
	s_addk_i32 s31, 0x180
	s_cmp_eq_u32 s30, s20
	s_waitcnt vmcnt(0) lgkmcnt(0)
	v_mul_f64 v[11:12], v[9:10], v[3:4]
	v_mul_f64 v[3:4], v[7:8], v[3:4]
	v_fma_f64 v[7:8], v[7:8], v[1:2], -v[11:12]
	v_fma_f64 v[9:10], v[9:10], v[1:2], v[3:4]
	v_add_u32_e32 v1, s33, v5
	v_mov_b32_e32 v2, s14
	buffer_store_dword v8, v2, s[0:3], 0 offen offset:4
	buffer_store_dword v7, v2, s[0:3], 0 offen
	buffer_store_dword v10, v2, s[0:3], 0 offen offset:12
	buffer_store_dword v9, v2, s[0:3], 0 offen offset:8
	ds_write_b128 v1, v[7:10]
	s_cbranch_scc1 .LBB224_19
.LBB224_29:                             ;   Parent Loop BB224_17 Depth=1
                                        ;     Parent Loop BB224_20 Depth=2
                                        ; =>    This Loop Header: Depth=3
                                        ;         Child Loop BB224_31 Depth 4
	s_cmp_lg_u32 s30, 0
	s_cbranch_scc0 .LBB224_33
; %bb.30:                               ;   in Loop: Header=BB224_29 Depth=3
	s_lshl_b32 s14, s30, 4
	v_mov_b32_e32 v7, s14
	buffer_load_dword v1, v7, s[0:3], 0 offen
	buffer_load_dword v2, v7, s[0:3], 0 offen offset:4
	buffer_load_dword v3, v7, s[0:3], 0 offen offset:8
	;; [unrolled: 1-line block ×3, first 2 shown]
	s_add_i32 s34, s30, s7
	s_mul_i32 s33, s34, 0x180
	s_mov_b32 s14, 0
	s_mov_b32 s15, s31
	;; [unrolled: 1-line block ×3, first 2 shown]
.LBB224_31:                             ;   Parent Loop BB224_17 Depth=1
                                        ;     Parent Loop BB224_20 Depth=2
                                        ;       Parent Loop BB224_29 Depth=3
                                        ; =>      This Inner Loop Header: Depth=4
	v_mov_b32_e32 v8, s14
	buffer_load_dword v12, v8, s[0:3], 0 offen offset:8
	buffer_load_dword v13, v8, s[0:3], 0 offen offset:12
	buffer_load_dword v14, v8, s[0:3], 0 offen
	buffer_load_dword v15, v8, s[0:3], 0 offen offset:4
	v_mov_b32_e32 v8, s15
	ds_read_b128 v[8:11], v8
	s_add_i32 s35, s35, -1
	s_add_i32 s14, s14, 16
	s_add_i32 s15, s15, 16
	s_cmp_eq_u32 s35, 0
	s_waitcnt vmcnt(2) lgkmcnt(0)
	v_mul_f64 v[16:17], v[10:11], v[12:13]
	v_mul_f64 v[12:13], v[8:9], v[12:13]
	s_waitcnt vmcnt(0)
	v_fma_f64 v[8:9], v[8:9], v[14:15], -v[16:17]
	v_fma_f64 v[10:11], v[10:11], v[14:15], v[12:13]
	v_add_f64 v[1:2], v[1:2], -v[8:9]
	v_add_f64 v[3:4], v[3:4], -v[10:11]
	buffer_store_dword v1, v7, s[0:3], 0 offen
	buffer_store_dword v2, v7, s[0:3], 0 offen offset:4
	buffer_store_dword v3, v7, s[0:3], 0 offen offset:8
	;; [unrolled: 1-line block ×3, first 2 shown]
	s_cbranch_scc0 .LBB224_31
; %bb.32:                               ;   in Loop: Header=BB224_29 Depth=3
	s_branch .LBB224_28
.LBB224_33:                             ;   in Loop: Header=BB224_29 Depth=3
                                        ; implicit-def: $vgpr1_vgpr2
                                        ; implicit-def: $vgpr3_vgpr4
                                        ; implicit-def: $sgpr34
                                        ; implicit-def: $sgpr33
	s_cbranch_execz .LBB224_28
; %bb.34:                               ;   in Loop: Header=BB224_29 Depth=3
	buffer_load_dword v1, off, s[0:3], 0
	buffer_load_dword v2, off, s[0:3], 0 offset:4
	buffer_load_dword v3, off, s[0:3], 0 offset:8
	;; [unrolled: 1-line block ×3, first 2 shown]
	s_mov_b32 s33, s29
	s_mov_b32 s34, s7
	s_branch .LBB224_28
.LBB224_35:
	s_mov_b64 s[12:13], 0
.LBB224_36:
	s_and_b64 vcc, exec, s[12:13]
	s_cbranch_vccz .LBB224_56
; %bb.37:
	s_add_i32 s7, s28, -1
	v_mov_b32_e32 v1, 0x2400
	s_mul_i32 s18, s28, 0x180
	s_mov_b32 s13, 0
	v_lshl_or_b32 v6, v0, 4, v1
	s_addk_i32 s18, 0xfe80
	s_mov_b32 s12, s13
	s_mov_b32 s19, s7
	s_branch .LBB224_39
.LBB224_38:                             ;   in Loop: Header=BB224_39 Depth=1
	s_cmp_lt_i32 s19, 0
	s_cselect_b64 s[14:15], -1, 0
	s_add_i32 s12, s12, 1
	s_cmp_eq_u32 s12, 3
	s_cselect_b64 s[22:23], -1, 0
	s_or_b64 s[14:15], s[14:15], s[22:23]
	s_and_b64 vcc, exec, s[14:15]
	s_cbranch_vccnz .LBB224_56
.LBB224_39:                             ; =>This Loop Header: Depth=1
                                        ;     Child Loop BB224_42 Depth 2
                                        ;       Child Loop BB224_43 Depth 3
                                        ;       Child Loop BB224_45 Depth 3
                                        ;         Child Loop BB224_46 Depth 4
                                        ;       Child Loop BB224_50 Depth 3
                                        ;         Child Loop BB224_52 Depth 4
	s_lshl_b64 s[14:15], s[12:13], 2
	s_getpc_b64 s[22:23]
	s_add_u32 s22, s22, __const._ZL38rocblas_trsm_small_left_device_sharedBILi24ELi24ELb0E19rocblas_complex_numIdES1_PKS1_PS1_Ev13rocblas_fill_18rocblas_operation_17rocblas_diagonal_iiT3_T4_lilT5_lili.step_sizes@rel32@lo+4
	s_addc_u32 s23, s23, __const._ZL38rocblas_trsm_small_left_device_sharedBILi24ELi24ELb0E19rocblas_complex_numIdES1_PKS1_PS1_Ev13rocblas_fill_18rocblas_operation_17rocblas_diagonal_iiT3_T4_lilT5_lili.step_sizes@rel32@hi+12
	s_add_u32 s14, s22, s14
	s_addc_u32 s15, s23, s15
	s_load_dword s20, s[14:15], 0x0
	s_waitcnt lgkmcnt(0)
	s_add_i32 s22, s20, -1
	s_cmp_lt_i32 s19, s22
	s_cbranch_scc1 .LBB224_38
; %bb.40:                               ;   in Loop: Header=BB224_39 Depth=1
	s_mul_i32 s14, s19, 0x180
	v_add_u32_e32 v7, s14, v6
	s_lshl_b32 s14, s19, 4
	s_add_i32 s27, s18, s14
	s_lshl_b32 s14, s20, 4
	s_max_i32 s23, s20, 1
	s_mul_i32 s26, s20, 0xfffffe80
	s_sub_i32 s29, 0, s14
	s_mul_i32 s30, s19, 0x190
	s_mul_i32 s31, s20, 0xfffffe70
	s_branch .LBB224_42
.LBB224_41:                             ;   in Loop: Header=BB224_42 Depth=2
	s_sub_i32 s19, s19, s20
	s_add_i32 s27, s27, s29
	s_add_i32 s30, s30, s31
	s_cmp_lt_i32 s19, s22
	v_add_u32_e32 v7, s26, v7
	s_cbranch_scc1 .LBB224_38
.LBB224_42:                             ;   Parent Loop BB224_39 Depth=1
                                        ; =>  This Loop Header: Depth=2
                                        ;       Child Loop BB224_43 Depth 3
                                        ;       Child Loop BB224_45 Depth 3
                                        ;         Child Loop BB224_46 Depth 4
                                        ;       Child Loop BB224_50 Depth 3
                                        ;         Child Loop BB224_52 Depth 4
	s_mov_b32 s14, 0
	v_mov_b32_e32 v1, v7
	s_mov_b32 s15, s23
.LBB224_43:                             ;   Parent Loop BB224_39 Depth=1
                                        ;     Parent Loop BB224_42 Depth=2
                                        ; =>    This Inner Loop Header: Depth=3
	ds_read_b128 v[8:11], v1
	v_mov_b32_e32 v2, s14
	s_add_i32 s15, s15, -1
	s_add_i32 s14, s14, 16
	v_add_u32_e32 v1, 0xfffffe80, v1
	s_cmp_eq_u32 s15, 0
	s_waitcnt lgkmcnt(0)
	buffer_store_dword v11, v2, s[0:3], 0 offen offset:12
	buffer_store_dword v10, v2, s[0:3], 0 offen offset:8
	;; [unrolled: 1-line block ×3, first 2 shown]
	buffer_store_dword v8, v2, s[0:3], 0 offen
	s_cbranch_scc0 .LBB224_43
; %bb.44:                               ;   in Loop: Header=BB224_42 Depth=2
	s_cmp_le_i32 s7, s19
	s_mov_b32 s14, s27
	s_mov_b32 s15, s7
	s_cbranch_scc1 .LBB224_48
.LBB224_45:                             ;   Parent Loop BB224_39 Depth=1
                                        ;     Parent Loop BB224_42 Depth=2
                                        ; =>    This Loop Header: Depth=3
                                        ;         Child Loop BB224_46 Depth 4
	s_mul_i32 s33, s15, 0x180
	v_add_u32_e32 v1, s33, v5
	ds_read_b128 v[1:4], v1
	s_mov_b32 s33, 0
	s_mov_b32 s34, s14
	s_mov_b32 s35, s23
.LBB224_46:                             ;   Parent Loop BB224_39 Depth=1
                                        ;     Parent Loop BB224_42 Depth=2
                                        ;       Parent Loop BB224_45 Depth=3
                                        ; =>      This Inner Loop Header: Depth=4
	v_mov_b32_e32 v18, s33
	buffer_load_dword v12, v18, s[0:3], 0 offen
	buffer_load_dword v13, v18, s[0:3], 0 offen offset:4
	buffer_load_dword v14, v18, s[0:3], 0 offen offset:8
	;; [unrolled: 1-line block ×3, first 2 shown]
	v_mov_b32_e32 v8, s34
	ds_read_b128 v[8:11], v8
	s_add_i32 s35, s35, -1
	s_add_i32 s34, s34, -16
	s_add_i32 s33, s33, 16
	s_cmp_eq_u32 s35, 0
	s_waitcnt lgkmcnt(0)
	v_mul_f64 v[16:17], v[3:4], v[10:11]
	v_mul_f64 v[10:11], v[1:2], v[10:11]
	v_fma_f64 v[16:17], v[1:2], v[8:9], -v[16:17]
	v_fma_f64 v[8:9], v[3:4], v[8:9], v[10:11]
	s_waitcnt vmcnt(2)
	v_add_f64 v[10:11], v[12:13], -v[16:17]
	s_waitcnt vmcnt(0)
	v_add_f64 v[8:9], v[14:15], -v[8:9]
	buffer_store_dword v10, v18, s[0:3], 0 offen
	buffer_store_dword v11, v18, s[0:3], 0 offen offset:4
	buffer_store_dword v8, v18, s[0:3], 0 offen offset:8
	;; [unrolled: 1-line block ×3, first 2 shown]
	s_cbranch_scc0 .LBB224_46
; %bb.47:                               ;   in Loop: Header=BB224_45 Depth=3
	s_add_i32 s15, s15, -1
	s_addk_i32 s14, 0xfe80
	s_cmp_le_i32 s15, s19
	s_cbranch_scc0 .LBB224_45
.LBB224_48:                             ;   in Loop: Header=BB224_42 Depth=2
	s_mov_b32 s33, 0
	s_mov_b32 s34, s30
	s_branch .LBB224_50
.LBB224_49:                             ;   in Loop: Header=BB224_50 Depth=3
	s_mul_i32 s14, s35, 0x190
	v_mov_b32_e32 v8, s14
	ds_read_b128 v[8:11], v8
	s_lshl_b32 s14, s33, 4
	s_mul_i32 s15, s35, 0x180
	s_add_i32 s33, s33, 1
	s_add_i32 s34, s34, -16
	s_waitcnt vmcnt(0) lgkmcnt(0)
	v_mul_f64 v[12:13], v[10:11], v[3:4]
	v_mul_f64 v[3:4], v[8:9], v[3:4]
	s_cmp_eq_u32 s33, s23
	v_fma_f64 v[8:9], v[8:9], v[1:2], -v[12:13]
	v_fma_f64 v[10:11], v[10:11], v[1:2], v[3:4]
	v_mov_b32_e32 v1, s14
	v_add_u32_e32 v2, s15, v5
	buffer_store_dword v9, v1, s[0:3], 0 offen offset:4
	buffer_store_dword v8, v1, s[0:3], 0 offen
	buffer_store_dword v11, v1, s[0:3], 0 offen offset:12
	buffer_store_dword v10, v1, s[0:3], 0 offen offset:8
	ds_write_b128 v2, v[8:11]
	s_cbranch_scc1 .LBB224_41
.LBB224_50:                             ;   Parent Loop BB224_39 Depth=1
                                        ;     Parent Loop BB224_42 Depth=2
                                        ; =>    This Loop Header: Depth=3
                                        ;         Child Loop BB224_52 Depth 4
	s_cmp_lg_u32 s33, 0
	s_cbranch_scc0 .LBB224_54
; %bb.51:                               ;   in Loop: Header=BB224_50 Depth=3
	s_lshl_b32 s14, s33, 4
	v_mov_b32_e32 v8, s14
	buffer_load_dword v1, v8, s[0:3], 0 offen
	buffer_load_dword v2, v8, s[0:3], 0 offen offset:4
	buffer_load_dword v3, v8, s[0:3], 0 offen offset:8
	;; [unrolled: 1-line block ×3, first 2 shown]
	s_sub_i32 s35, s19, s33
	s_mov_b32 s14, 0
	s_mov_b32 s15, s34
	;; [unrolled: 1-line block ×3, first 2 shown]
.LBB224_52:                             ;   Parent Loop BB224_39 Depth=1
                                        ;     Parent Loop BB224_42 Depth=2
                                        ;       Parent Loop BB224_50 Depth=3
                                        ; =>      This Inner Loop Header: Depth=4
	v_mov_b32_e32 v9, s14
	buffer_load_dword v13, v9, s[0:3], 0 offen offset:8
	buffer_load_dword v14, v9, s[0:3], 0 offen offset:12
	buffer_load_dword v15, v9, s[0:3], 0 offen
	buffer_load_dword v16, v9, s[0:3], 0 offen offset:4
	v_mov_b32_e32 v9, s15
	ds_read_b128 v[9:12], v9
	s_add_i32 s36, s36, -1
	s_addk_i32 s15, 0xfe80
	s_add_i32 s14, s14, 16
	s_cmp_eq_u32 s36, 0
	s_waitcnt vmcnt(2) lgkmcnt(0)
	v_mul_f64 v[17:18], v[11:12], v[13:14]
	v_mul_f64 v[13:14], v[9:10], v[13:14]
	s_waitcnt vmcnt(0)
	v_fma_f64 v[9:10], v[9:10], v[15:16], -v[17:18]
	v_fma_f64 v[11:12], v[11:12], v[15:16], v[13:14]
	v_add_f64 v[1:2], v[1:2], -v[9:10]
	v_add_f64 v[3:4], v[3:4], -v[11:12]
	buffer_store_dword v1, v8, s[0:3], 0 offen
	buffer_store_dword v2, v8, s[0:3], 0 offen offset:4
	buffer_store_dword v3, v8, s[0:3], 0 offen offset:8
	;; [unrolled: 1-line block ×3, first 2 shown]
	s_cbranch_scc0 .LBB224_52
; %bb.53:                               ;   in Loop: Header=BB224_50 Depth=3
	s_branch .LBB224_49
.LBB224_54:                             ;   in Loop: Header=BB224_50 Depth=3
                                        ; implicit-def: $vgpr1_vgpr2
                                        ; implicit-def: $vgpr3_vgpr4
                                        ; implicit-def: $sgpr35
	s_cbranch_execz .LBB224_49
; %bb.55:                               ;   in Loop: Header=BB224_50 Depth=3
	buffer_load_dword v1, off, s[0:3], 0
	buffer_load_dword v2, off, s[0:3], 0 offset:4
	buffer_load_dword v3, off, s[0:3], 0 offset:8
	;; [unrolled: 1-line block ×3, first 2 shown]
	s_mov_b32 s35, s19
	s_branch .LBB224_49
.LBB224_56:
	s_waitcnt lgkmcnt(0)
	; wave barrier
	s_and_saveexec_b64 s[12:13], s[4:5]
	s_cbranch_execz .LBB224_60
; %bb.57:
	s_andn2_b64 vcc, exec, s[16:17]
	s_cbranch_vccnz .LBB224_60
; %bb.58:
	s_lshl_b64 s[4:5], s[8:9], 4
	s_add_u32 s7, s10, s4
	s_addc_u32 s8, s11, s5
	s_lshl_b64 s[4:5], s[24:25], 4
	s_add_u32 s9, s7, s4
	s_addc_u32 s8, s8, s5
	s_mul_hi_i32 s5, s21, s6
	s_mul_i32 s4, s21, s6
	v_mad_i64_i32 v[1:2], s[6:7], s21, v0, 0
	s_lshl_b64 s[4:5], s[4:5], 4
	s_add_u32 s4, s9, s4
	v_lshlrev_b64 v[1:2], 4, v[1:2]
	s_addc_u32 s5, s8, s5
	v_mov_b32_e32 v3, s5
	v_add_co_u32_e32 v1, vcc, s4, v1
	v_addc_co_u32_e32 v2, vcc, v3, v2, vcc
	v_mov_b32_e32 v3, 0x2400
	v_lshl_or_b32 v0, v0, 4, v3
.LBB224_59:                             ; =>This Inner Loop Header: Depth=1
	ds_read2_b64 v[3:6], v0 offset1:1
	s_add_i32 s28, s28, -1
	v_add_u32_e32 v0, 0x180, v0
	s_cmp_lg_u32 s28, 0
	s_waitcnt lgkmcnt(0)
	global_store_dwordx4 v[1:2], v[3:6], off
	v_add_co_u32_e32 v1, vcc, 16, v1
	v_addc_co_u32_e32 v2, vcc, 0, v2, vcc
	s_cbranch_scc1 .LBB224_59
.LBB224_60:
	s_endpgm
	.section	.rodata,"a",@progbits
	.p2align	6, 0x0
	.amdhsa_kernel _ZL38rocblas_trsm_small_left_device_sharedBILi24ELi24ELb0E19rocblas_complex_numIdES1_PKS1_PS1_Ev13rocblas_fill_18rocblas_operation_17rocblas_diagonal_iiT3_T4_lilT5_lili
		.amdhsa_group_segment_fixed_size 18432
		.amdhsa_private_segment_fixed_size 400
		.amdhsa_kernarg_size 368
		.amdhsa_user_sgpr_count 6
		.amdhsa_user_sgpr_private_segment_buffer 1
		.amdhsa_user_sgpr_dispatch_ptr 0
		.amdhsa_user_sgpr_queue_ptr 0
		.amdhsa_user_sgpr_kernarg_segment_ptr 1
		.amdhsa_user_sgpr_dispatch_id 0
		.amdhsa_user_sgpr_flat_scratch_init 0
		.amdhsa_user_sgpr_private_segment_size 0
		.amdhsa_uses_dynamic_stack 0
		.amdhsa_system_sgpr_private_segment_wavefront_offset 1
		.amdhsa_system_sgpr_workgroup_id_x 1
		.amdhsa_system_sgpr_workgroup_id_y 0
		.amdhsa_system_sgpr_workgroup_id_z 1
		.amdhsa_system_sgpr_workgroup_info 0
		.amdhsa_system_vgpr_workitem_id 0
		.amdhsa_next_free_vgpr 129
		.amdhsa_next_free_sgpr 98
		.amdhsa_reserve_vcc 1
		.amdhsa_reserve_flat_scratch 0
		.amdhsa_float_round_mode_32 0
		.amdhsa_float_round_mode_16_64 0
		.amdhsa_float_denorm_mode_32 3
		.amdhsa_float_denorm_mode_16_64 3
		.amdhsa_dx10_clamp 1
		.amdhsa_ieee_mode 1
		.amdhsa_fp16_overflow 0
		.amdhsa_exception_fp_ieee_invalid_op 0
		.amdhsa_exception_fp_denorm_src 0
		.amdhsa_exception_fp_ieee_div_zero 0
		.amdhsa_exception_fp_ieee_overflow 0
		.amdhsa_exception_fp_ieee_underflow 0
		.amdhsa_exception_fp_ieee_inexact 0
		.amdhsa_exception_int_div_zero 0
	.end_amdhsa_kernel
	.section	.text._ZL38rocblas_trsm_small_left_device_sharedBILi24ELi24ELb0E19rocblas_complex_numIdES1_PKS1_PS1_Ev13rocblas_fill_18rocblas_operation_17rocblas_diagonal_iiT3_T4_lilT5_lili,"axG",@progbits,_ZL38rocblas_trsm_small_left_device_sharedBILi24ELi24ELb0E19rocblas_complex_numIdES1_PKS1_PS1_Ev13rocblas_fill_18rocblas_operation_17rocblas_diagonal_iiT3_T4_lilT5_lili,comdat
.Lfunc_end224:
	.size	_ZL38rocblas_trsm_small_left_device_sharedBILi24ELi24ELb0E19rocblas_complex_numIdES1_PKS1_PS1_Ev13rocblas_fill_18rocblas_operation_17rocblas_diagonal_iiT3_T4_lilT5_lili, .Lfunc_end224-_ZL38rocblas_trsm_small_left_device_sharedBILi24ELi24ELb0E19rocblas_complex_numIdES1_PKS1_PS1_Ev13rocblas_fill_18rocblas_operation_17rocblas_diagonal_iiT3_T4_lilT5_lili
                                        ; -- End function
	.set _ZL38rocblas_trsm_small_left_device_sharedBILi24ELi24ELb0E19rocblas_complex_numIdES1_PKS1_PS1_Ev13rocblas_fill_18rocblas_operation_17rocblas_diagonal_iiT3_T4_lilT5_lili.num_vgpr, 19
	.set _ZL38rocblas_trsm_small_left_device_sharedBILi24ELi24ELb0E19rocblas_complex_numIdES1_PKS1_PS1_Ev13rocblas_fill_18rocblas_operation_17rocblas_diagonal_iiT3_T4_lilT5_lili.num_agpr, 0
	.set _ZL38rocblas_trsm_small_left_device_sharedBILi24ELi24ELb0E19rocblas_complex_numIdES1_PKS1_PS1_Ev13rocblas_fill_18rocblas_operation_17rocblas_diagonal_iiT3_T4_lilT5_lili.numbered_sgpr, 37
	.set _ZL38rocblas_trsm_small_left_device_sharedBILi24ELi24ELb0E19rocblas_complex_numIdES1_PKS1_PS1_Ev13rocblas_fill_18rocblas_operation_17rocblas_diagonal_iiT3_T4_lilT5_lili.num_named_barrier, 0
	.set _ZL38rocblas_trsm_small_left_device_sharedBILi24ELi24ELb0E19rocblas_complex_numIdES1_PKS1_PS1_Ev13rocblas_fill_18rocblas_operation_17rocblas_diagonal_iiT3_T4_lilT5_lili.private_seg_size, 400
	.set _ZL38rocblas_trsm_small_left_device_sharedBILi24ELi24ELb0E19rocblas_complex_numIdES1_PKS1_PS1_Ev13rocblas_fill_18rocblas_operation_17rocblas_diagonal_iiT3_T4_lilT5_lili.uses_vcc, 1
	.set _ZL38rocblas_trsm_small_left_device_sharedBILi24ELi24ELb0E19rocblas_complex_numIdES1_PKS1_PS1_Ev13rocblas_fill_18rocblas_operation_17rocblas_diagonal_iiT3_T4_lilT5_lili.uses_flat_scratch, 0
	.set _ZL38rocblas_trsm_small_left_device_sharedBILi24ELi24ELb0E19rocblas_complex_numIdES1_PKS1_PS1_Ev13rocblas_fill_18rocblas_operation_17rocblas_diagonal_iiT3_T4_lilT5_lili.has_dyn_sized_stack, 0
	.set _ZL38rocblas_trsm_small_left_device_sharedBILi24ELi24ELb0E19rocblas_complex_numIdES1_PKS1_PS1_Ev13rocblas_fill_18rocblas_operation_17rocblas_diagonal_iiT3_T4_lilT5_lili.has_recursion, 0
	.set _ZL38rocblas_trsm_small_left_device_sharedBILi24ELi24ELb0E19rocblas_complex_numIdES1_PKS1_PS1_Ev13rocblas_fill_18rocblas_operation_17rocblas_diagonal_iiT3_T4_lilT5_lili.has_indirect_call, 0
	.section	.AMDGPU.csdata,"",@progbits
; Kernel info:
; codeLenInByte = 3116
; TotalNumSgprs: 41
; NumVgprs: 19
; ScratchSize: 400
; MemoryBound: 0
; FloatMode: 240
; IeeeMode: 1
; LDSByteSize: 18432 bytes/workgroup (compile time only)
; SGPRBlocks: 12
; VGPRBlocks: 32
; NumSGPRsForWavesPerEU: 102
; NumVGPRsForWavesPerEU: 129
; Occupancy: 1
; WaveLimiterHint : 0
; COMPUTE_PGM_RSRC2:SCRATCH_EN: 1
; COMPUTE_PGM_RSRC2:USER_SGPR: 6
; COMPUTE_PGM_RSRC2:TRAP_HANDLER: 0
; COMPUTE_PGM_RSRC2:TGID_X_EN: 1
; COMPUTE_PGM_RSRC2:TGID_Y_EN: 0
; COMPUTE_PGM_RSRC2:TGID_Z_EN: 1
; COMPUTE_PGM_RSRC2:TIDIG_COMP_CNT: 0
	.section	.text._ZL30rocblas_trsm_small_left_deviceILi24ELi24ELb0E19rocblas_complex_numIdES1_PKS1_PS1_Ev13rocblas_fill_18rocblas_operation_17rocblas_diagonal_iiT3_T4_lilT5_lili,"axG",@progbits,_ZL30rocblas_trsm_small_left_deviceILi24ELi24ELb0E19rocblas_complex_numIdES1_PKS1_PS1_Ev13rocblas_fill_18rocblas_operation_17rocblas_diagonal_iiT3_T4_lilT5_lili,comdat
	.globl	_ZL30rocblas_trsm_small_left_deviceILi24ELi24ELb0E19rocblas_complex_numIdES1_PKS1_PS1_Ev13rocblas_fill_18rocblas_operation_17rocblas_diagonal_iiT3_T4_lilT5_lili ; -- Begin function _ZL30rocblas_trsm_small_left_deviceILi24ELi24ELb0E19rocblas_complex_numIdES1_PKS1_PS1_Ev13rocblas_fill_18rocblas_operation_17rocblas_diagonal_iiT3_T4_lilT5_lili
	.p2align	8
	.type	_ZL30rocblas_trsm_small_left_deviceILi24ELi24ELb0E19rocblas_complex_numIdES1_PKS1_PS1_Ev13rocblas_fill_18rocblas_operation_17rocblas_diagonal_iiT3_T4_lilT5_lili,@function
_ZL30rocblas_trsm_small_left_deviceILi24ELi24ELb0E19rocblas_complex_numIdES1_PKS1_PS1_Ev13rocblas_fill_18rocblas_operation_17rocblas_diagonal_iiT3_T4_lilT5_lili: ; @_ZL30rocblas_trsm_small_left_deviceILi24ELi24ELb0E19rocblas_complex_numIdES1_PKS1_PS1_Ev13rocblas_fill_18rocblas_operation_17rocblas_diagonal_iiT3_T4_lilT5_lili
; %bb.0:
	s_add_u32 s0, s0, s8
	s_load_dwordx4 s[20:23], s[4:5], 0x4
	s_load_dwordx8 s[12:19], s[4:5], 0x18
	s_load_dwordx4 s[8:11], s[4:5], 0x40
	s_load_dwordx2 s[24:25], s[4:5], 0x50
	s_load_dword s29, s[4:5], 0x70
	s_addc_u32 s1, s1, 0
	s_waitcnt lgkmcnt(0)
	s_min_i32 s28, s22, 24
	v_cmp_gt_i32_e32 vcc, s28, v0
	s_and_saveexec_b64 s[26:27], vcc
	s_cbranch_execz .LBB225_11
; %bb.1:
	s_load_dword s30, s[4:5], 0x38
	s_mul_i32 s9, s9, s7
	s_mul_hi_u32 s22, s8, s7
	s_mul_i32 s8, s8, s7
	v_lshlrev_b32_e32 v3, 4, v0
	s_waitcnt lgkmcnt(0)
	s_ashr_i32 s31, s30, 31
	s_cmpk_eq_i32 s20, 0x71
	s_cselect_b64 vcc, -1, 0
	s_add_i32 s9, s22, s9
	s_lshl_b64 s[8:9], s[8:9], 4
	s_lshl_b64 s[18:19], s[18:19], 4
	s_add_u32 s8, s8, s18
	s_addc_u32 s9, s9, s19
	s_add_u32 s8, s16, s8
	s_addc_u32 s9, s17, s9
	v_mov_b32_e32 v1, s9
	v_add_co_u32_e64 v2, s[8:9], s8, v3
	v_addc_co_u32_e64 v4, s[8:9], 0, v1, s[8:9]
	v_add_co_u32_e64 v1, s[8:9], 8, v2
	s_lshl_b64 s[16:17], s[30:31], 4
	v_addc_co_u32_e64 v2, s[8:9], 0, v4, s[8:9]
	v_mov_b32_e32 v4, s17
	v_mov_b32_e32 v5, v3
	s_mov_b32 s17, s28
.LBB225_2:                              ; =>This Inner Loop Header: Depth=1
	global_load_dwordx4 v[6:9], v[1:2], off offset:-8
	s_add_i32 s17, s17, -1
	v_add_co_u32_e64 v1, s[8:9], s16, v1
	v_addc_co_u32_e64 v2, s[8:9], v2, v4, s[8:9]
	s_cmp_eq_u32 s17, 0
	s_waitcnt vmcnt(0)
	v_xor_b32_e32 v10, 0x80000000, v9
	v_cndmask_b32_e32 v9, v9, v10, vcc
	ds_write_b128 v5, v[6:9]
	v_add_u32_e32 v5, 0x180, v5
	s_cbranch_scc0 .LBB225_2
; %bb.3:
	v_mul_u32_u24_e32 v1, 0x180, v0
	s_cmpk_lg_i32 s21, 0x84
	v_add_u32_e32 v9, v3, v1
	s_cbranch_scc0 .LBB225_9
; %bb.4:
	ds_read_b128 v[1:4], v9
                                        ; implicit-def: $vgpr7_vgpr8
	s_waitcnt lgkmcnt(0)
	v_cmp_ngt_f64_e64 s[8:9], |v[1:2]|, |v[3:4]|
	s_and_saveexec_b64 s[16:17], s[8:9]
	s_xor_b64 s[8:9], exec, s[16:17]
	s_cbranch_execz .LBB225_6
; %bb.5:
	v_div_scale_f64 v[5:6], s[16:17], v[3:4], v[3:4], v[1:2]
	v_rcp_f64_e32 v[7:8], v[5:6]
	v_fma_f64 v[10:11], -v[5:6], v[7:8], 1.0
	v_fma_f64 v[7:8], v[7:8], v[10:11], v[7:8]
	v_div_scale_f64 v[10:11], vcc, v[1:2], v[3:4], v[1:2]
	v_fma_f64 v[12:13], -v[5:6], v[7:8], 1.0
	v_fma_f64 v[7:8], v[7:8], v[12:13], v[7:8]
	v_mul_f64 v[12:13], v[10:11], v[7:8]
	v_fma_f64 v[5:6], -v[5:6], v[12:13], v[10:11]
	v_div_fmas_f64 v[5:6], v[5:6], v[7:8], v[12:13]
	v_div_fixup_f64 v[5:6], v[5:6], v[3:4], v[1:2]
	v_fma_f64 v[1:2], v[1:2], v[5:6], v[3:4]
	v_div_scale_f64 v[3:4], s[16:17], v[1:2], v[1:2], 1.0
	v_rcp_f64_e32 v[7:8], v[3:4]
	v_fma_f64 v[10:11], -v[3:4], v[7:8], 1.0
	v_fma_f64 v[7:8], v[7:8], v[10:11], v[7:8]
	v_div_scale_f64 v[10:11], vcc, 1.0, v[1:2], 1.0
	v_fma_f64 v[12:13], -v[3:4], v[7:8], 1.0
	v_fma_f64 v[7:8], v[7:8], v[12:13], v[7:8]
	v_mul_f64 v[12:13], v[10:11], v[7:8]
	v_fma_f64 v[3:4], -v[3:4], v[12:13], v[10:11]
	v_div_fmas_f64 v[3:4], v[3:4], v[7:8], v[12:13]
	v_add_f64 v[7:8], v[5:6], 0
	v_div_fixup_f64 v[1:2], v[3:4], v[1:2], 1.0
	v_fma_f64 v[3:4], v[5:6], 0, -1.0
	v_mul_f64 v[5:6], v[7:8], v[1:2]
	v_mul_f64 v[7:8], v[3:4], v[1:2]
                                        ; implicit-def: $vgpr1_vgpr2
.LBB225_6:
	s_andn2_saveexec_b64 s[8:9], s[8:9]
	s_cbranch_execz .LBB225_8
; %bb.7:
	v_div_scale_f64 v[5:6], s[16:17], v[1:2], v[1:2], v[3:4]
	v_rcp_f64_e32 v[7:8], v[5:6]
	v_fma_f64 v[10:11], -v[5:6], v[7:8], 1.0
	v_fma_f64 v[7:8], v[7:8], v[10:11], v[7:8]
	v_div_scale_f64 v[10:11], vcc, v[3:4], v[1:2], v[3:4]
	v_fma_f64 v[12:13], -v[5:6], v[7:8], 1.0
	v_fma_f64 v[7:8], v[7:8], v[12:13], v[7:8]
	v_mul_f64 v[12:13], v[10:11], v[7:8]
	v_fma_f64 v[5:6], -v[5:6], v[12:13], v[10:11]
	v_div_fmas_f64 v[5:6], v[5:6], v[7:8], v[12:13]
	v_div_fixup_f64 v[5:6], v[5:6], v[1:2], v[3:4]
	v_fma_f64 v[1:2], v[3:4], v[5:6], v[1:2]
	v_div_scale_f64 v[3:4], s[16:17], v[1:2], v[1:2], 1.0
	v_rcp_f64_e32 v[7:8], v[3:4]
	v_fma_f64 v[10:11], -v[3:4], v[7:8], 1.0
	v_fma_f64 v[7:8], v[7:8], v[10:11], v[7:8]
	v_div_scale_f64 v[10:11], vcc, 1.0, v[1:2], 1.0
	v_fma_f64 v[12:13], -v[3:4], v[7:8], 1.0
	v_fma_f64 v[7:8], v[7:8], v[12:13], v[7:8]
	v_mul_f64 v[12:13], v[10:11], v[7:8]
	v_fma_f64 v[3:4], -v[3:4], v[12:13], v[10:11]
	v_div_fmas_f64 v[3:4], v[3:4], v[7:8], v[12:13]
	v_fma_f64 v[7:8], v[5:6], 0, 1.0
	v_div_fixup_f64 v[1:2], v[3:4], v[1:2], 1.0
	v_add_f64 v[3:4], -v[5:6], 0
	v_mul_f64 v[5:6], v[7:8], v[1:2]
	v_mul_f64 v[7:8], v[3:4], v[1:2]
.LBB225_8:
	s_or_b64 exec, exec, s[8:9]
	s_branch .LBB225_10
.LBB225_9:
	v_mov_b32_e32 v7, 0
	v_mov_b32_e32 v5, 0
	v_mov_b32_e32 v8, 0
	v_mov_b32_e32 v6, 0x3ff00000
.LBB225_10:
	ds_write_b128 v9, v[5:8]
.LBB225_11:
	s_or_b64 exec, exec, s[26:27]
	s_mul_i32 s8, s6, 0xffffffe8
	s_add_i32 s29, s29, -1
	s_add_i32 s8, s23, s8
	s_cmp_ge_u32 s6, s29
	s_cselect_b32 s8, s8, 24
	v_cmp_gt_i32_e32 vcc, s8, v0
	s_waitcnt lgkmcnt(0)
	; wave barrier
	s_and_saveexec_b64 s[8:9], vcc
	s_cbranch_execz .LBB225_54
; %bb.12:
	s_load_dwordx2 s[8:9], s[4:5], 0x60
	s_load_dword s16, s[4:5], 0x58
	s_waitcnt lgkmcnt(0)
	s_mul_i32 s5, s9, s7
	s_mul_hi_u32 s9, s8, s7
	s_mul_i32 s4, s8, s7
	v_mad_u64_u32 v[0:1], s[6:7], s6, 24, v[0:1]
	s_add_i32 s5, s9, s5
	s_lshl_b64 s[4:5], s[4:5], 4
	v_mad_i64_i32 v[0:1], s[6:7], s16, v0, 0
	s_add_u32 s8, s10, s4
	s_addc_u32 s9, s11, s5
	s_lshl_b64 s[6:7], s[24:25], 4
	s_add_u32 s8, s8, s6
	v_lshlrev_b64 v[4:5], 4, v[0:1]
	s_addc_u32 s9, s9, s7
	v_mov_b32_e32 v0, s9
	v_add_co_u32_e32 v8, vcc, s8, v4
	v_addc_co_u32_e32 v9, vcc, v0, v5, vcc
	s_cmpk_eq_i32 s20, 0x6f
	s_mov_b64 s[8:9], -1
	s_cbranch_scc1 .LBB225_34
; %bb.13:
	s_add_u32 s8, s10, s6
	s_addc_u32 s9, s11, s7
	s_add_u32 s8, s8, s4
	s_addc_u32 s9, s9, s5
	v_mov_b32_e32 v0, s9
	v_add_co_u32_e32 v1, vcc, s8, v4
	v_addc_co_u32_e32 v0, vcc, v0, v5, vcc
	v_add_co_u32_e32 v10, vcc, 8, v1
	s_mov_b32 s9, 0
	v_addc_co_u32_e32 v11, vcc, 0, v0, vcc
	s_mov_b32 s16, s9
	s_mov_b32 s18, s9
	s_branch .LBB225_15
.LBB225_14:                             ;   in Loop: Header=BB225_15 Depth=1
	s_cmp_ge_i32 s18, s28
	s_cselect_b64 s[20:21], -1, 0
	s_add_i32 s16, s16, 1
	s_cmp_eq_u32 s16, 3
	s_cselect_b64 s[22:23], -1, 0
	s_or_b64 s[20:21], s[20:21], s[22:23]
	s_andn2_b64 vcc, exec, s[20:21]
	s_cbranch_vccz .LBB225_33
.LBB225_15:                             ; =>This Loop Header: Depth=1
                                        ;     Child Loop BB225_18 Depth 2
                                        ;       Child Loop BB225_19 Depth 3
                                        ;       Child Loop BB225_22 Depth 3
                                        ;         Child Loop BB225_23 Depth 4
                                        ;       Child Loop BB225_27 Depth 3
                                        ;         Child Loop BB225_29 Depth 4
	s_mov_b32 s17, s9
	s_lshl_b64 s[20:21], s[16:17], 2
	s_getpc_b64 s[22:23]
	s_add_u32 s22, s22, __const._ZL30rocblas_trsm_small_left_deviceILi24ELi24ELb0E19rocblas_complex_numIdES1_PKS1_PS1_Ev13rocblas_fill_18rocblas_operation_17rocblas_diagonal_iiT3_T4_lilT5_lili.step_sizes@rel32@lo+4
	s_addc_u32 s23, s23, __const._ZL30rocblas_trsm_small_left_deviceILi24ELi24ELb0E19rocblas_complex_numIdES1_PKS1_PS1_Ev13rocblas_fill_18rocblas_operation_17rocblas_diagonal_iiT3_T4_lilT5_lili.step_sizes@rel32@hi+12
	s_add_u32 s20, s22, s20
	s_addc_u32 s21, s23, s21
	s_load_dword s20, s[20:21], 0x0
	s_waitcnt lgkmcnt(0)
	s_add_i32 s17, s20, -1
	s_add_i32 s8, s17, s18
	s_cmp_ge_i32 s8, s28
	s_cbranch_scc1 .LBB225_14
; %bb.16:                               ;   in Loop: Header=BB225_15 Depth=1
	s_ashr_i32 s19, s18, 31
	s_lshl_b64 s[22:23], s[18:19], 4
	s_ashr_i32 s21, s20, 31
	v_mov_b32_e32 v0, s23
	v_add_co_u32_e32 v6, vcc, s22, v10
	s_lshl_b64 s[22:23], s[20:21], 4
	s_max_i32 s29, s20, 1
	v_addc_co_u32_e32 v7, vcc, v11, v0, vcc
	s_mul_i32 s19, s18, 0x180
	s_mul_i32 s21, s20, 0x180
	;; [unrolled: 1-line block ×4, first 2 shown]
	v_mov_b32_e32 v12, s23
	s_branch .LBB225_18
.LBB225_17:                             ;   in Loop: Header=BB225_18 Depth=2
	s_add_i32 s18, s18, s20
	s_add_i32 s8, s17, s18
	s_add_i32 s19, s19, s21
	s_add_i32 s30, s30, s31
	v_add_co_u32_e32 v6, vcc, s22, v6
	s_cmp_ge_i32 s8, s28
	v_addc_co_u32_e32 v7, vcc, v7, v12, vcc
	s_cbranch_scc1 .LBB225_14
.LBB225_18:                             ;   Parent Loop BB225_15 Depth=1
                                        ; =>  This Loop Header: Depth=2
                                        ;       Child Loop BB225_19 Depth 3
                                        ;       Child Loop BB225_22 Depth 3
                                        ;         Child Loop BB225_23 Depth 4
                                        ;       Child Loop BB225_27 Depth 3
                                        ;         Child Loop BB225_29 Depth 4
	v_mov_b32_e32 v0, v6
	s_mov_b32 s8, 0
	v_mov_b32_e32 v1, v7
	s_mov_b32 s23, s29
.LBB225_19:                             ;   Parent Loop BB225_15 Depth=1
                                        ;     Parent Loop BB225_18 Depth=2
                                        ; =>    This Inner Loop Header: Depth=3
	global_load_dwordx4 v[13:16], v[0:1], off offset:-8
	v_mov_b32_e32 v17, s8
	s_add_i32 s23, s23, -1
	v_add_co_u32_e32 v0, vcc, 16, v0
	s_add_i32 s8, s8, 16
	v_addc_co_u32_e32 v1, vcc, 0, v1, vcc
	s_cmp_eq_u32 s23, 0
	s_waitcnt vmcnt(0)
	v_mul_f64 v[2:3], s[14:15], v[15:16]
	v_mul_f64 v[15:16], s[12:13], v[15:16]
	v_fma_f64 v[2:3], s[12:13], v[13:14], -v[2:3]
	v_fma_f64 v[13:14], s[14:15], v[13:14], v[15:16]
	buffer_store_dword v3, v17, s[0:3], 0 offen offset:4
	buffer_store_dword v2, v17, s[0:3], 0 offen
	buffer_store_dword v14, v17, s[0:3], 0 offen offset:12
	buffer_store_dword v13, v17, s[0:3], 0 offen offset:8
	s_cbranch_scc0 .LBB225_19
; %bb.20:                               ;   in Loop: Header=BB225_18 Depth=2
	s_cmp_lt_i32 s18, 1
	s_cbranch_scc1 .LBB225_25
; %bb.21:                               ;   in Loop: Header=BB225_18 Depth=2
	s_mov_b32 s8, 0
	s_mov_b32 s23, s19
.LBB225_22:                             ;   Parent Loop BB225_15 Depth=1
                                        ;     Parent Loop BB225_18 Depth=2
                                        ; =>    This Loop Header: Depth=3
                                        ;         Child Loop BB225_23 Depth 4
	s_lshl_b64 s[24:25], s[8:9], 4
	v_mov_b32_e32 v1, s25
	v_add_co_u32_e32 v0, vcc, s24, v8
	v_addc_co_u32_e32 v1, vcc, v9, v1, vcc
	global_load_dwordx4 v[0:3], v[0:1], off
	s_mov_b32 s24, 0
	s_mov_b32 s25, s23
	;; [unrolled: 1-line block ×3, first 2 shown]
.LBB225_23:                             ;   Parent Loop BB225_15 Depth=1
                                        ;     Parent Loop BB225_18 Depth=2
                                        ;       Parent Loop BB225_22 Depth=3
                                        ; =>      This Inner Loop Header: Depth=4
	v_mov_b32_e32 v23, s24
	buffer_load_dword v17, v23, s[0:3], 0 offen
	buffer_load_dword v18, v23, s[0:3], 0 offen offset:4
	buffer_load_dword v19, v23, s[0:3], 0 offen offset:8
	;; [unrolled: 1-line block ×3, first 2 shown]
	v_mov_b32_e32 v13, s25
	ds_read_b128 v[13:16], v13
	s_add_i32 s26, s26, -1
	s_addk_i32 s25, 0x180
	s_add_i32 s24, s24, 16
	s_cmp_eq_u32 s26, 0
	s_waitcnt vmcnt(4) lgkmcnt(0)
	v_mul_f64 v[21:22], v[2:3], v[15:16]
	v_mul_f64 v[15:16], v[0:1], v[15:16]
	v_fma_f64 v[21:22], v[0:1], v[13:14], -v[21:22]
	v_fma_f64 v[13:14], v[2:3], v[13:14], v[15:16]
	s_waitcnt vmcnt(2)
	v_add_f64 v[15:16], v[17:18], -v[21:22]
	s_waitcnt vmcnt(0)
	v_add_f64 v[13:14], v[19:20], -v[13:14]
	buffer_store_dword v15, v23, s[0:3], 0 offen
	buffer_store_dword v16, v23, s[0:3], 0 offen offset:4
	buffer_store_dword v13, v23, s[0:3], 0 offen offset:8
	buffer_store_dword v14, v23, s[0:3], 0 offen offset:12
	s_cbranch_scc0 .LBB225_23
; %bb.24:                               ;   in Loop: Header=BB225_22 Depth=3
	s_add_i32 s8, s8, 1
	s_add_i32 s23, s23, 16
	s_cmp_eq_u32 s8, s18
	s_cbranch_scc0 .LBB225_22
.LBB225_25:                             ;   in Loop: Header=BB225_18 Depth=2
	s_mov_b32 s8, 0
	s_mov_b32 s23, s30
	s_branch .LBB225_27
.LBB225_26:                             ;   in Loop: Header=BB225_27 Depth=3
	s_mul_i32 s25, s24, 0x190
	v_mov_b32_e32 v13, s25
	ds_read_b128 v[13:16], v13
	s_ashr_i32 s25, s24, 31
	s_lshl_b64 s[24:25], s[24:25], 4
	s_lshl_b32 s26, s8, 4
	s_add_i32 s8, s8, 1
	s_waitcnt vmcnt(0) lgkmcnt(0)
	v_mul_f64 v[17:18], v[15:16], v[2:3]
	v_mul_f64 v[2:3], v[13:14], v[2:3]
	s_addk_i32 s23, 0x180
	v_mov_b32_e32 v19, s26
	s_cmp_eq_u32 s8, s29
	v_fma_f64 v[13:14], v[13:14], v[0:1], -v[17:18]
	v_fma_f64 v[15:16], v[15:16], v[0:1], v[2:3]
	v_mov_b32_e32 v17, s25
	v_add_co_u32_e32 v0, vcc, s24, v8
	v_addc_co_u32_e32 v1, vcc, v9, v17, vcc
	buffer_store_dword v14, v19, s[0:3], 0 offen offset:4
	buffer_store_dword v13, v19, s[0:3], 0 offen
	buffer_store_dword v16, v19, s[0:3], 0 offen offset:12
	buffer_store_dword v15, v19, s[0:3], 0 offen offset:8
	global_store_dwordx4 v[0:1], v[13:16], off
	s_cbranch_scc1 .LBB225_17
.LBB225_27:                             ;   Parent Loop BB225_15 Depth=1
                                        ;     Parent Loop BB225_18 Depth=2
                                        ; =>    This Loop Header: Depth=3
                                        ;         Child Loop BB225_29 Depth 4
	s_cmp_lg_u32 s8, 0
	s_cbranch_scc0 .LBB225_31
; %bb.28:                               ;   in Loop: Header=BB225_27 Depth=3
	s_lshl_b32 s24, s8, 4
	v_mov_b32_e32 v13, s24
	buffer_load_dword v0, v13, s[0:3], 0 offen
	buffer_load_dword v1, v13, s[0:3], 0 offen offset:4
	buffer_load_dword v2, v13, s[0:3], 0 offen offset:8
	;; [unrolled: 1-line block ×3, first 2 shown]
	s_add_i32 s24, s8, s18
	s_mov_b32 s25, 0
	s_mov_b32 s26, s23
	;; [unrolled: 1-line block ×3, first 2 shown]
.LBB225_29:                             ;   Parent Loop BB225_15 Depth=1
                                        ;     Parent Loop BB225_18 Depth=2
                                        ;       Parent Loop BB225_27 Depth=3
                                        ; =>      This Inner Loop Header: Depth=4
	v_mov_b32_e32 v14, s25
	buffer_load_dword v18, v14, s[0:3], 0 offen offset:8
	buffer_load_dword v19, v14, s[0:3], 0 offen offset:12
	buffer_load_dword v20, v14, s[0:3], 0 offen
	buffer_load_dword v21, v14, s[0:3], 0 offen offset:4
	v_mov_b32_e32 v14, s26
	ds_read_b128 v[14:17], v14
	s_add_i32 s27, s27, -1
	s_add_i32 s25, s25, 16
	s_add_i32 s26, s26, 16
	s_cmp_eq_u32 s27, 0
	s_waitcnt vmcnt(2) lgkmcnt(0)
	v_mul_f64 v[22:23], v[16:17], v[18:19]
	v_mul_f64 v[18:19], v[14:15], v[18:19]
	s_waitcnt vmcnt(0)
	v_fma_f64 v[14:15], v[14:15], v[20:21], -v[22:23]
	v_fma_f64 v[16:17], v[16:17], v[20:21], v[18:19]
	v_add_f64 v[0:1], v[0:1], -v[14:15]
	v_add_f64 v[2:3], v[2:3], -v[16:17]
	buffer_store_dword v0, v13, s[0:3], 0 offen
	buffer_store_dword v1, v13, s[0:3], 0 offen offset:4
	buffer_store_dword v2, v13, s[0:3], 0 offen offset:8
	;; [unrolled: 1-line block ×3, first 2 shown]
	s_cbranch_scc0 .LBB225_29
; %bb.30:                               ;   in Loop: Header=BB225_27 Depth=3
	s_branch .LBB225_26
.LBB225_31:                             ;   in Loop: Header=BB225_27 Depth=3
                                        ; implicit-def: $vgpr0_vgpr1
                                        ; implicit-def: $vgpr2_vgpr3
                                        ; implicit-def: $sgpr24
	s_cbranch_execz .LBB225_26
; %bb.32:                               ;   in Loop: Header=BB225_27 Depth=3
	buffer_load_dword v0, off, s[0:3], 0
	buffer_load_dword v1, off, s[0:3], 0 offset:4
	buffer_load_dword v2, off, s[0:3], 0 offset:8
	;; [unrolled: 1-line block ×3, first 2 shown]
	s_mov_b32 s24, s18
	s_branch .LBB225_26
.LBB225_33:
	s_mov_b64 s[8:9], 0
.LBB225_34:
	s_and_b64 vcc, exec, s[8:9]
	s_cbranch_vccz .LBB225_54
; %bb.35:
	s_add_i32 s18, s28, -1
	s_add_u32 s6, s10, s6
	s_addc_u32 s7, s11, s7
	s_add_u32 s4, s6, s4
	s_addc_u32 s5, s7, s5
	v_mov_b32_e32 v0, s5
	v_add_co_u32_e32 v1, vcc, s4, v4
	v_addc_co_u32_e32 v0, vcc, v0, v5, vcc
	v_add_co_u32_e32 v4, vcc, 8, v1
	s_mul_i32 s19, s28, 0x180
	s_mov_b32 s5, 0
	v_addc_co_u32_e32 v5, vcc, 0, v0, vcc
	s_addk_i32 s19, 0xfe80
	s_mov_b32 s6, s18
	s_mov_b32 s4, s5
	s_branch .LBB225_37
.LBB225_36:                             ;   in Loop: Header=BB225_37 Depth=1
	s_cmp_lt_i32 s6, 0
	s_cselect_b64 s[8:9], -1, 0
	s_add_i32 s4, s4, 1
	s_cmp_eq_u32 s4, 3
	s_cselect_b64 s[10:11], -1, 0
	s_or_b64 s[8:9], s[8:9], s[10:11]
	s_and_b64 vcc, exec, s[8:9]
	s_cbranch_vccnz .LBB225_54
.LBB225_37:                             ; =>This Loop Header: Depth=1
                                        ;     Child Loop BB225_40 Depth 2
                                        ;       Child Loop BB225_41 Depth 3
                                        ;       Child Loop BB225_43 Depth 3
                                        ;         Child Loop BB225_44 Depth 4
                                        ;       Child Loop BB225_48 Depth 3
                                        ;         Child Loop BB225_50 Depth 4
	s_lshl_b64 s[8:9], s[4:5], 2
	s_getpc_b64 s[10:11]
	s_add_u32 s10, s10, __const._ZL30rocblas_trsm_small_left_deviceILi24ELi24ELb0E19rocblas_complex_numIdES1_PKS1_PS1_Ev13rocblas_fill_18rocblas_operation_17rocblas_diagonal_iiT3_T4_lilT5_lili.step_sizes@rel32@lo+4
	s_addc_u32 s11, s11, __const._ZL30rocblas_trsm_small_left_deviceILi24ELi24ELb0E19rocblas_complex_numIdES1_PKS1_PS1_Ev13rocblas_fill_18rocblas_operation_17rocblas_diagonal_iiT3_T4_lilT5_lili.step_sizes@rel32@hi+12
	s_add_u32 s8, s10, s8
	s_addc_u32 s9, s11, s9
	s_load_dword s20, s[8:9], 0x0
	s_waitcnt lgkmcnt(0)
	s_add_i32 s21, s20, -1
	s_cmp_lt_i32 s6, s21
	s_cbranch_scc1 .LBB225_36
; %bb.38:                               ;   in Loop: Header=BB225_37 Depth=1
	s_lshl_b32 s7, s6, 4
	s_add_i32 s23, s19, s7
	s_lshl_b32 s7, s20, 4
	s_max_i32 s22, s20, 1
	s_sub_i32 s24, 0, s7
	s_mul_i32 s25, s6, 0x190
	s_mul_i32 s26, s20, 0xfffffe70
	s_branch .LBB225_40
.LBB225_39:                             ;   in Loop: Header=BB225_40 Depth=2
	s_sub_i32 s6, s6, s20
	s_add_i32 s23, s23, s24
	s_add_i32 s25, s25, s26
	s_cmp_lt_i32 s6, s21
	s_cbranch_scc1 .LBB225_36
.LBB225_40:                             ;   Parent Loop BB225_37 Depth=1
                                        ; =>  This Loop Header: Depth=2
                                        ;       Child Loop BB225_41 Depth 3
                                        ;       Child Loop BB225_43 Depth 3
                                        ;         Child Loop BB225_44 Depth 4
                                        ;       Child Loop BB225_48 Depth 3
                                        ;         Child Loop BB225_50 Depth 4
	s_ashr_i32 s7, s6, 31
	s_lshl_b64 s[8:9], s[6:7], 4
	v_mov_b32_e32 v1, s9
	v_add_co_u32_e32 v0, vcc, s8, v4
	v_addc_co_u32_e32 v1, vcc, v5, v1, vcc
	s_mov_b32 s8, 0
	s_mov_b32 s9, s22
.LBB225_41:                             ;   Parent Loop BB225_37 Depth=1
                                        ;     Parent Loop BB225_40 Depth=2
                                        ; =>    This Inner Loop Header: Depth=3
	global_load_dwordx4 v[10:13], v[0:1], off offset:-8
	s_add_i32 s9, s9, -1
	v_add_co_u32_e32 v0, vcc, -16, v0
	v_addc_co_u32_e32 v1, vcc, -1, v1, vcc
	s_waitcnt vmcnt(0)
	v_mul_f64 v[2:3], s[14:15], v[12:13]
	v_mul_f64 v[6:7], s[12:13], v[12:13]
	v_mov_b32_e32 v12, s8
	s_add_i32 s8, s8, 16
	s_cmp_eq_u32 s9, 0
	v_fma_f64 v[2:3], s[12:13], v[10:11], -v[2:3]
	v_fma_f64 v[6:7], s[14:15], v[10:11], v[6:7]
	buffer_store_dword v3, v12, s[0:3], 0 offen offset:4
	buffer_store_dword v2, v12, s[0:3], 0 offen
	buffer_store_dword v7, v12, s[0:3], 0 offen offset:12
	buffer_store_dword v6, v12, s[0:3], 0 offen offset:8
	s_cbranch_scc0 .LBB225_41
; %bb.42:                               ;   in Loop: Header=BB225_40 Depth=2
	s_cmp_le_i32 s18, s6
	s_mov_b32 s10, s23
	s_mov_b32 s8, s18
	s_cbranch_scc1 .LBB225_46
.LBB225_43:                             ;   Parent Loop BB225_37 Depth=1
                                        ;     Parent Loop BB225_40 Depth=2
                                        ; =>    This Loop Header: Depth=3
                                        ;         Child Loop BB225_44 Depth 4
	s_ashr_i32 s9, s8, 31
	s_lshl_b64 s[16:17], s[8:9], 4
	v_mov_b32_e32 v1, s17
	v_add_co_u32_e32 v0, vcc, s16, v8
	v_addc_co_u32_e32 v1, vcc, v9, v1, vcc
	global_load_dwordx4 v[0:3], v[0:1], off
	s_mov_b32 s9, 0
	s_mov_b32 s11, s10
	;; [unrolled: 1-line block ×3, first 2 shown]
.LBB225_44:                             ;   Parent Loop BB225_37 Depth=1
                                        ;     Parent Loop BB225_40 Depth=2
                                        ;       Parent Loop BB225_43 Depth=3
                                        ; =>      This Inner Loop Header: Depth=4
	v_mov_b32_e32 v18, s9
	buffer_load_dword v6, v18, s[0:3], 0 offen
	buffer_load_dword v7, v18, s[0:3], 0 offen offset:4
	buffer_load_dword v14, v18, s[0:3], 0 offen offset:8
	;; [unrolled: 1-line block ×3, first 2 shown]
	v_mov_b32_e32 v10, s11
	ds_read_b128 v[10:13], v10
	s_add_i32 s16, s16, -1
	s_add_i32 s11, s11, -16
	s_add_i32 s9, s9, 16
	s_cmp_eq_u32 s16, 0
	s_waitcnt vmcnt(4) lgkmcnt(0)
	v_mul_f64 v[16:17], v[2:3], v[12:13]
	v_mul_f64 v[12:13], v[0:1], v[12:13]
	v_fma_f64 v[16:17], v[0:1], v[10:11], -v[16:17]
	v_fma_f64 v[10:11], v[2:3], v[10:11], v[12:13]
	s_waitcnt vmcnt(2)
	v_add_f64 v[6:7], v[6:7], -v[16:17]
	s_waitcnt vmcnt(0)
	v_add_f64 v[10:11], v[14:15], -v[10:11]
	buffer_store_dword v6, v18, s[0:3], 0 offen
	buffer_store_dword v7, v18, s[0:3], 0 offen offset:4
	buffer_store_dword v10, v18, s[0:3], 0 offen offset:8
	;; [unrolled: 1-line block ×3, first 2 shown]
	s_cbranch_scc0 .LBB225_44
; %bb.45:                               ;   in Loop: Header=BB225_43 Depth=3
	s_add_i32 s8, s8, -1
	s_addk_i32 s10, 0xfe80
	s_cmp_le_i32 s8, s6
	s_cbranch_scc0 .LBB225_43
.LBB225_46:                             ;   in Loop: Header=BB225_40 Depth=2
	s_mov_b32 s27, 0
	s_mov_b32 s28, s25
	s_branch .LBB225_48
.LBB225_47:                             ;   in Loop: Header=BB225_48 Depth=3
	s_mulk_i32 s10, 0x190
	v_mov_b32_e32 v6, s10
	ds_read_b128 v[10:13], v6
	s_lshl_b64 s[8:9], s[8:9], 4
	s_lshl_b32 s10, s27, 4
	s_add_i32 s27, s27, 1
	s_add_i32 s28, s28, -16
	s_waitcnt vmcnt(0) lgkmcnt(0)
	v_mul_f64 v[6:7], v[12:13], v[2:3]
	v_mul_f64 v[2:3], v[10:11], v[2:3]
	v_mov_b32_e32 v14, s10
	s_cmp_eq_u32 s27, s22
	v_fma_f64 v[10:11], v[10:11], v[0:1], -v[6:7]
	v_fma_f64 v[12:13], v[12:13], v[0:1], v[2:3]
	v_mov_b32_e32 v6, s9
	v_add_co_u32_e32 v0, vcc, s8, v8
	v_addc_co_u32_e32 v1, vcc, v9, v6, vcc
	buffer_store_dword v11, v14, s[0:3], 0 offen offset:4
	buffer_store_dword v10, v14, s[0:3], 0 offen
	buffer_store_dword v13, v14, s[0:3], 0 offen offset:12
	buffer_store_dword v12, v14, s[0:3], 0 offen offset:8
	global_store_dwordx4 v[0:1], v[10:13], off
	s_cbranch_scc1 .LBB225_39
.LBB225_48:                             ;   Parent Loop BB225_37 Depth=1
                                        ;     Parent Loop BB225_40 Depth=2
                                        ; =>    This Loop Header: Depth=3
                                        ;         Child Loop BB225_50 Depth 4
	s_cmp_lg_u32 s27, 0
	s_cbranch_scc0 .LBB225_52
; %bb.49:                               ;   in Loop: Header=BB225_48 Depth=3
	s_lshl_b32 s8, s27, 4
	v_mov_b32_e32 v6, s8
	buffer_load_dword v0, v6, s[0:3], 0 offen
	buffer_load_dword v1, v6, s[0:3], 0 offen offset:4
	buffer_load_dword v2, v6, s[0:3], 0 offen offset:8
	;; [unrolled: 1-line block ×3, first 2 shown]
	s_mov_b32 s8, 0
	s_mov_b32 s9, s28
	;; [unrolled: 1-line block ×3, first 2 shown]
.LBB225_50:                             ;   Parent Loop BB225_37 Depth=1
                                        ;     Parent Loop BB225_40 Depth=2
                                        ;       Parent Loop BB225_48 Depth=3
                                        ; =>      This Inner Loop Header: Depth=4
	v_mov_b32_e32 v7, s8
	buffer_load_dword v14, v7, s[0:3], 0 offen offset:8
	buffer_load_dword v15, v7, s[0:3], 0 offen offset:12
	buffer_load_dword v16, v7, s[0:3], 0 offen
	buffer_load_dword v17, v7, s[0:3], 0 offen offset:4
	v_mov_b32_e32 v7, s9
	ds_read_b128 v[10:13], v7
	s_add_i32 s10, s10, -1
	s_addk_i32 s9, 0xfe80
	s_add_i32 s8, s8, 16
	s_cmp_eq_u32 s10, 0
	s_waitcnt vmcnt(2) lgkmcnt(0)
	v_mul_f64 v[18:19], v[12:13], v[14:15]
	v_mul_f64 v[14:15], v[10:11], v[14:15]
	s_waitcnt vmcnt(0)
	v_fma_f64 v[10:11], v[10:11], v[16:17], -v[18:19]
	v_fma_f64 v[12:13], v[12:13], v[16:17], v[14:15]
	v_add_f64 v[0:1], v[0:1], -v[10:11]
	v_add_f64 v[2:3], v[2:3], -v[12:13]
	buffer_store_dword v0, v6, s[0:3], 0 offen
	buffer_store_dword v1, v6, s[0:3], 0 offen offset:4
	buffer_store_dword v2, v6, s[0:3], 0 offen offset:8
	;; [unrolled: 1-line block ×3, first 2 shown]
	s_cbranch_scc0 .LBB225_50
; %bb.51:                               ;   in Loop: Header=BB225_48 Depth=3
	s_sub_i32 s10, s6, s27
	s_ashr_i32 s11, s10, 31
	s_mov_b64 s[8:9], s[10:11]
	s_branch .LBB225_47
.LBB225_52:                             ;   in Loop: Header=BB225_48 Depth=3
                                        ; implicit-def: $vgpr0_vgpr1
                                        ; implicit-def: $vgpr2_vgpr3
                                        ; implicit-def: $sgpr10
                                        ; implicit-def: $sgpr8_sgpr9
	s_cbranch_execz .LBB225_47
; %bb.53:                               ;   in Loop: Header=BB225_48 Depth=3
	buffer_load_dword v0, off, s[0:3], 0
	buffer_load_dword v1, off, s[0:3], 0 offset:4
	buffer_load_dword v2, off, s[0:3], 0 offset:8
	;; [unrolled: 1-line block ×3, first 2 shown]
	s_mov_b64 s[8:9], s[6:7]
	s_mov_b32 s10, s6
	s_branch .LBB225_47
.LBB225_54:
	s_endpgm
	.section	.rodata,"a",@progbits
	.p2align	6, 0x0
	.amdhsa_kernel _ZL30rocblas_trsm_small_left_deviceILi24ELi24ELb0E19rocblas_complex_numIdES1_PKS1_PS1_Ev13rocblas_fill_18rocblas_operation_17rocblas_diagonal_iiT3_T4_lilT5_lili
		.amdhsa_group_segment_fixed_size 9216
		.amdhsa_private_segment_fixed_size 400
		.amdhsa_kernarg_size 368
		.amdhsa_user_sgpr_count 6
		.amdhsa_user_sgpr_private_segment_buffer 1
		.amdhsa_user_sgpr_dispatch_ptr 0
		.amdhsa_user_sgpr_queue_ptr 0
		.amdhsa_user_sgpr_kernarg_segment_ptr 1
		.amdhsa_user_sgpr_dispatch_id 0
		.amdhsa_user_sgpr_flat_scratch_init 0
		.amdhsa_user_sgpr_private_segment_size 0
		.amdhsa_uses_dynamic_stack 0
		.amdhsa_system_sgpr_private_segment_wavefront_offset 1
		.amdhsa_system_sgpr_workgroup_id_x 1
		.amdhsa_system_sgpr_workgroup_id_y 0
		.amdhsa_system_sgpr_workgroup_id_z 1
		.amdhsa_system_sgpr_workgroup_info 0
		.amdhsa_system_vgpr_workitem_id 0
		.amdhsa_next_free_vgpr 85
		.amdhsa_next_free_sgpr 98
		.amdhsa_reserve_vcc 1
		.amdhsa_reserve_flat_scratch 0
		.amdhsa_float_round_mode_32 0
		.amdhsa_float_round_mode_16_64 0
		.amdhsa_float_denorm_mode_32 3
		.amdhsa_float_denorm_mode_16_64 3
		.amdhsa_dx10_clamp 1
		.amdhsa_ieee_mode 1
		.amdhsa_fp16_overflow 0
		.amdhsa_exception_fp_ieee_invalid_op 0
		.amdhsa_exception_fp_denorm_src 0
		.amdhsa_exception_fp_ieee_div_zero 0
		.amdhsa_exception_fp_ieee_overflow 0
		.amdhsa_exception_fp_ieee_underflow 0
		.amdhsa_exception_fp_ieee_inexact 0
		.amdhsa_exception_int_div_zero 0
	.end_amdhsa_kernel
	.section	.text._ZL30rocblas_trsm_small_left_deviceILi24ELi24ELb0E19rocblas_complex_numIdES1_PKS1_PS1_Ev13rocblas_fill_18rocblas_operation_17rocblas_diagonal_iiT3_T4_lilT5_lili,"axG",@progbits,_ZL30rocblas_trsm_small_left_deviceILi24ELi24ELb0E19rocblas_complex_numIdES1_PKS1_PS1_Ev13rocblas_fill_18rocblas_operation_17rocblas_diagonal_iiT3_T4_lilT5_lili,comdat
.Lfunc_end225:
	.size	_ZL30rocblas_trsm_small_left_deviceILi24ELi24ELb0E19rocblas_complex_numIdES1_PKS1_PS1_Ev13rocblas_fill_18rocblas_operation_17rocblas_diagonal_iiT3_T4_lilT5_lili, .Lfunc_end225-_ZL30rocblas_trsm_small_left_deviceILi24ELi24ELb0E19rocblas_complex_numIdES1_PKS1_PS1_Ev13rocblas_fill_18rocblas_operation_17rocblas_diagonal_iiT3_T4_lilT5_lili
                                        ; -- End function
	.set _ZL30rocblas_trsm_small_left_deviceILi24ELi24ELb0E19rocblas_complex_numIdES1_PKS1_PS1_Ev13rocblas_fill_18rocblas_operation_17rocblas_diagonal_iiT3_T4_lilT5_lili.num_vgpr, 24
	.set _ZL30rocblas_trsm_small_left_deviceILi24ELi24ELb0E19rocblas_complex_numIdES1_PKS1_PS1_Ev13rocblas_fill_18rocblas_operation_17rocblas_diagonal_iiT3_T4_lilT5_lili.num_agpr, 0
	.set _ZL30rocblas_trsm_small_left_deviceILi24ELi24ELb0E19rocblas_complex_numIdES1_PKS1_PS1_Ev13rocblas_fill_18rocblas_operation_17rocblas_diagonal_iiT3_T4_lilT5_lili.numbered_sgpr, 32
	.set _ZL30rocblas_trsm_small_left_deviceILi24ELi24ELb0E19rocblas_complex_numIdES1_PKS1_PS1_Ev13rocblas_fill_18rocblas_operation_17rocblas_diagonal_iiT3_T4_lilT5_lili.num_named_barrier, 0
	.set _ZL30rocblas_trsm_small_left_deviceILi24ELi24ELb0E19rocblas_complex_numIdES1_PKS1_PS1_Ev13rocblas_fill_18rocblas_operation_17rocblas_diagonal_iiT3_T4_lilT5_lili.private_seg_size, 400
	.set _ZL30rocblas_trsm_small_left_deviceILi24ELi24ELb0E19rocblas_complex_numIdES1_PKS1_PS1_Ev13rocblas_fill_18rocblas_operation_17rocblas_diagonal_iiT3_T4_lilT5_lili.uses_vcc, 1
	.set _ZL30rocblas_trsm_small_left_deviceILi24ELi24ELb0E19rocblas_complex_numIdES1_PKS1_PS1_Ev13rocblas_fill_18rocblas_operation_17rocblas_diagonal_iiT3_T4_lilT5_lili.uses_flat_scratch, 0
	.set _ZL30rocblas_trsm_small_left_deviceILi24ELi24ELb0E19rocblas_complex_numIdES1_PKS1_PS1_Ev13rocblas_fill_18rocblas_operation_17rocblas_diagonal_iiT3_T4_lilT5_lili.has_dyn_sized_stack, 0
	.set _ZL30rocblas_trsm_small_left_deviceILi24ELi24ELb0E19rocblas_complex_numIdES1_PKS1_PS1_Ev13rocblas_fill_18rocblas_operation_17rocblas_diagonal_iiT3_T4_lilT5_lili.has_recursion, 0
	.set _ZL30rocblas_trsm_small_left_deviceILi24ELi24ELb0E19rocblas_complex_numIdES1_PKS1_PS1_Ev13rocblas_fill_18rocblas_operation_17rocblas_diagonal_iiT3_T4_lilT5_lili.has_indirect_call, 0
	.section	.AMDGPU.csdata,"",@progbits
; Kernel info:
; codeLenInByte = 2960
; TotalNumSgprs: 36
; NumVgprs: 24
; ScratchSize: 400
; MemoryBound: 0
; FloatMode: 240
; IeeeMode: 1
; LDSByteSize: 9216 bytes/workgroup (compile time only)
; SGPRBlocks: 12
; VGPRBlocks: 21
; NumSGPRsForWavesPerEU: 102
; NumVGPRsForWavesPerEU: 85
; Occupancy: 2
; WaveLimiterHint : 0
; COMPUTE_PGM_RSRC2:SCRATCH_EN: 1
; COMPUTE_PGM_RSRC2:USER_SGPR: 6
; COMPUTE_PGM_RSRC2:TRAP_HANDLER: 0
; COMPUTE_PGM_RSRC2:TGID_X_EN: 1
; COMPUTE_PGM_RSRC2:TGID_Y_EN: 0
; COMPUTE_PGM_RSRC2:TGID_Z_EN: 1
; COMPUTE_PGM_RSRC2:TIDIG_COMP_CNT: 0
	.section	.text._ZL38rocblas_trsm_small_left_device_sharedBILi24ELi24ELb1E19rocblas_complex_numIdES1_PKS1_PS1_Ev13rocblas_fill_18rocblas_operation_17rocblas_diagonal_iiT3_T4_lilT5_lili,"axG",@progbits,_ZL38rocblas_trsm_small_left_device_sharedBILi24ELi24ELb1E19rocblas_complex_numIdES1_PKS1_PS1_Ev13rocblas_fill_18rocblas_operation_17rocblas_diagonal_iiT3_T4_lilT5_lili,comdat
	.globl	_ZL38rocblas_trsm_small_left_device_sharedBILi24ELi24ELb1E19rocblas_complex_numIdES1_PKS1_PS1_Ev13rocblas_fill_18rocblas_operation_17rocblas_diagonal_iiT3_T4_lilT5_lili ; -- Begin function _ZL38rocblas_trsm_small_left_device_sharedBILi24ELi24ELb1E19rocblas_complex_numIdES1_PKS1_PS1_Ev13rocblas_fill_18rocblas_operation_17rocblas_diagonal_iiT3_T4_lilT5_lili
	.p2align	8
	.type	_ZL38rocblas_trsm_small_left_device_sharedBILi24ELi24ELb1E19rocblas_complex_numIdES1_PKS1_PS1_Ev13rocblas_fill_18rocblas_operation_17rocblas_diagonal_iiT3_T4_lilT5_lili,@function
_ZL38rocblas_trsm_small_left_device_sharedBILi24ELi24ELb1E19rocblas_complex_numIdES1_PKS1_PS1_Ev13rocblas_fill_18rocblas_operation_17rocblas_diagonal_iiT3_T4_lilT5_lili: ; @_ZL38rocblas_trsm_small_left_device_sharedBILi24ELi24ELb1E19rocblas_complex_numIdES1_PKS1_PS1_Ev13rocblas_fill_18rocblas_operation_17rocblas_diagonal_iiT3_T4_lilT5_lili
; %bb.0:
	s_add_u32 s0, s0, s8
	s_load_dwordx4 s[20:23], s[4:5], 0x4
	s_load_dwordx8 s[12:19], s[4:5], 0x18
	s_load_dwordx4 s[8:11], s[4:5], 0x40
	s_load_dwordx2 s[24:25], s[4:5], 0x50
	s_load_dword s29, s[4:5], 0x70
	s_addc_u32 s1, s1, 0
	s_waitcnt lgkmcnt(0)
	s_min_i32 s28, s22, 24
	v_cmp_gt_i32_e32 vcc, s28, v0
	s_and_saveexec_b64 s[26:27], vcc
	s_cbranch_execz .LBB226_11
; %bb.1:
	s_load_dword s30, s[4:5], 0x38
	s_mul_i32 s9, s9, s7
	s_mul_hi_u32 s33, s8, s7
	s_mul_i32 s8, s8, s7
	v_lshlrev_b32_e32 v3, 4, v0
	s_waitcnt lgkmcnt(0)
	s_ashr_i32 s31, s30, 31
	s_cmpk_eq_i32 s20, 0x71
	s_cselect_b64 vcc, -1, 0
	s_add_i32 s9, s33, s9
	s_lshl_b64 s[8:9], s[8:9], 4
	s_lshl_b64 s[18:19], s[18:19], 4
	s_add_u32 s8, s8, s18
	s_addc_u32 s9, s9, s19
	s_add_u32 s8, s16, s8
	s_addc_u32 s9, s17, s9
	v_mov_b32_e32 v1, s9
	v_add_co_u32_e64 v2, s[8:9], s8, v3
	v_addc_co_u32_e64 v4, s[8:9], 0, v1, s[8:9]
	v_add_co_u32_e64 v1, s[8:9], 8, v2
	s_lshl_b64 s[16:17], s[30:31], 4
	v_addc_co_u32_e64 v2, s[8:9], 0, v4, s[8:9]
	v_mov_b32_e32 v4, s17
	v_mov_b32_e32 v5, v3
	s_mov_b32 s17, s28
.LBB226_2:                              ; =>This Inner Loop Header: Depth=1
	global_load_dwordx4 v[6:9], v[1:2], off offset:-8
	s_add_i32 s17, s17, -1
	v_add_co_u32_e64 v1, s[8:9], s16, v1
	v_addc_co_u32_e64 v2, s[8:9], v2, v4, s[8:9]
	s_cmp_eq_u32 s17, 0
	s_waitcnt vmcnt(0)
	v_xor_b32_e32 v10, 0x80000000, v9
	v_cndmask_b32_e32 v9, v9, v10, vcc
	ds_write_b128 v5, v[6:9]
	v_add_u32_e32 v5, 0x180, v5
	s_cbranch_scc0 .LBB226_2
; %bb.3:
	v_mul_u32_u24_e32 v1, 0x180, v0
	s_cmpk_lg_i32 s21, 0x84
	v_add_u32_e32 v9, v3, v1
	s_cbranch_scc0 .LBB226_9
; %bb.4:
	ds_read_b128 v[1:4], v9
                                        ; implicit-def: $vgpr7_vgpr8
	s_waitcnt lgkmcnt(0)
	v_cmp_ngt_f64_e64 s[8:9], |v[1:2]|, |v[3:4]|
	s_and_saveexec_b64 s[16:17], s[8:9]
	s_xor_b64 s[8:9], exec, s[16:17]
	s_cbranch_execz .LBB226_6
; %bb.5:
	v_div_scale_f64 v[5:6], s[16:17], v[3:4], v[3:4], v[1:2]
	v_rcp_f64_e32 v[7:8], v[5:6]
	v_fma_f64 v[10:11], -v[5:6], v[7:8], 1.0
	v_fma_f64 v[7:8], v[7:8], v[10:11], v[7:8]
	v_div_scale_f64 v[10:11], vcc, v[1:2], v[3:4], v[1:2]
	v_fma_f64 v[12:13], -v[5:6], v[7:8], 1.0
	v_fma_f64 v[7:8], v[7:8], v[12:13], v[7:8]
	v_mul_f64 v[12:13], v[10:11], v[7:8]
	v_fma_f64 v[5:6], -v[5:6], v[12:13], v[10:11]
	v_div_fmas_f64 v[5:6], v[5:6], v[7:8], v[12:13]
	v_div_fixup_f64 v[5:6], v[5:6], v[3:4], v[1:2]
	v_fma_f64 v[1:2], v[1:2], v[5:6], v[3:4]
	v_div_scale_f64 v[3:4], s[16:17], v[1:2], v[1:2], 1.0
	v_rcp_f64_e32 v[7:8], v[3:4]
	v_fma_f64 v[10:11], -v[3:4], v[7:8], 1.0
	v_fma_f64 v[7:8], v[7:8], v[10:11], v[7:8]
	v_div_scale_f64 v[10:11], vcc, 1.0, v[1:2], 1.0
	v_fma_f64 v[12:13], -v[3:4], v[7:8], 1.0
	v_fma_f64 v[7:8], v[7:8], v[12:13], v[7:8]
	v_mul_f64 v[12:13], v[10:11], v[7:8]
	v_fma_f64 v[3:4], -v[3:4], v[12:13], v[10:11]
	v_div_fmas_f64 v[3:4], v[3:4], v[7:8], v[12:13]
	v_add_f64 v[7:8], v[5:6], 0
	v_div_fixup_f64 v[1:2], v[3:4], v[1:2], 1.0
	v_fma_f64 v[3:4], v[5:6], 0, -1.0
	v_mul_f64 v[5:6], v[7:8], v[1:2]
	v_mul_f64 v[7:8], v[3:4], v[1:2]
                                        ; implicit-def: $vgpr1_vgpr2
.LBB226_6:
	s_andn2_saveexec_b64 s[8:9], s[8:9]
	s_cbranch_execz .LBB226_8
; %bb.7:
	v_div_scale_f64 v[5:6], s[16:17], v[1:2], v[1:2], v[3:4]
	v_rcp_f64_e32 v[7:8], v[5:6]
	v_fma_f64 v[10:11], -v[5:6], v[7:8], 1.0
	v_fma_f64 v[7:8], v[7:8], v[10:11], v[7:8]
	v_div_scale_f64 v[10:11], vcc, v[3:4], v[1:2], v[3:4]
	v_fma_f64 v[12:13], -v[5:6], v[7:8], 1.0
	v_fma_f64 v[7:8], v[7:8], v[12:13], v[7:8]
	v_mul_f64 v[12:13], v[10:11], v[7:8]
	v_fma_f64 v[5:6], -v[5:6], v[12:13], v[10:11]
	v_div_fmas_f64 v[5:6], v[5:6], v[7:8], v[12:13]
	v_div_fixup_f64 v[5:6], v[5:6], v[1:2], v[3:4]
	v_fma_f64 v[1:2], v[3:4], v[5:6], v[1:2]
	v_div_scale_f64 v[3:4], s[16:17], v[1:2], v[1:2], 1.0
	v_rcp_f64_e32 v[7:8], v[3:4]
	v_fma_f64 v[10:11], -v[3:4], v[7:8], 1.0
	v_fma_f64 v[7:8], v[7:8], v[10:11], v[7:8]
	v_div_scale_f64 v[10:11], vcc, 1.0, v[1:2], 1.0
	v_fma_f64 v[12:13], -v[3:4], v[7:8], 1.0
	v_fma_f64 v[7:8], v[7:8], v[12:13], v[7:8]
	v_mul_f64 v[12:13], v[10:11], v[7:8]
	v_fma_f64 v[3:4], -v[3:4], v[12:13], v[10:11]
	v_div_fmas_f64 v[3:4], v[3:4], v[7:8], v[12:13]
	v_fma_f64 v[7:8], v[5:6], 0, 1.0
	v_div_fixup_f64 v[1:2], v[3:4], v[1:2], 1.0
	v_add_f64 v[3:4], -v[5:6], 0
	v_mul_f64 v[5:6], v[7:8], v[1:2]
	v_mul_f64 v[7:8], v[3:4], v[1:2]
.LBB226_8:
	s_or_b64 exec, exec, s[8:9]
	s_branch .LBB226_10
.LBB226_9:
	v_mov_b32_e32 v7, 0
	v_mov_b32_e32 v5, 0
	;; [unrolled: 1-line block ×4, first 2 shown]
.LBB226_10:
	ds_write_b128 v9, v[5:8]
.LBB226_11:
	s_or_b64 exec, exec, s[26:27]
	s_load_dword s21, s[4:5], 0x58
	s_load_dwordx2 s[8:9], s[4:5], 0x60
	s_add_i32 s29, s29, -1
	s_waitcnt lgkmcnt(0)
	s_ashr_i32 s26, s21, 31
	s_mul_i32 s4, s9, s7
	s_mul_hi_u32 s5, s8, s7
	s_add_i32 s9, s5, s4
	s_mul_i32 s4, s6, 0xffffffe8
	s_add_i32 s4, s23, s4
	s_cmp_ge_u32 s6, s29
	s_mul_i32 s6, s6, 24
	s_mul_i32 s8, s8, s7
	s_cselect_b32 s4, s4, 24
	s_ashr_i32 s7, s6, 31
	s_cmp_gt_i32 s22, 0
	v_cmp_gt_i32_e64 s[4:5], s4, v0
	s_cselect_b64 s[16:17], -1, 0
	s_and_b64 s[22:23], s[4:5], s[16:17]
	s_and_saveexec_b64 s[18:19], s[22:23]
	s_cbranch_execz .LBB226_14
; %bb.12:
	v_lshlrev_b32_e32 v3, 4, v0
	s_lshl_b64 s[30:31], s[6:7], 4
	s_lshl_b64 s[22:23], s[8:9], 4
	v_mov_b32_e32 v1, s31
	v_add_co_u32_e32 v4, vcc, s30, v3
	s_lshl_b64 s[30:31], s[24:25], 4
	s_add_u32 s7, s10, s30
	s_addc_u32 s27, s11, s31
	s_add_u32 s22, s7, s22
	v_addc_co_u32_e32 v5, vcc, 0, v1, vcc
	s_addc_u32 s23, s27, s23
	v_mov_b32_e32 v1, s22
	v_mov_b32_e32 v2, s23
	v_mad_u64_u32 v[1:2], s[22:23], v4, s21, v[1:2]
	v_mul_lo_u32 v4, v4, s26
	v_mul_lo_u32 v5, v5, s21
	v_add_co_u32_e32 v1, vcc, 8, v1
	v_or_b32_e32 v3, 0x2400, v3
	v_add3_u32 v2, v5, v2, v4
	v_addc_co_u32_e32 v2, vcc, 0, v2, vcc
	s_mov_b32 s7, s28
.LBB226_13:                             ; =>This Inner Loop Header: Depth=1
	global_load_dwordx4 v[4:7], v[1:2], off offset:-8
	s_add_i32 s7, s7, -1
	v_add_co_u32_e32 v1, vcc, 16, v1
	v_addc_co_u32_e32 v2, vcc, 0, v2, vcc
	s_cmp_lg_u32 s7, 0
	s_waitcnt vmcnt(0)
	v_mul_f64 v[8:9], s[14:15], v[6:7]
	v_mul_f64 v[10:11], s[12:13], v[6:7]
	v_fma_f64 v[6:7], s[12:13], v[4:5], -v[8:9]
	v_fma_f64 v[8:9], s[14:15], v[4:5], v[10:11]
	ds_write_b128 v3, v[6:9]
	v_add_u32_e32 v3, 0x180, v3
	s_cbranch_scc1 .LBB226_13
.LBB226_14:
	s_or_b64 exec, exec, s[18:19]
	v_mov_b32_e32 v1, 0x2400
	s_cmpk_eq_i32 s20, 0x6f
	v_lshl_or_b32 v5, v0, 4, v1
	s_mov_b64 s[12:13], -1
	s_waitcnt lgkmcnt(0)
	; wave barrier
	s_cbranch_scc1 .LBB226_35
; %bb.15:
	s_add_i32 s7, s28, -1
	s_lshl_b32 s18, s28, 4
	s_mov_b32 s13, 0
	s_add_i32 s18, s18, -16
	s_mov_b32 s12, s13
	s_mov_b32 s19, s7
	s_branch .LBB226_17
.LBB226_16:                             ;   in Loop: Header=BB226_17 Depth=1
	s_cmp_lt_i32 s19, 0
	s_cselect_b64 s[14:15], -1, 0
	s_add_i32 s12, s12, 1
	s_cmp_eq_u32 s12, 3
	s_cselect_b64 s[22:23], -1, 0
	s_or_b64 s[14:15], s[14:15], s[22:23]
	s_andn2_b64 vcc, exec, s[14:15]
	s_cbranch_vccz .LBB226_34
.LBB226_17:                             ; =>This Loop Header: Depth=1
                                        ;     Child Loop BB226_20 Depth 2
                                        ;       Child Loop BB226_21 Depth 3
                                        ;       Child Loop BB226_23 Depth 3
                                        ;         Child Loop BB226_24 Depth 4
                                        ;       Child Loop BB226_28 Depth 3
                                        ;         Child Loop BB226_30 Depth 4
	s_lshl_b64 s[14:15], s[12:13], 2
	s_getpc_b64 s[22:23]
	s_add_u32 s22, s22, __const._ZL38rocblas_trsm_small_left_device_sharedBILi24ELi24ELb1E19rocblas_complex_numIdES1_PKS1_PS1_Ev13rocblas_fill_18rocblas_operation_17rocblas_diagonal_iiT3_T4_lilT5_lili.step_sizes@rel32@lo+4
	s_addc_u32 s23, s23, __const._ZL38rocblas_trsm_small_left_device_sharedBILi24ELi24ELb1E19rocblas_complex_numIdES1_PKS1_PS1_Ev13rocblas_fill_18rocblas_operation_17rocblas_diagonal_iiT3_T4_lilT5_lili.step_sizes@rel32@hi+12
	s_add_u32 s14, s22, s14
	s_addc_u32 s15, s23, s15
	s_load_dword s20, s[14:15], 0x0
	s_waitcnt lgkmcnt(0)
	s_add_i32 s22, s20, -1
	s_cmp_lt_i32 s19, s22
	s_cbranch_scc1 .LBB226_16
; %bb.18:                               ;   in Loop: Header=BB226_17 Depth=1
	s_mul_i32 s14, s19, 0x180
	s_max_i32 s23, s20, 1
	v_add_u32_e32 v6, s14, v5
	s_mul_i32 s26, s20, 0xfffffe80
	s_add_i32 s27, s18, s14
	s_mul_i32 s29, s19, 0x190
	s_mul_i32 s30, s20, 0xfffffe70
	s_branch .LBB226_20
.LBB226_19:                             ;   in Loop: Header=BB226_20 Depth=2
	s_sub_i32 s19, s19, s20
	s_add_i32 s27, s27, s26
	s_add_i32 s29, s29, s30
	s_cmp_lt_i32 s19, s22
	v_add_u32_e32 v6, s26, v6
	s_cbranch_scc1 .LBB226_16
.LBB226_20:                             ;   Parent Loop BB226_17 Depth=1
                                        ; =>  This Loop Header: Depth=2
                                        ;       Child Loop BB226_21 Depth 3
                                        ;       Child Loop BB226_23 Depth 3
                                        ;         Child Loop BB226_24 Depth 4
                                        ;       Child Loop BB226_28 Depth 3
                                        ;         Child Loop BB226_30 Depth 4
	s_mov_b32 s14, 0
	v_mov_b32_e32 v1, v6
	s_mov_b32 s15, s23
.LBB226_21:                             ;   Parent Loop BB226_17 Depth=1
                                        ;     Parent Loop BB226_20 Depth=2
                                        ; =>    This Inner Loop Header: Depth=3
	ds_read_b128 v[7:10], v1
	v_mov_b32_e32 v2, s14
	s_add_i32 s15, s15, -1
	s_add_i32 s14, s14, 16
	v_add_u32_e32 v1, 0xfffffe80, v1
	s_cmp_eq_u32 s15, 0
	s_waitcnt lgkmcnt(0)
	buffer_store_dword v10, v2, s[0:3], 0 offen offset:12
	buffer_store_dword v9, v2, s[0:3], 0 offen offset:8
	;; [unrolled: 1-line block ×3, first 2 shown]
	buffer_store_dword v7, v2, s[0:3], 0 offen
	s_cbranch_scc0 .LBB226_21
; %bb.22:                               ;   in Loop: Header=BB226_20 Depth=2
	s_cmp_le_i32 s7, s19
	s_mov_b32 s14, s27
	s_mov_b32 s15, s7
	s_cbranch_scc1 .LBB226_26
.LBB226_23:                             ;   Parent Loop BB226_17 Depth=1
                                        ;     Parent Loop BB226_20 Depth=2
                                        ; =>    This Loop Header: Depth=3
                                        ;         Child Loop BB226_24 Depth 4
	s_mul_i32 s31, s15, 0x180
	v_add_u32_e32 v1, s31, v5
	ds_read_b128 v[1:4], v1
	s_mov_b32 s31, 0
	s_mov_b32 s33, s14
	;; [unrolled: 1-line block ×3, first 2 shown]
.LBB226_24:                             ;   Parent Loop BB226_17 Depth=1
                                        ;     Parent Loop BB226_20 Depth=2
                                        ;       Parent Loop BB226_23 Depth=3
                                        ; =>      This Inner Loop Header: Depth=4
	v_mov_b32_e32 v17, s31
	buffer_load_dword v11, v17, s[0:3], 0 offen
	buffer_load_dword v12, v17, s[0:3], 0 offen offset:4
	buffer_load_dword v13, v17, s[0:3], 0 offen offset:8
	;; [unrolled: 1-line block ×3, first 2 shown]
	v_mov_b32_e32 v7, s33
	ds_read_b128 v[7:10], v7
	s_add_i32 s34, s34, -1
	s_addk_i32 s33, 0xfe80
	s_add_i32 s31, s31, 16
	s_cmp_eq_u32 s34, 0
	s_waitcnt lgkmcnt(0)
	v_mul_f64 v[15:16], v[3:4], v[9:10]
	v_mul_f64 v[9:10], v[1:2], v[9:10]
	v_fma_f64 v[15:16], v[1:2], v[7:8], -v[15:16]
	v_fma_f64 v[7:8], v[3:4], v[7:8], v[9:10]
	s_waitcnt vmcnt(2)
	v_add_f64 v[9:10], v[11:12], -v[15:16]
	s_waitcnt vmcnt(0)
	v_add_f64 v[7:8], v[13:14], -v[7:8]
	buffer_store_dword v9, v17, s[0:3], 0 offen
	buffer_store_dword v10, v17, s[0:3], 0 offen offset:4
	buffer_store_dword v7, v17, s[0:3], 0 offen offset:8
	buffer_store_dword v8, v17, s[0:3], 0 offen offset:12
	s_cbranch_scc0 .LBB226_24
; %bb.25:                               ;   in Loop: Header=BB226_23 Depth=3
	s_add_i32 s15, s15, -1
	s_add_i32 s14, s14, -16
	s_cmp_le_i32 s15, s19
	s_cbranch_scc0 .LBB226_23
.LBB226_26:                             ;   in Loop: Header=BB226_20 Depth=2
	s_mul_i32 s31, s19, 0x180
	s_mov_b32 s33, 0
	s_mov_b32 s34, s29
	s_branch .LBB226_28
.LBB226_27:                             ;   in Loop: Header=BB226_28 Depth=3
	s_mul_i32 s14, s36, 0x190
	v_mov_b32_e32 v7, s14
	ds_read_b128 v[7:10], v7
	s_lshl_b32 s14, s33, 4
	s_add_i32 s33, s33, 1
	s_addk_i32 s34, 0xfe80
	s_cmp_eq_u32 s33, s23
	s_waitcnt vmcnt(0) lgkmcnt(0)
	v_mul_f64 v[11:12], v[9:10], v[3:4]
	v_mul_f64 v[3:4], v[7:8], v[3:4]
	v_fma_f64 v[7:8], v[7:8], v[1:2], -v[11:12]
	v_fma_f64 v[9:10], v[9:10], v[1:2], v[3:4]
	v_add_u32_e32 v1, s35, v5
	v_mov_b32_e32 v2, s14
	buffer_store_dword v8, v2, s[0:3], 0 offen offset:4
	buffer_store_dword v7, v2, s[0:3], 0 offen
	buffer_store_dword v10, v2, s[0:3], 0 offen offset:12
	buffer_store_dword v9, v2, s[0:3], 0 offen offset:8
	ds_write_b128 v1, v[7:10]
	s_cbranch_scc1 .LBB226_19
.LBB226_28:                             ;   Parent Loop BB226_17 Depth=1
                                        ;     Parent Loop BB226_20 Depth=2
                                        ; =>    This Loop Header: Depth=3
                                        ;         Child Loop BB226_30 Depth 4
	s_cmp_lg_u32 s33, 0
	s_cbranch_scc0 .LBB226_32
; %bb.29:                               ;   in Loop: Header=BB226_28 Depth=3
	s_lshl_b32 s14, s33, 4
	v_mov_b32_e32 v7, s14
	buffer_load_dword v1, v7, s[0:3], 0 offen
	buffer_load_dword v2, v7, s[0:3], 0 offen offset:4
	buffer_load_dword v3, v7, s[0:3], 0 offen offset:8
	;; [unrolled: 1-line block ×3, first 2 shown]
	s_sub_i32 s36, s19, s33
	s_mul_i32 s35, s36, 0x180
	s_mov_b32 s14, 0
	s_mov_b32 s15, s34
	;; [unrolled: 1-line block ×3, first 2 shown]
.LBB226_30:                             ;   Parent Loop BB226_17 Depth=1
                                        ;     Parent Loop BB226_20 Depth=2
                                        ;       Parent Loop BB226_28 Depth=3
                                        ; =>      This Inner Loop Header: Depth=4
	v_mov_b32_e32 v8, s14
	buffer_load_dword v12, v8, s[0:3], 0 offen offset:8
	buffer_load_dword v13, v8, s[0:3], 0 offen offset:12
	buffer_load_dword v14, v8, s[0:3], 0 offen
	buffer_load_dword v15, v8, s[0:3], 0 offen offset:4
	v_mov_b32_e32 v8, s15
	ds_read_b128 v[8:11], v8
	s_add_i32 s37, s37, -1
	s_add_i32 s15, s15, -16
	s_add_i32 s14, s14, 16
	s_cmp_eq_u32 s37, 0
	s_waitcnt vmcnt(2) lgkmcnt(0)
	v_mul_f64 v[16:17], v[10:11], v[12:13]
	v_mul_f64 v[12:13], v[8:9], v[12:13]
	s_waitcnt vmcnt(0)
	v_fma_f64 v[8:9], v[8:9], v[14:15], -v[16:17]
	v_fma_f64 v[10:11], v[10:11], v[14:15], v[12:13]
	v_add_f64 v[1:2], v[1:2], -v[8:9]
	v_add_f64 v[3:4], v[3:4], -v[10:11]
	buffer_store_dword v1, v7, s[0:3], 0 offen
	buffer_store_dword v2, v7, s[0:3], 0 offen offset:4
	buffer_store_dword v3, v7, s[0:3], 0 offen offset:8
	;; [unrolled: 1-line block ×3, first 2 shown]
	s_cbranch_scc0 .LBB226_30
; %bb.31:                               ;   in Loop: Header=BB226_28 Depth=3
	s_branch .LBB226_27
.LBB226_32:                             ;   in Loop: Header=BB226_28 Depth=3
                                        ; implicit-def: $vgpr1_vgpr2
                                        ; implicit-def: $vgpr3_vgpr4
                                        ; implicit-def: $sgpr36
                                        ; implicit-def: $sgpr35
	s_cbranch_execz .LBB226_27
; %bb.33:                               ;   in Loop: Header=BB226_28 Depth=3
	buffer_load_dword v1, off, s[0:3], 0
	buffer_load_dword v2, off, s[0:3], 0 offset:4
	buffer_load_dword v3, off, s[0:3], 0 offset:8
	;; [unrolled: 1-line block ×3, first 2 shown]
	s_mov_b32 s35, s31
	s_mov_b32 s36, s19
	s_branch .LBB226_27
.LBB226_34:
	s_mov_b64 s[12:13], 0
.LBB226_35:
	s_and_b64 vcc, exec, s[12:13]
	s_cbranch_vccz .LBB226_56
; %bb.36:
	v_mov_b32_e32 v1, 0x2400
	s_mov_b32 s13, 0
	v_lshl_or_b32 v6, v0, 4, v1
	s_mov_b32 s12, s13
	s_mov_b32 s7, s13
	s_branch .LBB226_38
.LBB226_37:                             ;   in Loop: Header=BB226_38 Depth=1
	s_cmp_ge_i32 s7, s28
	s_cselect_b64 s[14:15], -1, 0
	s_add_i32 s12, s12, 1
	s_cmp_eq_u32 s12, 3
	s_cselect_b64 s[18:19], -1, 0
	s_or_b64 s[14:15], s[14:15], s[18:19]
	s_and_b64 vcc, exec, s[14:15]
	s_cbranch_vccnz .LBB226_56
.LBB226_38:                             ; =>This Loop Header: Depth=1
                                        ;     Child Loop BB226_41 Depth 2
                                        ;       Child Loop BB226_42 Depth 3
                                        ;       Child Loop BB226_45 Depth 3
                                        ;         Child Loop BB226_46 Depth 4
                                        ;       Child Loop BB226_50 Depth 3
                                        ;         Child Loop BB226_52 Depth 4
	s_lshl_b64 s[14:15], s[12:13], 2
	s_getpc_b64 s[18:19]
	s_add_u32 s18, s18, __const._ZL38rocblas_trsm_small_left_device_sharedBILi24ELi24ELb1E19rocblas_complex_numIdES1_PKS1_PS1_Ev13rocblas_fill_18rocblas_operation_17rocblas_diagonal_iiT3_T4_lilT5_lili.step_sizes@rel32@lo+4
	s_addc_u32 s19, s19, __const._ZL38rocblas_trsm_small_left_device_sharedBILi24ELi24ELb1E19rocblas_complex_numIdES1_PKS1_PS1_Ev13rocblas_fill_18rocblas_operation_17rocblas_diagonal_iiT3_T4_lilT5_lili.step_sizes@rel32@hi+12
	s_add_u32 s14, s18, s14
	s_addc_u32 s15, s19, s15
	s_load_dword s18, s[14:15], 0x0
	s_waitcnt lgkmcnt(0)
	s_add_i32 s19, s18, -1
	s_add_i32 s14, s19, s7
	s_cmp_ge_i32 s14, s28
	s_cbranch_scc1 .LBB226_37
; %bb.39:                               ;   in Loop: Header=BB226_38 Depth=1
	s_mul_i32 s14, s7, 0x180
	s_max_i32 s20, s18, 1
	v_add_u32_e32 v7, s14, v6
	s_mul_i32 s22, s18, 0x180
	s_lshl_b32 s23, s7, 4
	s_lshl_b32 s26, s18, 4
	s_mul_i32 s27, s7, 0x190
	s_mul_i32 s29, s18, 0x190
	s_branch .LBB226_41
.LBB226_40:                             ;   in Loop: Header=BB226_41 Depth=2
	s_add_i32 s7, s7, s18
	s_add_i32 s14, s19, s7
	s_add_i32 s23, s23, s26
	s_add_i32 s27, s27, s29
	s_cmp_ge_i32 s14, s28
	v_add_u32_e32 v7, s22, v7
	s_cbranch_scc1 .LBB226_37
.LBB226_41:                             ;   Parent Loop BB226_38 Depth=1
                                        ; =>  This Loop Header: Depth=2
                                        ;       Child Loop BB226_42 Depth 3
                                        ;       Child Loop BB226_45 Depth 3
                                        ;         Child Loop BB226_46 Depth 4
                                        ;       Child Loop BB226_50 Depth 3
                                        ;         Child Loop BB226_52 Depth 4
	s_mov_b32 s14, 0
	v_mov_b32_e32 v1, v7
	s_mov_b32 s15, s20
.LBB226_42:                             ;   Parent Loop BB226_38 Depth=1
                                        ;     Parent Loop BB226_41 Depth=2
                                        ; =>    This Inner Loop Header: Depth=3
	ds_read_b128 v[8:11], v1
	v_mov_b32_e32 v2, s14
	s_add_i32 s15, s15, -1
	s_add_i32 s14, s14, 16
	v_add_u32_e32 v1, 0x180, v1
	s_cmp_eq_u32 s15, 0
	s_waitcnt lgkmcnt(0)
	buffer_store_dword v11, v2, s[0:3], 0 offen offset:12
	buffer_store_dword v10, v2, s[0:3], 0 offen offset:8
	;; [unrolled: 1-line block ×3, first 2 shown]
	buffer_store_dword v8, v2, s[0:3], 0 offen
	s_cbranch_scc0 .LBB226_42
; %bb.43:                               ;   in Loop: Header=BB226_41 Depth=2
	s_cmp_lt_i32 s7, 1
	s_cbranch_scc1 .LBB226_48
; %bb.44:                               ;   in Loop: Header=BB226_41 Depth=2
	s_mov_b32 s14, 0
	s_mov_b32 s15, s23
.LBB226_45:                             ;   Parent Loop BB226_38 Depth=1
                                        ;     Parent Loop BB226_41 Depth=2
                                        ; =>    This Loop Header: Depth=3
                                        ;         Child Loop BB226_46 Depth 4
	s_mul_i32 s30, s14, 0x180
	v_add_u32_e32 v1, s30, v5
	ds_read_b128 v[1:4], v1
	s_mov_b32 s30, 0
	s_mov_b32 s31, s15
	;; [unrolled: 1-line block ×3, first 2 shown]
.LBB226_46:                             ;   Parent Loop BB226_38 Depth=1
                                        ;     Parent Loop BB226_41 Depth=2
                                        ;       Parent Loop BB226_45 Depth=3
                                        ; =>      This Inner Loop Header: Depth=4
	v_mov_b32_e32 v18, s30
	buffer_load_dword v12, v18, s[0:3], 0 offen
	buffer_load_dword v13, v18, s[0:3], 0 offen offset:4
	buffer_load_dword v14, v18, s[0:3], 0 offen offset:8
	;; [unrolled: 1-line block ×3, first 2 shown]
	v_mov_b32_e32 v8, s31
	ds_read_b128 v[8:11], v8
	s_add_i32 s33, s33, -1
	s_add_i32 s31, s31, 16
	s_add_i32 s30, s30, 16
	s_cmp_eq_u32 s33, 0
	s_waitcnt lgkmcnt(0)
	v_mul_f64 v[16:17], v[3:4], v[10:11]
	v_mul_f64 v[10:11], v[1:2], v[10:11]
	v_fma_f64 v[16:17], v[1:2], v[8:9], -v[16:17]
	v_fma_f64 v[8:9], v[3:4], v[8:9], v[10:11]
	s_waitcnt vmcnt(2)
	v_add_f64 v[10:11], v[12:13], -v[16:17]
	s_waitcnt vmcnt(0)
	v_add_f64 v[8:9], v[14:15], -v[8:9]
	buffer_store_dword v10, v18, s[0:3], 0 offen
	buffer_store_dword v11, v18, s[0:3], 0 offen offset:4
	buffer_store_dword v8, v18, s[0:3], 0 offen offset:8
	;; [unrolled: 1-line block ×3, first 2 shown]
	s_cbranch_scc0 .LBB226_46
; %bb.47:                               ;   in Loop: Header=BB226_45 Depth=3
	s_add_i32 s14, s14, 1
	s_addk_i32 s15, 0x180
	s_cmp_eq_u32 s14, s7
	s_cbranch_scc0 .LBB226_45
.LBB226_48:                             ;   in Loop: Header=BB226_41 Depth=2
	s_mov_b32 s30, 0
	s_mov_b32 s31, s27
	s_branch .LBB226_50
.LBB226_49:                             ;   in Loop: Header=BB226_50 Depth=3
	s_add_i32 s14, s30, s7
	s_mul_i32 s15, s14, 0x190
	v_mov_b32_e32 v8, s15
	ds_read_b128 v[8:11], v8
	s_lshl_b32 s15, s30, 4
	s_add_i32 s30, s30, 1
	s_add_i32 s31, s31, 16
	s_mulk_i32 s14, 0x180
	s_waitcnt vmcnt(0) lgkmcnt(0)
	v_mul_f64 v[12:13], v[10:11], v[3:4]
	v_mul_f64 v[3:4], v[8:9], v[3:4]
	s_cmp_eq_u32 s30, s20
	v_fma_f64 v[8:9], v[8:9], v[1:2], -v[12:13]
	v_fma_f64 v[10:11], v[10:11], v[1:2], v[3:4]
	v_mov_b32_e32 v1, s15
	v_add_u32_e32 v2, s14, v5
	buffer_store_dword v9, v1, s[0:3], 0 offen offset:4
	buffer_store_dword v8, v1, s[0:3], 0 offen
	buffer_store_dword v11, v1, s[0:3], 0 offen offset:12
	buffer_store_dword v10, v1, s[0:3], 0 offen offset:8
	ds_write_b128 v2, v[8:11]
	s_cbranch_scc1 .LBB226_40
.LBB226_50:                             ;   Parent Loop BB226_38 Depth=1
                                        ;     Parent Loop BB226_41 Depth=2
                                        ; =>    This Loop Header: Depth=3
                                        ;         Child Loop BB226_52 Depth 4
	s_cmp_lg_u32 s30, 0
	s_cbranch_scc0 .LBB226_54
; %bb.51:                               ;   in Loop: Header=BB226_50 Depth=3
	s_lshl_b32 s14, s30, 4
	v_mov_b32_e32 v8, s14
	buffer_load_dword v1, v8, s[0:3], 0 offen
	buffer_load_dword v2, v8, s[0:3], 0 offen offset:4
	buffer_load_dword v3, v8, s[0:3], 0 offen offset:8
	;; [unrolled: 1-line block ×3, first 2 shown]
	s_mov_b32 s14, 0
	s_mov_b32 s15, s31
	;; [unrolled: 1-line block ×3, first 2 shown]
.LBB226_52:                             ;   Parent Loop BB226_38 Depth=1
                                        ;     Parent Loop BB226_41 Depth=2
                                        ;       Parent Loop BB226_50 Depth=3
                                        ; =>      This Inner Loop Header: Depth=4
	v_mov_b32_e32 v9, s14
	buffer_load_dword v13, v9, s[0:3], 0 offen offset:8
	buffer_load_dword v14, v9, s[0:3], 0 offen offset:12
	buffer_load_dword v15, v9, s[0:3], 0 offen
	buffer_load_dword v16, v9, s[0:3], 0 offen offset:4
	v_mov_b32_e32 v9, s15
	ds_read_b128 v[9:12], v9
	s_add_i32 s33, s33, -1
	s_addk_i32 s15, 0x180
	s_add_i32 s14, s14, 16
	s_cmp_eq_u32 s33, 0
	s_waitcnt vmcnt(2) lgkmcnt(0)
	v_mul_f64 v[17:18], v[11:12], v[13:14]
	v_mul_f64 v[13:14], v[9:10], v[13:14]
	s_waitcnt vmcnt(0)
	v_fma_f64 v[9:10], v[9:10], v[15:16], -v[17:18]
	v_fma_f64 v[11:12], v[11:12], v[15:16], v[13:14]
	v_add_f64 v[1:2], v[1:2], -v[9:10]
	v_add_f64 v[3:4], v[3:4], -v[11:12]
	buffer_store_dword v1, v8, s[0:3], 0 offen
	buffer_store_dword v2, v8, s[0:3], 0 offen offset:4
	buffer_store_dword v3, v8, s[0:3], 0 offen offset:8
	;; [unrolled: 1-line block ×3, first 2 shown]
	s_cbranch_scc0 .LBB226_52
; %bb.53:                               ;   in Loop: Header=BB226_50 Depth=3
	s_branch .LBB226_49
.LBB226_54:                             ;   in Loop: Header=BB226_50 Depth=3
                                        ; implicit-def: $vgpr1_vgpr2
                                        ; implicit-def: $vgpr3_vgpr4
	s_cbranch_execz .LBB226_49
; %bb.55:                               ;   in Loop: Header=BB226_50 Depth=3
	buffer_load_dword v1, off, s[0:3], 0
	buffer_load_dword v2, off, s[0:3], 0 offset:4
	buffer_load_dword v3, off, s[0:3], 0 offset:8
	;; [unrolled: 1-line block ×3, first 2 shown]
	s_branch .LBB226_49
.LBB226_56:
	s_waitcnt lgkmcnt(0)
	; wave barrier
	s_and_saveexec_b64 s[12:13], s[4:5]
	s_cbranch_execz .LBB226_60
; %bb.57:
	s_andn2_b64 vcc, exec, s[16:17]
	s_cbranch_vccnz .LBB226_60
; %bb.58:
	s_lshl_b64 s[4:5], s[8:9], 4
	s_add_u32 s7, s10, s4
	s_addc_u32 s8, s11, s5
	s_lshl_b64 s[4:5], s[24:25], 4
	s_add_u32 s9, s7, s4
	s_addc_u32 s8, s8, s5
	s_mul_hi_i32 s5, s21, s6
	s_mul_i32 s4, s21, s6
	v_mad_i64_i32 v[1:2], s[6:7], s21, v0, 0
	s_lshl_b64 s[4:5], s[4:5], 4
	s_add_u32 s4, s9, s4
	v_lshlrev_b64 v[1:2], 4, v[1:2]
	s_addc_u32 s5, s8, s5
	v_mov_b32_e32 v3, s5
	v_add_co_u32_e32 v1, vcc, s4, v1
	v_addc_co_u32_e32 v2, vcc, v3, v2, vcc
	v_mov_b32_e32 v3, 0x2400
	v_lshl_or_b32 v0, v0, 4, v3
.LBB226_59:                             ; =>This Inner Loop Header: Depth=1
	ds_read2_b64 v[3:6], v0 offset1:1
	s_add_i32 s28, s28, -1
	v_add_u32_e32 v0, 0x180, v0
	s_cmp_lg_u32 s28, 0
	s_waitcnt lgkmcnt(0)
	global_store_dwordx4 v[1:2], v[3:6], off
	v_add_co_u32_e32 v1, vcc, 16, v1
	v_addc_co_u32_e32 v2, vcc, 0, v2, vcc
	s_cbranch_scc1 .LBB226_59
.LBB226_60:
	s_endpgm
	.section	.rodata,"a",@progbits
	.p2align	6, 0x0
	.amdhsa_kernel _ZL38rocblas_trsm_small_left_device_sharedBILi24ELi24ELb1E19rocblas_complex_numIdES1_PKS1_PS1_Ev13rocblas_fill_18rocblas_operation_17rocblas_diagonal_iiT3_T4_lilT5_lili
		.amdhsa_group_segment_fixed_size 18432
		.amdhsa_private_segment_fixed_size 400
		.amdhsa_kernarg_size 368
		.amdhsa_user_sgpr_count 6
		.amdhsa_user_sgpr_private_segment_buffer 1
		.amdhsa_user_sgpr_dispatch_ptr 0
		.amdhsa_user_sgpr_queue_ptr 0
		.amdhsa_user_sgpr_kernarg_segment_ptr 1
		.amdhsa_user_sgpr_dispatch_id 0
		.amdhsa_user_sgpr_flat_scratch_init 0
		.amdhsa_user_sgpr_private_segment_size 0
		.amdhsa_uses_dynamic_stack 0
		.amdhsa_system_sgpr_private_segment_wavefront_offset 1
		.amdhsa_system_sgpr_workgroup_id_x 1
		.amdhsa_system_sgpr_workgroup_id_y 0
		.amdhsa_system_sgpr_workgroup_id_z 1
		.amdhsa_system_sgpr_workgroup_info 0
		.amdhsa_system_vgpr_workitem_id 0
		.amdhsa_next_free_vgpr 129
		.amdhsa_next_free_sgpr 98
		.amdhsa_reserve_vcc 1
		.amdhsa_reserve_flat_scratch 0
		.amdhsa_float_round_mode_32 0
		.amdhsa_float_round_mode_16_64 0
		.amdhsa_float_denorm_mode_32 3
		.amdhsa_float_denorm_mode_16_64 3
		.amdhsa_dx10_clamp 1
		.amdhsa_ieee_mode 1
		.amdhsa_fp16_overflow 0
		.amdhsa_exception_fp_ieee_invalid_op 0
		.amdhsa_exception_fp_denorm_src 0
		.amdhsa_exception_fp_ieee_div_zero 0
		.amdhsa_exception_fp_ieee_overflow 0
		.amdhsa_exception_fp_ieee_underflow 0
		.amdhsa_exception_fp_ieee_inexact 0
		.amdhsa_exception_int_div_zero 0
	.end_amdhsa_kernel
	.section	.text._ZL38rocblas_trsm_small_left_device_sharedBILi24ELi24ELb1E19rocblas_complex_numIdES1_PKS1_PS1_Ev13rocblas_fill_18rocblas_operation_17rocblas_diagonal_iiT3_T4_lilT5_lili,"axG",@progbits,_ZL38rocblas_trsm_small_left_device_sharedBILi24ELi24ELb1E19rocblas_complex_numIdES1_PKS1_PS1_Ev13rocblas_fill_18rocblas_operation_17rocblas_diagonal_iiT3_T4_lilT5_lili,comdat
.Lfunc_end226:
	.size	_ZL38rocblas_trsm_small_left_device_sharedBILi24ELi24ELb1E19rocblas_complex_numIdES1_PKS1_PS1_Ev13rocblas_fill_18rocblas_operation_17rocblas_diagonal_iiT3_T4_lilT5_lili, .Lfunc_end226-_ZL38rocblas_trsm_small_left_device_sharedBILi24ELi24ELb1E19rocblas_complex_numIdES1_PKS1_PS1_Ev13rocblas_fill_18rocblas_operation_17rocblas_diagonal_iiT3_T4_lilT5_lili
                                        ; -- End function
	.set _ZL38rocblas_trsm_small_left_device_sharedBILi24ELi24ELb1E19rocblas_complex_numIdES1_PKS1_PS1_Ev13rocblas_fill_18rocblas_operation_17rocblas_diagonal_iiT3_T4_lilT5_lili.num_vgpr, 19
	.set _ZL38rocblas_trsm_small_left_device_sharedBILi24ELi24ELb1E19rocblas_complex_numIdES1_PKS1_PS1_Ev13rocblas_fill_18rocblas_operation_17rocblas_diagonal_iiT3_T4_lilT5_lili.num_agpr, 0
	.set _ZL38rocblas_trsm_small_left_device_sharedBILi24ELi24ELb1E19rocblas_complex_numIdES1_PKS1_PS1_Ev13rocblas_fill_18rocblas_operation_17rocblas_diagonal_iiT3_T4_lilT5_lili.numbered_sgpr, 38
	.set _ZL38rocblas_trsm_small_left_device_sharedBILi24ELi24ELb1E19rocblas_complex_numIdES1_PKS1_PS1_Ev13rocblas_fill_18rocblas_operation_17rocblas_diagonal_iiT3_T4_lilT5_lili.num_named_barrier, 0
	.set _ZL38rocblas_trsm_small_left_device_sharedBILi24ELi24ELb1E19rocblas_complex_numIdES1_PKS1_PS1_Ev13rocblas_fill_18rocblas_operation_17rocblas_diagonal_iiT3_T4_lilT5_lili.private_seg_size, 400
	.set _ZL38rocblas_trsm_small_left_device_sharedBILi24ELi24ELb1E19rocblas_complex_numIdES1_PKS1_PS1_Ev13rocblas_fill_18rocblas_operation_17rocblas_diagonal_iiT3_T4_lilT5_lili.uses_vcc, 1
	.set _ZL38rocblas_trsm_small_left_device_sharedBILi24ELi24ELb1E19rocblas_complex_numIdES1_PKS1_PS1_Ev13rocblas_fill_18rocblas_operation_17rocblas_diagonal_iiT3_T4_lilT5_lili.uses_flat_scratch, 0
	.set _ZL38rocblas_trsm_small_left_device_sharedBILi24ELi24ELb1E19rocblas_complex_numIdES1_PKS1_PS1_Ev13rocblas_fill_18rocblas_operation_17rocblas_diagonal_iiT3_T4_lilT5_lili.has_dyn_sized_stack, 0
	.set _ZL38rocblas_trsm_small_left_device_sharedBILi24ELi24ELb1E19rocblas_complex_numIdES1_PKS1_PS1_Ev13rocblas_fill_18rocblas_operation_17rocblas_diagonal_iiT3_T4_lilT5_lili.has_recursion, 0
	.set _ZL38rocblas_trsm_small_left_device_sharedBILi24ELi24ELb1E19rocblas_complex_numIdES1_PKS1_PS1_Ev13rocblas_fill_18rocblas_operation_17rocblas_diagonal_iiT3_T4_lilT5_lili.has_indirect_call, 0
	.section	.AMDGPU.csdata,"",@progbits
; Kernel info:
; codeLenInByte = 3100
; TotalNumSgprs: 42
; NumVgprs: 19
; ScratchSize: 400
; MemoryBound: 0
; FloatMode: 240
; IeeeMode: 1
; LDSByteSize: 18432 bytes/workgroup (compile time only)
; SGPRBlocks: 12
; VGPRBlocks: 32
; NumSGPRsForWavesPerEU: 102
; NumVGPRsForWavesPerEU: 129
; Occupancy: 1
; WaveLimiterHint : 0
; COMPUTE_PGM_RSRC2:SCRATCH_EN: 1
; COMPUTE_PGM_RSRC2:USER_SGPR: 6
; COMPUTE_PGM_RSRC2:TRAP_HANDLER: 0
; COMPUTE_PGM_RSRC2:TGID_X_EN: 1
; COMPUTE_PGM_RSRC2:TGID_Y_EN: 0
; COMPUTE_PGM_RSRC2:TGID_Z_EN: 1
; COMPUTE_PGM_RSRC2:TIDIG_COMP_CNT: 0
	.section	.text._ZL30rocblas_trsm_small_left_deviceILi24ELi24ELb1E19rocblas_complex_numIdES1_PKS1_PS1_Ev13rocblas_fill_18rocblas_operation_17rocblas_diagonal_iiT3_T4_lilT5_lili,"axG",@progbits,_ZL30rocblas_trsm_small_left_deviceILi24ELi24ELb1E19rocblas_complex_numIdES1_PKS1_PS1_Ev13rocblas_fill_18rocblas_operation_17rocblas_diagonal_iiT3_T4_lilT5_lili,comdat
	.globl	_ZL30rocblas_trsm_small_left_deviceILi24ELi24ELb1E19rocblas_complex_numIdES1_PKS1_PS1_Ev13rocblas_fill_18rocblas_operation_17rocblas_diagonal_iiT3_T4_lilT5_lili ; -- Begin function _ZL30rocblas_trsm_small_left_deviceILi24ELi24ELb1E19rocblas_complex_numIdES1_PKS1_PS1_Ev13rocblas_fill_18rocblas_operation_17rocblas_diagonal_iiT3_T4_lilT5_lili
	.p2align	8
	.type	_ZL30rocblas_trsm_small_left_deviceILi24ELi24ELb1E19rocblas_complex_numIdES1_PKS1_PS1_Ev13rocblas_fill_18rocblas_operation_17rocblas_diagonal_iiT3_T4_lilT5_lili,@function
_ZL30rocblas_trsm_small_left_deviceILi24ELi24ELb1E19rocblas_complex_numIdES1_PKS1_PS1_Ev13rocblas_fill_18rocblas_operation_17rocblas_diagonal_iiT3_T4_lilT5_lili: ; @_ZL30rocblas_trsm_small_left_deviceILi24ELi24ELb1E19rocblas_complex_numIdES1_PKS1_PS1_Ev13rocblas_fill_18rocblas_operation_17rocblas_diagonal_iiT3_T4_lilT5_lili
; %bb.0:
	s_add_u32 s0, s0, s8
	s_load_dwordx4 s[20:23], s[4:5], 0x4
	s_load_dwordx8 s[12:19], s[4:5], 0x18
	s_load_dwordx4 s[8:11], s[4:5], 0x40
	s_load_dwordx2 s[24:25], s[4:5], 0x50
	s_load_dword s29, s[4:5], 0x70
	s_addc_u32 s1, s1, 0
	s_waitcnt lgkmcnt(0)
	s_min_i32 s28, s22, 24
	v_cmp_gt_i32_e32 vcc, s28, v0
	s_and_saveexec_b64 s[26:27], vcc
	s_cbranch_execz .LBB227_11
; %bb.1:
	s_load_dword s30, s[4:5], 0x38
	s_mul_i32 s9, s9, s7
	s_mul_hi_u32 s22, s8, s7
	s_mul_i32 s8, s8, s7
	v_lshlrev_b32_e32 v3, 4, v0
	s_waitcnt lgkmcnt(0)
	s_ashr_i32 s31, s30, 31
	s_cmpk_eq_i32 s20, 0x71
	s_cselect_b64 vcc, -1, 0
	s_add_i32 s9, s22, s9
	s_lshl_b64 s[8:9], s[8:9], 4
	s_lshl_b64 s[18:19], s[18:19], 4
	s_add_u32 s8, s8, s18
	s_addc_u32 s9, s9, s19
	s_add_u32 s8, s16, s8
	s_addc_u32 s9, s17, s9
	v_mov_b32_e32 v1, s9
	v_add_co_u32_e64 v2, s[8:9], s8, v3
	v_addc_co_u32_e64 v4, s[8:9], 0, v1, s[8:9]
	v_add_co_u32_e64 v1, s[8:9], 8, v2
	s_lshl_b64 s[16:17], s[30:31], 4
	v_addc_co_u32_e64 v2, s[8:9], 0, v4, s[8:9]
	v_mov_b32_e32 v4, s17
	v_mov_b32_e32 v5, v3
	s_mov_b32 s17, s28
.LBB227_2:                              ; =>This Inner Loop Header: Depth=1
	global_load_dwordx4 v[6:9], v[1:2], off offset:-8
	s_add_i32 s17, s17, -1
	v_add_co_u32_e64 v1, s[8:9], s16, v1
	v_addc_co_u32_e64 v2, s[8:9], v2, v4, s[8:9]
	s_cmp_eq_u32 s17, 0
	s_waitcnt vmcnt(0)
	v_xor_b32_e32 v10, 0x80000000, v9
	v_cndmask_b32_e32 v9, v9, v10, vcc
	ds_write_b128 v5, v[6:9]
	v_add_u32_e32 v5, 0x180, v5
	s_cbranch_scc0 .LBB227_2
; %bb.3:
	v_mul_u32_u24_e32 v1, 0x180, v0
	s_cmpk_lg_i32 s21, 0x84
	v_add_u32_e32 v9, v3, v1
	s_cbranch_scc0 .LBB227_9
; %bb.4:
	ds_read_b128 v[1:4], v9
                                        ; implicit-def: $vgpr7_vgpr8
	s_waitcnt lgkmcnt(0)
	v_cmp_ngt_f64_e64 s[8:9], |v[1:2]|, |v[3:4]|
	s_and_saveexec_b64 s[16:17], s[8:9]
	s_xor_b64 s[8:9], exec, s[16:17]
	s_cbranch_execz .LBB227_6
; %bb.5:
	v_div_scale_f64 v[5:6], s[16:17], v[3:4], v[3:4], v[1:2]
	v_rcp_f64_e32 v[7:8], v[5:6]
	v_fma_f64 v[10:11], -v[5:6], v[7:8], 1.0
	v_fma_f64 v[7:8], v[7:8], v[10:11], v[7:8]
	v_div_scale_f64 v[10:11], vcc, v[1:2], v[3:4], v[1:2]
	v_fma_f64 v[12:13], -v[5:6], v[7:8], 1.0
	v_fma_f64 v[7:8], v[7:8], v[12:13], v[7:8]
	v_mul_f64 v[12:13], v[10:11], v[7:8]
	v_fma_f64 v[5:6], -v[5:6], v[12:13], v[10:11]
	v_div_fmas_f64 v[5:6], v[5:6], v[7:8], v[12:13]
	v_div_fixup_f64 v[5:6], v[5:6], v[3:4], v[1:2]
	v_fma_f64 v[1:2], v[1:2], v[5:6], v[3:4]
	v_div_scale_f64 v[3:4], s[16:17], v[1:2], v[1:2], 1.0
	v_rcp_f64_e32 v[7:8], v[3:4]
	v_fma_f64 v[10:11], -v[3:4], v[7:8], 1.0
	v_fma_f64 v[7:8], v[7:8], v[10:11], v[7:8]
	v_div_scale_f64 v[10:11], vcc, 1.0, v[1:2], 1.0
	v_fma_f64 v[12:13], -v[3:4], v[7:8], 1.0
	v_fma_f64 v[7:8], v[7:8], v[12:13], v[7:8]
	v_mul_f64 v[12:13], v[10:11], v[7:8]
	v_fma_f64 v[3:4], -v[3:4], v[12:13], v[10:11]
	v_div_fmas_f64 v[3:4], v[3:4], v[7:8], v[12:13]
	v_add_f64 v[7:8], v[5:6], 0
	v_div_fixup_f64 v[1:2], v[3:4], v[1:2], 1.0
	v_fma_f64 v[3:4], v[5:6], 0, -1.0
	v_mul_f64 v[5:6], v[7:8], v[1:2]
	v_mul_f64 v[7:8], v[3:4], v[1:2]
                                        ; implicit-def: $vgpr1_vgpr2
.LBB227_6:
	s_andn2_saveexec_b64 s[8:9], s[8:9]
	s_cbranch_execz .LBB227_8
; %bb.7:
	v_div_scale_f64 v[5:6], s[16:17], v[1:2], v[1:2], v[3:4]
	v_rcp_f64_e32 v[7:8], v[5:6]
	v_fma_f64 v[10:11], -v[5:6], v[7:8], 1.0
	v_fma_f64 v[7:8], v[7:8], v[10:11], v[7:8]
	v_div_scale_f64 v[10:11], vcc, v[3:4], v[1:2], v[3:4]
	v_fma_f64 v[12:13], -v[5:6], v[7:8], 1.0
	v_fma_f64 v[7:8], v[7:8], v[12:13], v[7:8]
	v_mul_f64 v[12:13], v[10:11], v[7:8]
	v_fma_f64 v[5:6], -v[5:6], v[12:13], v[10:11]
	v_div_fmas_f64 v[5:6], v[5:6], v[7:8], v[12:13]
	v_div_fixup_f64 v[5:6], v[5:6], v[1:2], v[3:4]
	v_fma_f64 v[1:2], v[3:4], v[5:6], v[1:2]
	v_div_scale_f64 v[3:4], s[16:17], v[1:2], v[1:2], 1.0
	v_rcp_f64_e32 v[7:8], v[3:4]
	v_fma_f64 v[10:11], -v[3:4], v[7:8], 1.0
	v_fma_f64 v[7:8], v[7:8], v[10:11], v[7:8]
	v_div_scale_f64 v[10:11], vcc, 1.0, v[1:2], 1.0
	v_fma_f64 v[12:13], -v[3:4], v[7:8], 1.0
	v_fma_f64 v[7:8], v[7:8], v[12:13], v[7:8]
	v_mul_f64 v[12:13], v[10:11], v[7:8]
	v_fma_f64 v[3:4], -v[3:4], v[12:13], v[10:11]
	v_div_fmas_f64 v[3:4], v[3:4], v[7:8], v[12:13]
	v_fma_f64 v[7:8], v[5:6], 0, 1.0
	v_div_fixup_f64 v[1:2], v[3:4], v[1:2], 1.0
	v_add_f64 v[3:4], -v[5:6], 0
	v_mul_f64 v[5:6], v[7:8], v[1:2]
	v_mul_f64 v[7:8], v[3:4], v[1:2]
.LBB227_8:
	s_or_b64 exec, exec, s[8:9]
	s_branch .LBB227_10
.LBB227_9:
	v_mov_b32_e32 v7, 0
	v_mov_b32_e32 v5, 0
	v_mov_b32_e32 v8, 0
	v_mov_b32_e32 v6, 0x3ff00000
.LBB227_10:
	ds_write_b128 v9, v[5:8]
.LBB227_11:
	s_or_b64 exec, exec, s[26:27]
	s_mul_i32 s8, s6, 0xffffffe8
	s_add_i32 s29, s29, -1
	s_add_i32 s8, s23, s8
	s_cmp_ge_u32 s6, s29
	s_cselect_b32 s8, s8, 24
	v_cmp_gt_i32_e32 vcc, s8, v0
	s_waitcnt lgkmcnt(0)
	; wave barrier
	s_and_saveexec_b64 s[8:9], vcc
	s_cbranch_execz .LBB227_54
; %bb.12:
	s_load_dwordx2 s[8:9], s[4:5], 0x60
	s_load_dword s16, s[4:5], 0x58
	s_waitcnt lgkmcnt(0)
	s_mul_i32 s5, s9, s7
	s_mul_hi_u32 s9, s8, s7
	s_mul_i32 s4, s8, s7
	v_mad_u64_u32 v[0:1], s[6:7], s6, 24, v[0:1]
	s_add_i32 s5, s9, s5
	s_lshl_b64 s[4:5], s[4:5], 4
	v_mad_i64_i32 v[0:1], s[6:7], s16, v0, 0
	s_add_u32 s8, s10, s4
	s_addc_u32 s9, s11, s5
	s_lshl_b64 s[6:7], s[24:25], 4
	s_add_u32 s8, s8, s6
	v_lshlrev_b64 v[4:5], 4, v[0:1]
	s_addc_u32 s9, s9, s7
	v_mov_b32_e32 v0, s9
	v_add_co_u32_e32 v6, vcc, s8, v4
	v_addc_co_u32_e32 v7, vcc, v0, v5, vcc
	s_cmpk_eq_i32 s20, 0x6f
	s_mov_b64 s[8:9], -1
	s_cbranch_scc1 .LBB227_33
; %bb.13:
	s_add_i32 s24, s28, -1
	s_add_u32 s8, s10, s6
	s_addc_u32 s9, s11, s7
	s_add_u32 s8, s8, s4
	s_addc_u32 s9, s9, s5
	v_mov_b32_e32 v0, s9
	v_add_co_u32_e32 v1, vcc, s8, v4
	v_addc_co_u32_e32 v0, vcc, v0, v5, vcc
	v_add_co_u32_e32 v8, vcc, 8, v1
	s_lshl_b32 s25, s28, 4
	s_mov_b32 s9, 0
	v_addc_co_u32_e32 v9, vcc, 0, v0, vcc
	s_add_i32 s25, s25, -16
	s_mov_b32 s8, s9
	s_mov_b32 s16, s24
	s_branch .LBB227_15
.LBB227_14:                             ;   in Loop: Header=BB227_15 Depth=1
	s_cmp_lt_i32 s16, 0
	s_cselect_b64 s[18:19], -1, 0
	s_add_i32 s8, s8, 1
	s_cmp_eq_u32 s8, 3
	s_cselect_b64 s[20:21], -1, 0
	s_or_b64 s[18:19], s[18:19], s[20:21]
	s_andn2_b64 vcc, exec, s[18:19]
	s_cbranch_vccz .LBB227_32
.LBB227_15:                             ; =>This Loop Header: Depth=1
                                        ;     Child Loop BB227_18 Depth 2
                                        ;       Child Loop BB227_19 Depth 3
                                        ;       Child Loop BB227_21 Depth 3
                                        ;         Child Loop BB227_22 Depth 4
                                        ;       Child Loop BB227_26 Depth 3
                                        ;         Child Loop BB227_28 Depth 4
	s_lshl_b64 s[18:19], s[8:9], 2
	s_getpc_b64 s[20:21]
	s_add_u32 s20, s20, __const._ZL30rocblas_trsm_small_left_deviceILi24ELi24ELb1E19rocblas_complex_numIdES1_PKS1_PS1_Ev13rocblas_fill_18rocblas_operation_17rocblas_diagonal_iiT3_T4_lilT5_lili.step_sizes@rel32@lo+4
	s_addc_u32 s21, s21, __const._ZL30rocblas_trsm_small_left_deviceILi24ELi24ELb1E19rocblas_complex_numIdES1_PKS1_PS1_Ev13rocblas_fill_18rocblas_operation_17rocblas_diagonal_iiT3_T4_lilT5_lili.step_sizes@rel32@hi+12
	s_add_u32 s18, s20, s18
	s_addc_u32 s19, s21, s19
	s_load_dword s26, s[18:19], 0x0
	s_waitcnt lgkmcnt(0)
	s_add_i32 s27, s26, -1
	s_cmp_lt_i32 s16, s27
	s_cbranch_scc1 .LBB227_14
; %bb.16:                               ;   in Loop: Header=BB227_15 Depth=1
	s_mul_i32 s17, s16, 0x180
	s_max_i32 s29, s26, 1
	s_add_i32 s30, s25, s17
	s_mul_i32 s31, s26, 0xfffffe80
	s_mul_i32 s33, s16, 0x190
	;; [unrolled: 1-line block ×3, first 2 shown]
	s_branch .LBB227_18
.LBB227_17:                             ;   in Loop: Header=BB227_18 Depth=2
	s_sub_i32 s16, s16, s26
	s_add_i32 s30, s30, s31
	s_add_i32 s33, s33, s34
	s_cmp_lt_i32 s16, s27
	s_cbranch_scc1 .LBB227_14
.LBB227_18:                             ;   Parent Loop BB227_15 Depth=1
                                        ; =>  This Loop Header: Depth=2
                                        ;       Child Loop BB227_19 Depth 3
                                        ;       Child Loop BB227_21 Depth 3
                                        ;         Child Loop BB227_22 Depth 4
                                        ;       Child Loop BB227_26 Depth 3
                                        ;         Child Loop BB227_28 Depth 4
	s_ashr_i32 s17, s16, 31
	s_lshl_b64 s[18:19], s[16:17], 4
	v_mov_b32_e32 v1, s19
	v_add_co_u32_e32 v0, vcc, s18, v8
	v_addc_co_u32_e32 v1, vcc, v9, v1, vcc
	s_mov_b32 s18, 0
	s_mov_b32 s19, s29
.LBB227_19:                             ;   Parent Loop BB227_15 Depth=1
                                        ;     Parent Loop BB227_18 Depth=2
                                        ; =>    This Inner Loop Header: Depth=3
	global_load_dwordx4 v[10:13], v[0:1], off offset:-8
	v_mov_b32_e32 v14, s18
	s_add_i32 s19, s19, -1
	v_add_co_u32_e32 v0, vcc, -16, v0
	s_add_i32 s18, s18, 16
	v_addc_co_u32_e32 v1, vcc, -1, v1, vcc
	s_cmp_eq_u32 s19, 0
	s_waitcnt vmcnt(0)
	v_mul_f64 v[2:3], s[14:15], v[12:13]
	v_mul_f64 v[12:13], s[12:13], v[12:13]
	v_fma_f64 v[2:3], s[12:13], v[10:11], -v[2:3]
	v_fma_f64 v[10:11], s[14:15], v[10:11], v[12:13]
	buffer_store_dword v3, v14, s[0:3], 0 offen offset:4
	buffer_store_dword v2, v14, s[0:3], 0 offen
	buffer_store_dword v11, v14, s[0:3], 0 offen offset:12
	buffer_store_dword v10, v14, s[0:3], 0 offen offset:8
	s_cbranch_scc0 .LBB227_19
; %bb.20:                               ;   in Loop: Header=BB227_18 Depth=2
	s_cmp_le_i32 s24, s16
	s_mov_b32 s20, s30
	s_mov_b32 s18, s24
	s_cbranch_scc1 .LBB227_24
.LBB227_21:                             ;   Parent Loop BB227_15 Depth=1
                                        ;     Parent Loop BB227_18 Depth=2
                                        ; =>    This Loop Header: Depth=3
                                        ;         Child Loop BB227_22 Depth 4
	s_ashr_i32 s19, s18, 31
	s_lshl_b64 s[22:23], s[18:19], 4
	v_mov_b32_e32 v1, s23
	v_add_co_u32_e32 v0, vcc, s22, v6
	v_addc_co_u32_e32 v1, vcc, v7, v1, vcc
	global_load_dwordx4 v[0:3], v[0:1], off
	s_mov_b32 s19, 0
	s_mov_b32 s21, s20
	;; [unrolled: 1-line block ×3, first 2 shown]
.LBB227_22:                             ;   Parent Loop BB227_15 Depth=1
                                        ;     Parent Loop BB227_18 Depth=2
                                        ;       Parent Loop BB227_21 Depth=3
                                        ; =>      This Inner Loop Header: Depth=4
	v_mov_b32_e32 v20, s19
	buffer_load_dword v14, v20, s[0:3], 0 offen
	buffer_load_dword v15, v20, s[0:3], 0 offen offset:4
	buffer_load_dword v16, v20, s[0:3], 0 offen offset:8
	;; [unrolled: 1-line block ×3, first 2 shown]
	v_mov_b32_e32 v10, s21
	ds_read_b128 v[10:13], v10
	s_add_i32 s22, s22, -1
	s_addk_i32 s21, 0xfe80
	s_add_i32 s19, s19, 16
	s_cmp_eq_u32 s22, 0
	s_waitcnt vmcnt(4) lgkmcnt(0)
	v_mul_f64 v[18:19], v[2:3], v[12:13]
	v_mul_f64 v[12:13], v[0:1], v[12:13]
	v_fma_f64 v[18:19], v[0:1], v[10:11], -v[18:19]
	v_fma_f64 v[10:11], v[2:3], v[10:11], v[12:13]
	s_waitcnt vmcnt(2)
	v_add_f64 v[12:13], v[14:15], -v[18:19]
	s_waitcnt vmcnt(0)
	v_add_f64 v[10:11], v[16:17], -v[10:11]
	buffer_store_dword v12, v20, s[0:3], 0 offen
	buffer_store_dword v13, v20, s[0:3], 0 offen offset:4
	buffer_store_dword v10, v20, s[0:3], 0 offen offset:8
	;; [unrolled: 1-line block ×3, first 2 shown]
	s_cbranch_scc0 .LBB227_22
; %bb.23:                               ;   in Loop: Header=BB227_21 Depth=3
	s_add_i32 s18, s18, -1
	s_add_i32 s20, s20, -16
	s_cmp_le_i32 s18, s16
	s_cbranch_scc0 .LBB227_21
.LBB227_24:                             ;   in Loop: Header=BB227_18 Depth=2
	s_mov_b32 s35, 0
	s_mov_b32 s36, s33
	s_branch .LBB227_26
.LBB227_25:                             ;   in Loop: Header=BB227_26 Depth=3
	s_mulk_i32 s20, 0x190
	v_mov_b32_e32 v10, s20
	ds_read_b128 v[10:13], v10
	s_lshl_b64 s[18:19], s[18:19], 4
	s_lshl_b32 s20, s35, 4
	s_add_i32 s35, s35, 1
	s_addk_i32 s36, 0xfe80
	s_waitcnt vmcnt(0) lgkmcnt(0)
	v_mul_f64 v[14:15], v[12:13], v[2:3]
	v_mul_f64 v[2:3], v[10:11], v[2:3]
	v_mov_b32_e32 v16, s20
	s_cmp_eq_u32 s35, s29
	v_fma_f64 v[10:11], v[10:11], v[0:1], -v[14:15]
	v_fma_f64 v[12:13], v[12:13], v[0:1], v[2:3]
	v_mov_b32_e32 v14, s19
	v_add_co_u32_e32 v0, vcc, s18, v6
	v_addc_co_u32_e32 v1, vcc, v7, v14, vcc
	buffer_store_dword v11, v16, s[0:3], 0 offen offset:4
	buffer_store_dword v10, v16, s[0:3], 0 offen
	buffer_store_dword v13, v16, s[0:3], 0 offen offset:12
	buffer_store_dword v12, v16, s[0:3], 0 offen offset:8
	global_store_dwordx4 v[0:1], v[10:13], off
	s_cbranch_scc1 .LBB227_17
.LBB227_26:                             ;   Parent Loop BB227_15 Depth=1
                                        ;     Parent Loop BB227_18 Depth=2
                                        ; =>    This Loop Header: Depth=3
                                        ;         Child Loop BB227_28 Depth 4
	s_cmp_lg_u32 s35, 0
	s_cbranch_scc0 .LBB227_30
; %bb.27:                               ;   in Loop: Header=BB227_26 Depth=3
	s_lshl_b32 s18, s35, 4
	v_mov_b32_e32 v10, s18
	buffer_load_dword v0, v10, s[0:3], 0 offen
	buffer_load_dword v1, v10, s[0:3], 0 offen offset:4
	buffer_load_dword v2, v10, s[0:3], 0 offen offset:8
	;; [unrolled: 1-line block ×3, first 2 shown]
	s_mov_b32 s18, 0
	s_mov_b32 s19, s36
	;; [unrolled: 1-line block ×3, first 2 shown]
.LBB227_28:                             ;   Parent Loop BB227_15 Depth=1
                                        ;     Parent Loop BB227_18 Depth=2
                                        ;       Parent Loop BB227_26 Depth=3
                                        ; =>      This Inner Loop Header: Depth=4
	v_mov_b32_e32 v11, s18
	buffer_load_dword v15, v11, s[0:3], 0 offen offset:8
	buffer_load_dword v16, v11, s[0:3], 0 offen offset:12
	buffer_load_dword v17, v11, s[0:3], 0 offen
	buffer_load_dword v18, v11, s[0:3], 0 offen offset:4
	v_mov_b32_e32 v11, s19
	ds_read_b128 v[11:14], v11
	s_add_i32 s20, s20, -1
	s_add_i32 s19, s19, -16
	s_add_i32 s18, s18, 16
	s_cmp_eq_u32 s20, 0
	s_waitcnt vmcnt(2) lgkmcnt(0)
	v_mul_f64 v[19:20], v[13:14], v[15:16]
	v_mul_f64 v[15:16], v[11:12], v[15:16]
	s_waitcnt vmcnt(0)
	v_fma_f64 v[11:12], v[11:12], v[17:18], -v[19:20]
	v_fma_f64 v[13:14], v[13:14], v[17:18], v[15:16]
	v_add_f64 v[0:1], v[0:1], -v[11:12]
	v_add_f64 v[2:3], v[2:3], -v[13:14]
	buffer_store_dword v0, v10, s[0:3], 0 offen
	buffer_store_dword v1, v10, s[0:3], 0 offen offset:4
	buffer_store_dword v2, v10, s[0:3], 0 offen offset:8
	;; [unrolled: 1-line block ×3, first 2 shown]
	s_cbranch_scc0 .LBB227_28
; %bb.29:                               ;   in Loop: Header=BB227_26 Depth=3
	s_sub_i32 s20, s16, s35
	s_ashr_i32 s21, s20, 31
	s_mov_b64 s[18:19], s[20:21]
	s_branch .LBB227_25
.LBB227_30:                             ;   in Loop: Header=BB227_26 Depth=3
                                        ; implicit-def: $vgpr0_vgpr1
                                        ; implicit-def: $vgpr2_vgpr3
                                        ; implicit-def: $sgpr20
                                        ; implicit-def: $sgpr18_sgpr19
	s_cbranch_execz .LBB227_25
; %bb.31:                               ;   in Loop: Header=BB227_26 Depth=3
	buffer_load_dword v0, off, s[0:3], 0
	buffer_load_dword v1, off, s[0:3], 0 offset:4
	buffer_load_dword v2, off, s[0:3], 0 offset:8
	;; [unrolled: 1-line block ×3, first 2 shown]
	s_mov_b64 s[18:19], s[16:17]
	s_mov_b32 s20, s16
	s_branch .LBB227_25
.LBB227_32:
	s_mov_b64 s[8:9], 0
.LBB227_33:
	s_and_b64 vcc, exec, s[8:9]
	s_cbranch_vccz .LBB227_54
; %bb.34:
	s_add_u32 s6, s10, s6
	s_addc_u32 s7, s11, s7
	s_add_u32 s4, s6, s4
	s_addc_u32 s5, s7, s5
	v_mov_b32_e32 v0, s5
	v_add_co_u32_e32 v1, vcc, s4, v4
	v_addc_co_u32_e32 v0, vcc, v0, v5, vcc
	v_add_co_u32_e32 v8, vcc, 8, v1
	s_mov_b32 s5, 0
	v_addc_co_u32_e32 v9, vcc, 0, v0, vcc
	s_mov_b32 s6, s5
	s_mov_b32 s8, s5
	s_branch .LBB227_36
.LBB227_35:                             ;   in Loop: Header=BB227_36 Depth=1
	s_cmp_ge_i32 s6, s28
	s_cselect_b64 s[10:11], -1, 0
	s_add_i32 s8, s8, 1
	s_cmp_eq_u32 s8, 3
	s_cselect_b64 s[16:17], -1, 0
	s_or_b64 s[10:11], s[10:11], s[16:17]
	s_and_b64 vcc, exec, s[10:11]
	s_cbranch_vccnz .LBB227_54
.LBB227_36:                             ; =>This Loop Header: Depth=1
                                        ;     Child Loop BB227_39 Depth 2
                                        ;       Child Loop BB227_40 Depth 3
                                        ;       Child Loop BB227_43 Depth 3
                                        ;         Child Loop BB227_44 Depth 4
                                        ;       Child Loop BB227_48 Depth 3
                                        ;         Child Loop BB227_50 Depth 4
	s_mov_b32 s9, s5
	s_lshl_b64 s[10:11], s[8:9], 2
	s_getpc_b64 s[16:17]
	s_add_u32 s16, s16, __const._ZL30rocblas_trsm_small_left_deviceILi24ELi24ELb1E19rocblas_complex_numIdES1_PKS1_PS1_Ev13rocblas_fill_18rocblas_operation_17rocblas_diagonal_iiT3_T4_lilT5_lili.step_sizes@rel32@lo+4
	s_addc_u32 s17, s17, __const._ZL30rocblas_trsm_small_left_deviceILi24ELi24ELb1E19rocblas_complex_numIdES1_PKS1_PS1_Ev13rocblas_fill_18rocblas_operation_17rocblas_diagonal_iiT3_T4_lilT5_lili.step_sizes@rel32@hi+12
	s_add_u32 s10, s16, s10
	s_addc_u32 s11, s17, s11
	s_load_dword s10, s[10:11], 0x0
	s_waitcnt lgkmcnt(0)
	s_add_i32 s9, s10, -1
	s_add_i32 s4, s9, s6
	s_cmp_ge_i32 s4, s28
	s_cbranch_scc1 .LBB227_35
; %bb.37:                               ;   in Loop: Header=BB227_36 Depth=1
	s_ashr_i32 s7, s6, 31
	s_lshl_b64 s[16:17], s[6:7], 4
	s_ashr_i32 s11, s10, 31
	v_mov_b32_e32 v0, s17
	v_add_co_u32_e32 v4, vcc, s16, v8
	s_lshl_b64 s[16:17], s[10:11], 4
	s_max_i32 s20, s10, 1
	v_addc_co_u32_e32 v5, vcc, v9, v0, vcc
	s_lshl_b32 s7, s6, 4
	s_lshl_b32 s11, s10, 4
	s_mul_i32 s21, s6, 0x190
	s_mul_i32 s22, s10, 0x190
	v_mov_b32_e32 v10, s17
	s_branch .LBB227_39
.LBB227_38:                             ;   in Loop: Header=BB227_39 Depth=2
	s_add_i32 s6, s6, s10
	s_add_i32 s4, s9, s6
	;; [unrolled: 1-line block ×4, first 2 shown]
	v_add_co_u32_e32 v4, vcc, s16, v4
	s_cmp_ge_i32 s4, s28
	v_addc_co_u32_e32 v5, vcc, v5, v10, vcc
	s_cbranch_scc1 .LBB227_35
.LBB227_39:                             ;   Parent Loop BB227_36 Depth=1
                                        ; =>  This Loop Header: Depth=2
                                        ;       Child Loop BB227_40 Depth 3
                                        ;       Child Loop BB227_43 Depth 3
                                        ;         Child Loop BB227_44 Depth 4
                                        ;       Child Loop BB227_48 Depth 3
                                        ;         Child Loop BB227_50 Depth 4
	v_mov_b32_e32 v0, v4
	s_mov_b32 s4, 0
	v_mov_b32_e32 v1, v5
	s_mov_b32 s17, s20
.LBB227_40:                             ;   Parent Loop BB227_36 Depth=1
                                        ;     Parent Loop BB227_39 Depth=2
                                        ; =>    This Inner Loop Header: Depth=3
	global_load_dwordx4 v[11:14], v[0:1], off offset:-8
	v_mov_b32_e32 v15, s4
	s_add_i32 s17, s17, -1
	v_add_co_u32_e32 v0, vcc, 16, v0
	s_add_i32 s4, s4, 16
	v_addc_co_u32_e32 v1, vcc, 0, v1, vcc
	s_cmp_eq_u32 s17, 0
	s_waitcnt vmcnt(0)
	v_mul_f64 v[2:3], s[14:15], v[13:14]
	v_mul_f64 v[13:14], s[12:13], v[13:14]
	v_fma_f64 v[2:3], s[12:13], v[11:12], -v[2:3]
	v_fma_f64 v[11:12], s[14:15], v[11:12], v[13:14]
	buffer_store_dword v3, v15, s[0:3], 0 offen offset:4
	buffer_store_dword v2, v15, s[0:3], 0 offen
	buffer_store_dword v12, v15, s[0:3], 0 offen offset:12
	buffer_store_dword v11, v15, s[0:3], 0 offen offset:8
	s_cbranch_scc0 .LBB227_40
; %bb.41:                               ;   in Loop: Header=BB227_39 Depth=2
	s_cmp_lt_i32 s6, 1
	s_cbranch_scc1 .LBB227_46
; %bb.42:                               ;   in Loop: Header=BB227_39 Depth=2
	s_mov_b32 s4, 0
	s_mov_b32 s17, s7
.LBB227_43:                             ;   Parent Loop BB227_36 Depth=1
                                        ;     Parent Loop BB227_39 Depth=2
                                        ; =>    This Loop Header: Depth=3
                                        ;         Child Loop BB227_44 Depth 4
	s_lshl_b64 s[18:19], s[4:5], 4
	v_mov_b32_e32 v1, s19
	v_add_co_u32_e32 v0, vcc, s18, v6
	v_addc_co_u32_e32 v1, vcc, v7, v1, vcc
	global_load_dwordx4 v[0:3], v[0:1], off
	s_mov_b32 s18, 0
	s_mov_b32 s19, s17
	;; [unrolled: 1-line block ×3, first 2 shown]
.LBB227_44:                             ;   Parent Loop BB227_36 Depth=1
                                        ;     Parent Loop BB227_39 Depth=2
                                        ;       Parent Loop BB227_43 Depth=3
                                        ; =>      This Inner Loop Header: Depth=4
	v_mov_b32_e32 v21, s18
	buffer_load_dword v15, v21, s[0:3], 0 offen
	buffer_load_dword v16, v21, s[0:3], 0 offen offset:4
	buffer_load_dword v17, v21, s[0:3], 0 offen offset:8
	;; [unrolled: 1-line block ×3, first 2 shown]
	v_mov_b32_e32 v11, s19
	ds_read_b128 v[11:14], v11
	s_add_i32 s23, s23, -1
	s_add_i32 s19, s19, 16
	s_add_i32 s18, s18, 16
	s_cmp_eq_u32 s23, 0
	s_waitcnt vmcnt(4) lgkmcnt(0)
	v_mul_f64 v[19:20], v[2:3], v[13:14]
	v_mul_f64 v[13:14], v[0:1], v[13:14]
	v_fma_f64 v[19:20], v[0:1], v[11:12], -v[19:20]
	v_fma_f64 v[11:12], v[2:3], v[11:12], v[13:14]
	s_waitcnt vmcnt(2)
	v_add_f64 v[13:14], v[15:16], -v[19:20]
	s_waitcnt vmcnt(0)
	v_add_f64 v[11:12], v[17:18], -v[11:12]
	buffer_store_dword v13, v21, s[0:3], 0 offen
	buffer_store_dword v14, v21, s[0:3], 0 offen offset:4
	buffer_store_dword v11, v21, s[0:3], 0 offen offset:8
	;; [unrolled: 1-line block ×3, first 2 shown]
	s_cbranch_scc0 .LBB227_44
; %bb.45:                               ;   in Loop: Header=BB227_43 Depth=3
	s_add_i32 s4, s4, 1
	s_addk_i32 s17, 0x180
	s_cmp_eq_u32 s4, s6
	s_cbranch_scc0 .LBB227_43
.LBB227_46:                             ;   in Loop: Header=BB227_39 Depth=2
	s_mov_b32 s4, 0
	s_mov_b32 s17, s21
	s_branch .LBB227_48
.LBB227_47:                             ;   in Loop: Header=BB227_48 Depth=3
	s_add_i32 s18, s4, s6
	s_mul_i32 s19, s18, 0x190
	v_mov_b32_e32 v11, s19
	ds_read_b128 v[11:14], v11
	s_lshl_b32 s19, s4, 4
	v_mov_b32_e32 v17, s19
	s_ashr_i32 s19, s18, 31
	s_lshl_b64 s[18:19], s[18:19], 4
	s_waitcnt vmcnt(0) lgkmcnt(0)
	v_mul_f64 v[15:16], v[13:14], v[2:3]
	v_mul_f64 v[2:3], v[11:12], v[2:3]
	s_add_i32 s4, s4, 1
	s_add_i32 s17, s17, 16
	s_cmp_eq_u32 s4, s20
	v_fma_f64 v[11:12], v[11:12], v[0:1], -v[15:16]
	v_fma_f64 v[13:14], v[13:14], v[0:1], v[2:3]
	v_mov_b32_e32 v15, s19
	v_add_co_u32_e32 v0, vcc, s18, v6
	v_addc_co_u32_e32 v1, vcc, v7, v15, vcc
	buffer_store_dword v12, v17, s[0:3], 0 offen offset:4
	buffer_store_dword v11, v17, s[0:3], 0 offen
	buffer_store_dword v14, v17, s[0:3], 0 offen offset:12
	buffer_store_dword v13, v17, s[0:3], 0 offen offset:8
	global_store_dwordx4 v[0:1], v[11:14], off
	s_cbranch_scc1 .LBB227_38
.LBB227_48:                             ;   Parent Loop BB227_36 Depth=1
                                        ;     Parent Loop BB227_39 Depth=2
                                        ; =>    This Loop Header: Depth=3
                                        ;         Child Loop BB227_50 Depth 4
	s_cmp_lg_u32 s4, 0
	s_cbranch_scc0 .LBB227_52
; %bb.49:                               ;   in Loop: Header=BB227_48 Depth=3
	s_lshl_b32 s18, s4, 4
	v_mov_b32_e32 v11, s18
	buffer_load_dword v0, v11, s[0:3], 0 offen
	buffer_load_dword v1, v11, s[0:3], 0 offen offset:4
	buffer_load_dword v2, v11, s[0:3], 0 offen offset:8
	;; [unrolled: 1-line block ×3, first 2 shown]
	s_mov_b32 s18, 0
	s_mov_b32 s19, s17
	;; [unrolled: 1-line block ×3, first 2 shown]
.LBB227_50:                             ;   Parent Loop BB227_36 Depth=1
                                        ;     Parent Loop BB227_39 Depth=2
                                        ;       Parent Loop BB227_48 Depth=3
                                        ; =>      This Inner Loop Header: Depth=4
	v_mov_b32_e32 v12, s18
	buffer_load_dword v16, v12, s[0:3], 0 offen offset:8
	buffer_load_dword v17, v12, s[0:3], 0 offen offset:12
	buffer_load_dword v18, v12, s[0:3], 0 offen
	buffer_load_dword v19, v12, s[0:3], 0 offen offset:4
	v_mov_b32_e32 v12, s19
	ds_read_b128 v[12:15], v12
	s_add_i32 s23, s23, -1
	s_addk_i32 s19, 0x180
	s_add_i32 s18, s18, 16
	s_cmp_eq_u32 s23, 0
	s_waitcnt vmcnt(2) lgkmcnt(0)
	v_mul_f64 v[20:21], v[14:15], v[16:17]
	v_mul_f64 v[16:17], v[12:13], v[16:17]
	s_waitcnt vmcnt(0)
	v_fma_f64 v[12:13], v[12:13], v[18:19], -v[20:21]
	v_fma_f64 v[14:15], v[14:15], v[18:19], v[16:17]
	v_add_f64 v[0:1], v[0:1], -v[12:13]
	v_add_f64 v[2:3], v[2:3], -v[14:15]
	buffer_store_dword v0, v11, s[0:3], 0 offen
	buffer_store_dword v1, v11, s[0:3], 0 offen offset:4
	buffer_store_dword v2, v11, s[0:3], 0 offen offset:8
	;; [unrolled: 1-line block ×3, first 2 shown]
	s_cbranch_scc0 .LBB227_50
; %bb.51:                               ;   in Loop: Header=BB227_48 Depth=3
	s_branch .LBB227_47
.LBB227_52:                             ;   in Loop: Header=BB227_48 Depth=3
                                        ; implicit-def: $vgpr0_vgpr1
                                        ; implicit-def: $vgpr2_vgpr3
	s_cbranch_execz .LBB227_47
; %bb.53:                               ;   in Loop: Header=BB227_48 Depth=3
	buffer_load_dword v0, off, s[0:3], 0
	buffer_load_dword v1, off, s[0:3], 0 offset:4
	buffer_load_dword v2, off, s[0:3], 0 offset:8
	;; [unrolled: 1-line block ×3, first 2 shown]
	s_branch .LBB227_47
.LBB227_54:
	s_endpgm
	.section	.rodata,"a",@progbits
	.p2align	6, 0x0
	.amdhsa_kernel _ZL30rocblas_trsm_small_left_deviceILi24ELi24ELb1E19rocblas_complex_numIdES1_PKS1_PS1_Ev13rocblas_fill_18rocblas_operation_17rocblas_diagonal_iiT3_T4_lilT5_lili
		.amdhsa_group_segment_fixed_size 9216
		.amdhsa_private_segment_fixed_size 400
		.amdhsa_kernarg_size 368
		.amdhsa_user_sgpr_count 6
		.amdhsa_user_sgpr_private_segment_buffer 1
		.amdhsa_user_sgpr_dispatch_ptr 0
		.amdhsa_user_sgpr_queue_ptr 0
		.amdhsa_user_sgpr_kernarg_segment_ptr 1
		.amdhsa_user_sgpr_dispatch_id 0
		.amdhsa_user_sgpr_flat_scratch_init 0
		.amdhsa_user_sgpr_private_segment_size 0
		.amdhsa_uses_dynamic_stack 0
		.amdhsa_system_sgpr_private_segment_wavefront_offset 1
		.amdhsa_system_sgpr_workgroup_id_x 1
		.amdhsa_system_sgpr_workgroup_id_y 0
		.amdhsa_system_sgpr_workgroup_id_z 1
		.amdhsa_system_sgpr_workgroup_info 0
		.amdhsa_system_vgpr_workitem_id 0
		.amdhsa_next_free_vgpr 85
		.amdhsa_next_free_sgpr 98
		.amdhsa_reserve_vcc 1
		.amdhsa_reserve_flat_scratch 0
		.amdhsa_float_round_mode_32 0
		.amdhsa_float_round_mode_16_64 0
		.amdhsa_float_denorm_mode_32 3
		.amdhsa_float_denorm_mode_16_64 3
		.amdhsa_dx10_clamp 1
		.amdhsa_ieee_mode 1
		.amdhsa_fp16_overflow 0
		.amdhsa_exception_fp_ieee_invalid_op 0
		.amdhsa_exception_fp_denorm_src 0
		.amdhsa_exception_fp_ieee_div_zero 0
		.amdhsa_exception_fp_ieee_overflow 0
		.amdhsa_exception_fp_ieee_underflow 0
		.amdhsa_exception_fp_ieee_inexact 0
		.amdhsa_exception_int_div_zero 0
	.end_amdhsa_kernel
	.section	.text._ZL30rocblas_trsm_small_left_deviceILi24ELi24ELb1E19rocblas_complex_numIdES1_PKS1_PS1_Ev13rocblas_fill_18rocblas_operation_17rocblas_diagonal_iiT3_T4_lilT5_lili,"axG",@progbits,_ZL30rocblas_trsm_small_left_deviceILi24ELi24ELb1E19rocblas_complex_numIdES1_PKS1_PS1_Ev13rocblas_fill_18rocblas_operation_17rocblas_diagonal_iiT3_T4_lilT5_lili,comdat
.Lfunc_end227:
	.size	_ZL30rocblas_trsm_small_left_deviceILi24ELi24ELb1E19rocblas_complex_numIdES1_PKS1_PS1_Ev13rocblas_fill_18rocblas_operation_17rocblas_diagonal_iiT3_T4_lilT5_lili, .Lfunc_end227-_ZL30rocblas_trsm_small_left_deviceILi24ELi24ELb1E19rocblas_complex_numIdES1_PKS1_PS1_Ev13rocblas_fill_18rocblas_operation_17rocblas_diagonal_iiT3_T4_lilT5_lili
                                        ; -- End function
	.set _ZL30rocblas_trsm_small_left_deviceILi24ELi24ELb1E19rocblas_complex_numIdES1_PKS1_PS1_Ev13rocblas_fill_18rocblas_operation_17rocblas_diagonal_iiT3_T4_lilT5_lili.num_vgpr, 22
	.set _ZL30rocblas_trsm_small_left_deviceILi24ELi24ELb1E19rocblas_complex_numIdES1_PKS1_PS1_Ev13rocblas_fill_18rocblas_operation_17rocblas_diagonal_iiT3_T4_lilT5_lili.num_agpr, 0
	.set _ZL30rocblas_trsm_small_left_deviceILi24ELi24ELb1E19rocblas_complex_numIdES1_PKS1_PS1_Ev13rocblas_fill_18rocblas_operation_17rocblas_diagonal_iiT3_T4_lilT5_lili.numbered_sgpr, 37
	.set _ZL30rocblas_trsm_small_left_deviceILi24ELi24ELb1E19rocblas_complex_numIdES1_PKS1_PS1_Ev13rocblas_fill_18rocblas_operation_17rocblas_diagonal_iiT3_T4_lilT5_lili.num_named_barrier, 0
	.set _ZL30rocblas_trsm_small_left_deviceILi24ELi24ELb1E19rocblas_complex_numIdES1_PKS1_PS1_Ev13rocblas_fill_18rocblas_operation_17rocblas_diagonal_iiT3_T4_lilT5_lili.private_seg_size, 400
	.set _ZL30rocblas_trsm_small_left_deviceILi24ELi24ELb1E19rocblas_complex_numIdES1_PKS1_PS1_Ev13rocblas_fill_18rocblas_operation_17rocblas_diagonal_iiT3_T4_lilT5_lili.uses_vcc, 1
	.set _ZL30rocblas_trsm_small_left_deviceILi24ELi24ELb1E19rocblas_complex_numIdES1_PKS1_PS1_Ev13rocblas_fill_18rocblas_operation_17rocblas_diagonal_iiT3_T4_lilT5_lili.uses_flat_scratch, 0
	.set _ZL30rocblas_trsm_small_left_deviceILi24ELi24ELb1E19rocblas_complex_numIdES1_PKS1_PS1_Ev13rocblas_fill_18rocblas_operation_17rocblas_diagonal_iiT3_T4_lilT5_lili.has_dyn_sized_stack, 0
	.set _ZL30rocblas_trsm_small_left_deviceILi24ELi24ELb1E19rocblas_complex_numIdES1_PKS1_PS1_Ev13rocblas_fill_18rocblas_operation_17rocblas_diagonal_iiT3_T4_lilT5_lili.has_recursion, 0
	.set _ZL30rocblas_trsm_small_left_deviceILi24ELi24ELb1E19rocblas_complex_numIdES1_PKS1_PS1_Ev13rocblas_fill_18rocblas_operation_17rocblas_diagonal_iiT3_T4_lilT5_lili.has_indirect_call, 0
	.section	.AMDGPU.csdata,"",@progbits
; Kernel info:
; codeLenInByte = 2948
; TotalNumSgprs: 41
; NumVgprs: 22
; ScratchSize: 400
; MemoryBound: 0
; FloatMode: 240
; IeeeMode: 1
; LDSByteSize: 9216 bytes/workgroup (compile time only)
; SGPRBlocks: 12
; VGPRBlocks: 21
; NumSGPRsForWavesPerEU: 102
; NumVGPRsForWavesPerEU: 85
; Occupancy: 2
; WaveLimiterHint : 0
; COMPUTE_PGM_RSRC2:SCRATCH_EN: 1
; COMPUTE_PGM_RSRC2:USER_SGPR: 6
; COMPUTE_PGM_RSRC2:TRAP_HANDLER: 0
; COMPUTE_PGM_RSRC2:TGID_X_EN: 1
; COMPUTE_PGM_RSRC2:TGID_Y_EN: 0
; COMPUTE_PGM_RSRC2:TGID_Z_EN: 1
; COMPUTE_PGM_RSRC2:TIDIG_COMP_CNT: 0
	.section	.text._ZL31rocblas_trsm_small_right_deviceI19rocblas_complex_numIdES1_PKS1_PS1_Li24EEv13rocblas_fill_18rocblas_operation_17rocblas_diagonal_iiT0_T1_lilT2_lili,"axG",@progbits,_ZL31rocblas_trsm_small_right_deviceI19rocblas_complex_numIdES1_PKS1_PS1_Li24EEv13rocblas_fill_18rocblas_operation_17rocblas_diagonal_iiT0_T1_lilT2_lili,comdat
	.globl	_ZL31rocblas_trsm_small_right_deviceI19rocblas_complex_numIdES1_PKS1_PS1_Li24EEv13rocblas_fill_18rocblas_operation_17rocblas_diagonal_iiT0_T1_lilT2_lili ; -- Begin function _ZL31rocblas_trsm_small_right_deviceI19rocblas_complex_numIdES1_PKS1_PS1_Li24EEv13rocblas_fill_18rocblas_operation_17rocblas_diagonal_iiT0_T1_lilT2_lili
	.p2align	8
	.type	_ZL31rocblas_trsm_small_right_deviceI19rocblas_complex_numIdES1_PKS1_PS1_Li24EEv13rocblas_fill_18rocblas_operation_17rocblas_diagonal_iiT0_T1_lilT2_lili,@function
_ZL31rocblas_trsm_small_right_deviceI19rocblas_complex_numIdES1_PKS1_PS1_Li24EEv13rocblas_fill_18rocblas_operation_17rocblas_diagonal_iiT0_T1_lilT2_lili: ; @_ZL31rocblas_trsm_small_right_deviceI19rocblas_complex_numIdES1_PKS1_PS1_Li24EEv13rocblas_fill_18rocblas_operation_17rocblas_diagonal_iiT0_T1_lilT2_lili
; %bb.0:
	s_load_dwordx4 s[16:19], s[4:5], 0x0
	s_load_dword s24, s[4:5], 0x10
	s_load_dwordx8 s[8:15], s[4:5], 0x18
	s_load_dwordx2 s[20:21], s[4:5], 0x50
	s_load_dwordx4 s[0:3], s[4:5], 0x40
	s_waitcnt lgkmcnt(0)
	s_min_i32 s25, s24, 24
	v_cmp_gt_i32_e32 vcc, s25, v0
	s_and_saveexec_b64 s[22:23], vcc
	s_cbranch_execz .LBB228_5
; %bb.1:
	s_load_dword s26, s[4:5], 0x38
	s_mul_i32 s1, s1, s7
	s_mul_hi_u32 s28, s0, s7
	s_mul_i32 s0, s0, s7
	v_lshlrev_b32_e32 v3, 4, v0
	s_waitcnt lgkmcnt(0)
	s_ashr_i32 s27, s26, 31
	s_cmpk_eq_i32 s17, 0x71
	s_cselect_b64 vcc, -1, 0
	s_add_i32 s1, s28, s1
	s_lshl_b64 s[0:1], s[0:1], 4
	s_lshl_b64 s[14:15], s[14:15], 4
	s_add_u32 s0, s0, s14
	s_addc_u32 s1, s1, s15
	s_add_u32 s0, s12, s0
	s_addc_u32 s1, s13, s1
	v_mov_b32_e32 v1, s1
	v_add_co_u32_e64 v2, s[0:1], s0, v3
	v_addc_co_u32_e64 v4, s[0:1], 0, v1, s[0:1]
	v_add_co_u32_e64 v1, s[0:1], 8, v2
	s_lshl_b64 s[12:13], s[26:27], 4
	v_addc_co_u32_e64 v2, s[0:1], 0, v4, s[0:1]
	v_mov_b32_e32 v4, s13
	v_mov_b32_e32 v5, v3
	s_mov_b32 s13, s25
.LBB228_2:                              ; =>This Inner Loop Header: Depth=1
	global_load_dwordx4 v[6:9], v[1:2], off offset:-8
	s_add_i32 s13, s13, -1
	v_add_co_u32_e64 v1, s[0:1], s12, v1
	v_addc_co_u32_e64 v2, s[0:1], v2, v4, s[0:1]
	s_cmp_eq_u32 s13, 0
	s_waitcnt vmcnt(0)
	v_xor_b32_e32 v10, 0x80000000, v9
	v_cndmask_b32_e32 v9, v9, v10, vcc
	ds_write_b128 v5, v[6:9]
	v_add_u32_e32 v5, 0x180, v5
	s_cbranch_scc0 .LBB228_2
; %bb.3:
	s_cmpk_eq_i32 s18, 0x84
	s_cbranch_scc0 .LBB228_5
; %bb.4:
	s_movk_i32 s0, 0x180
	v_mov_b32_e32 v1, 0
	v_mad_u32_u24 v5, v0, s0, v3
	v_mov_b32_e32 v2, 0x3ff00000
	v_mov_b32_e32 v3, v1
	;; [unrolled: 1-line block ×3, first 2 shown]
	ds_write_b128 v5, v[1:4]
.LBB228_5:
	s_or_b64 exec, exec, s[22:23]
	s_load_dword s0, s[4:5], 0x70
	s_load_dwordx2 s[14:15], s[4:5], 0x60
	s_load_dword s12, s[4:5], 0x58
	s_mul_hi_i32 s18, s6, 0x180
	s_waitcnt lgkmcnt(0)
	s_add_i32 s0, s0, -1
	s_mul_i32 s1, s15, s7
	s_mul_hi_u32 s5, s14, s7
	s_add_i32 s5, s5, s1
	s_mul_i32 s1, s6, 0xffffffe8
	s_add_i32 s1, s19, s1
	s_cmp_ge_u32 s6, s0
	s_cselect_b32 s0, s1, 24
	s_mul_i32 s4, s14, s7
	s_mul_i32 s19, s6, 0x180
	v_cmp_gt_i32_e64 s[0:1], s0, v0
	s_and_saveexec_b64 s[6:7], s[0:1]
	s_cbranch_execz .LBB228_9
; %bb.6:
	s_cmp_lt_i32 s24, 1
	s_cbranch_scc1 .LBB228_9
; %bb.7:
	s_ashr_i32 s13, s12, 31
	s_lshl_b64 s[14:15], s[4:5], 4
	s_add_u32 s22, s14, s19
	s_addc_u32 s23, s15, s18
	s_lshl_b64 s[14:15], s[20:21], 4
	s_add_u32 s14, s22, s14
	s_addc_u32 s15, s23, s15
	s_add_u32 s14, s2, s14
	v_lshlrev_b32_e32 v3, 4, v0
	s_addc_u32 s15, s3, s15
	v_mov_b32_e32 v1, s15
	v_add_co_u32_e32 v2, vcc, s14, v3
	v_addc_co_u32_e32 v4, vcc, 0, v1, vcc
	v_add_co_u32_e32 v1, vcc, 8, v2
	s_lshl_b64 s[14:15], s[12:13], 4
	v_addc_co_u32_e32 v2, vcc, 0, v4, vcc
	v_or_b32_e32 v3, 0x2400, v3
	v_mov_b32_e32 v4, s15
	s_mov_b32 s13, s24
.LBB228_8:                              ; =>This Inner Loop Header: Depth=1
	global_load_dwordx4 v[5:8], v[1:2], off offset:-8
	s_add_i32 s13, s13, -1
	v_add_co_u32_e32 v1, vcc, s14, v1
	v_addc_co_u32_e32 v2, vcc, v2, v4, vcc
	s_cmp_lg_u32 s13, 0
	s_waitcnt vmcnt(0)
	v_mul_f64 v[9:10], s[10:11], v[7:8]
	v_mul_f64 v[11:12], s[8:9], v[7:8]
	v_fma_f64 v[7:8], s[8:9], v[5:6], -v[9:10]
	v_fma_f64 v[9:10], s[10:11], v[5:6], v[11:12]
	ds_write_b128 v3, v[7:10]
	v_add_u32_e32 v3, 0x180, v3
	s_cbranch_scc1 .LBB228_8
.LBB228_9:
	s_or_b64 exec, exec, s[6:7]
	s_cmpk_eq_i32 s17, 0x6f
	s_cselect_b64 s[6:7], -1, 0
	s_cmpk_lg_i32 s16, 0x79
	s_cselect_b64 s[8:9], -1, 0
	s_cmpk_eq_i32 s16, 0x79
	s_cselect_b64 s[10:11], -1, 0
	s_and_b64 s[10:11], s[10:11], s[6:7]
	s_andn2_b64 vcc, exec, s[10:11]
	s_mov_b64 s[10:11], -1
	s_waitcnt lgkmcnt(0)
	; wave barrier
	s_cbranch_vccz .LBB228_110
; %bb.10:
	s_cmpk_lg_i32 s16, 0x7a
	s_cselect_b64 s[14:15], -1, 0
	s_xor_b64 s[6:7], s[6:7], -1
	s_add_i32 s13, s25, -1
	s_or_b64 s[14:15], s[14:15], s[6:7]
	v_mov_b32_e32 v1, 0x2400
	s_cmp_gt_i32 s24, 3
	v_lshl_or_b32 v25, v0, 4, v1
	s_cselect_b64 s[6:7], -1, 0
	s_and_b64 vcc, exec, s[14:15]
	s_cbranch_vccz .LBB228_77
; %bb.11:
	s_andn2_b64 vcc, exec, s[8:9]
	s_mov_b64 s[8:9], -1
	s_cbranch_vccnz .LBB228_44
; %bb.12:
	s_andn2_b64 vcc, exec, s[6:7]
	s_mov_b32 s14, 0
	s_cbranch_vccnz .LBB228_34
; %bb.13:
	v_mov_b32_e32 v1, 0x2400
	v_lshl_or_b32 v26, v0, 4, v1
	s_mov_b32 s10, 0
	s_mov_b32 s11, 0
.LBB228_14:                             ; =>This Loop Header: Depth=1
                                        ;     Child Loop BB228_15 Depth 2
	s_or_b32 s9, s11, 3
	s_mul_i32 s8, s11, 0x180
	v_add_u32_e32 v28, s8, v25
	s_mulk_i32 s9, 0x180
	ds_read_b128 v[17:20], v28
	ds_read_b128 v[13:16], v28 offset:384
	v_add_u32_e32 v27, s9, v25
	ds_read_b128 v[5:8], v28 offset:768
	ds_read_b128 v[1:4], v27
	s_cmp_eq_u32 s11, 0
	v_mov_b32_e32 v9, v26
	s_mov_b32 s9, s10
	s_mov_b32 s14, s11
	s_cbranch_scc1 .LBB228_16
.LBB228_15:                             ;   Parent Loop BB228_14 Depth=1
                                        ; =>  This Inner Loop Header: Depth=2
	v_mov_b32_e32 v10, s9
	ds_read_b128 v[21:24], v9
	ds_read_b128 v[29:32], v10
	ds_read_b128 v[33:36], v10 offset:16
	ds_read_b128 v[37:40], v10 offset:32
	;; [unrolled: 1-line block ×3, first 2 shown]
	s_add_i32 s14, s14, -1
	s_addk_i32 s9, 0x180
	s_cmp_eq_u32 s14, 0
	s_waitcnt lgkmcnt(3)
	v_mul_f64 v[10:11], v[23:24], v[31:32]
	v_mul_f64 v[31:32], v[21:22], v[31:32]
	s_waitcnt lgkmcnt(2)
	v_mul_f64 v[45:46], v[23:24], v[35:36]
	v_mul_f64 v[35:36], v[21:22], v[35:36]
	;; [unrolled: 3-line block ×4, first 2 shown]
	v_fma_f64 v[10:11], v[21:22], v[29:30], -v[10:11]
	v_fma_f64 v[29:30], v[23:24], v[29:30], v[31:32]
	v_fma_f64 v[31:32], v[21:22], v[33:34], -v[45:46]
	v_fma_f64 v[33:34], v[23:24], v[33:34], v[35:36]
	;; [unrolled: 2-line block ×4, first 2 shown]
	v_add_f64 v[17:18], v[17:18], -v[10:11]
	v_add_f64 v[19:20], v[19:20], -v[29:30]
	;; [unrolled: 1-line block ×8, first 2 shown]
	v_add_u32_e32 v9, 0x180, v9
	s_cbranch_scc0 .LBB228_15
.LBB228_16:                             ;   in Loop: Header=BB228_14 Depth=1
	s_lshl_b32 s14, s11, 4
	s_add_i32 s15, s14, s8
	v_mov_b32_e32 v9, s15
	ds_read_b128 v[21:24], v9
	s_mov_b64 s[8:9], -1
                                        ; implicit-def: $vgpr11_vgpr12
	s_waitcnt lgkmcnt(0)
	v_cmp_ngt_f64_e64 s[16:17], |v[21:22]|, |v[23:24]|
	s_and_b64 vcc, exec, s[16:17]
	s_cbranch_vccz .LBB228_18
; %bb.17:                               ;   in Loop: Header=BB228_14 Depth=1
	v_div_scale_f64 v[9:10], s[8:9], v[23:24], v[23:24], v[21:22]
	v_rcp_f64_e32 v[11:12], v[9:10]
	v_fma_f64 v[29:30], -v[9:10], v[11:12], 1.0
	v_fma_f64 v[11:12], v[11:12], v[29:30], v[11:12]
	v_div_scale_f64 v[29:30], vcc, v[21:22], v[23:24], v[21:22]
	v_fma_f64 v[31:32], -v[9:10], v[11:12], 1.0
	v_fma_f64 v[11:12], v[11:12], v[31:32], v[11:12]
	v_mul_f64 v[31:32], v[29:30], v[11:12]
	v_fma_f64 v[9:10], -v[9:10], v[31:32], v[29:30]
	v_div_fmas_f64 v[9:10], v[9:10], v[11:12], v[31:32]
	v_div_fixup_f64 v[9:10], v[9:10], v[23:24], v[21:22]
	v_fma_f64 v[11:12], v[21:22], v[9:10], v[23:24]
	v_div_scale_f64 v[29:30], s[8:9], v[11:12], v[11:12], 1.0
	s_mov_b64 s[8:9], 0
	v_rcp_f64_e32 v[31:32], v[29:30]
	v_fma_f64 v[33:34], -v[29:30], v[31:32], 1.0
	v_fma_f64 v[31:32], v[31:32], v[33:34], v[31:32]
	v_div_scale_f64 v[33:34], vcc, 1.0, v[11:12], 1.0
	v_fma_f64 v[35:36], -v[29:30], v[31:32], 1.0
	v_fma_f64 v[31:32], v[31:32], v[35:36], v[31:32]
	v_mul_f64 v[35:36], v[33:34], v[31:32]
	v_fma_f64 v[29:30], -v[29:30], v[35:36], v[33:34]
	v_div_fmas_f64 v[29:30], v[29:30], v[31:32], v[35:36]
	v_fma_f64 v[31:32], v[17:18], v[9:10], v[19:20]
	v_div_fixup_f64 v[11:12], v[29:30], v[11:12], 1.0
	v_fma_f64 v[29:30], v[19:20], v[9:10], -v[17:18]
	v_mul_f64 v[9:10], v[31:32], v[11:12]
	v_mul_f64 v[11:12], v[29:30], v[11:12]
.LBB228_18:                             ;   in Loop: Header=BB228_14 Depth=1
	s_andn2_b64 vcc, exec, s[8:9]
	s_cbranch_vccnz .LBB228_20
; %bb.19:                               ;   in Loop: Header=BB228_14 Depth=1
	v_div_scale_f64 v[9:10], s[8:9], v[21:22], v[21:22], v[23:24]
	v_rcp_f64_e32 v[11:12], v[9:10]
	v_fma_f64 v[29:30], -v[9:10], v[11:12], 1.0
	v_fma_f64 v[11:12], v[11:12], v[29:30], v[11:12]
	v_div_scale_f64 v[29:30], vcc, v[23:24], v[21:22], v[23:24]
	v_fma_f64 v[31:32], -v[9:10], v[11:12], 1.0
	v_fma_f64 v[11:12], v[11:12], v[31:32], v[11:12]
	v_mul_f64 v[31:32], v[29:30], v[11:12]
	v_fma_f64 v[9:10], -v[9:10], v[31:32], v[29:30]
	v_div_fmas_f64 v[9:10], v[9:10], v[11:12], v[31:32]
	v_div_fixup_f64 v[9:10], v[9:10], v[21:22], v[23:24]
	v_fma_f64 v[11:12], v[23:24], v[9:10], v[21:22]
	v_div_scale_f64 v[21:22], s[8:9], v[11:12], v[11:12], 1.0
	v_rcp_f64_e32 v[23:24], v[21:22]
	v_fma_f64 v[29:30], -v[21:22], v[23:24], 1.0
	v_fma_f64 v[23:24], v[23:24], v[29:30], v[23:24]
	v_div_scale_f64 v[29:30], vcc, 1.0, v[11:12], 1.0
	v_fma_f64 v[31:32], -v[21:22], v[23:24], 1.0
	v_fma_f64 v[23:24], v[23:24], v[31:32], v[23:24]
	v_mul_f64 v[31:32], v[29:30], v[23:24]
	v_fma_f64 v[21:22], -v[21:22], v[31:32], v[29:30]
	v_div_fmas_f64 v[21:22], v[21:22], v[23:24], v[31:32]
	v_fma_f64 v[23:24], v[19:20], v[9:10], v[17:18]
	v_fma_f64 v[17:18], -v[17:18], v[9:10], v[19:20]
	v_div_fixup_f64 v[11:12], v[21:22], v[11:12], 1.0
	v_mul_f64 v[9:10], v[23:24], v[11:12]
	v_mul_f64 v[11:12], v[17:18], v[11:12]
.LBB228_20:                             ;   in Loop: Header=BB228_14 Depth=1
	v_mov_b32_e32 v17, s15
	ds_read_b128 v[21:24], v17 offset:16
	ds_read_b128 v[17:20], v17 offset:400
	s_mov_b64 s[8:9], -1
	ds_write_b128 v28, v[9:12]
	s_waitcnt lgkmcnt(2)
	v_mul_f64 v[29:30], v[11:12], v[23:24]
	v_mul_f64 v[23:24], v[9:10], v[23:24]
	s_waitcnt lgkmcnt(1)
	v_cmp_ngt_f64_e64 s[16:17], |v[17:18]|, |v[19:20]|
	v_fma_f64 v[29:30], v[9:10], v[21:22], -v[29:30]
	v_fma_f64 v[23:24], v[11:12], v[21:22], v[23:24]
	s_and_b64 vcc, exec, s[16:17]
	v_add_f64 v[21:22], v[13:14], -v[29:30]
	v_add_f64 v[23:24], v[15:16], -v[23:24]
                                        ; implicit-def: $vgpr15_vgpr16
	s_cbranch_vccz .LBB228_22
; %bb.21:                               ;   in Loop: Header=BB228_14 Depth=1
	v_div_scale_f64 v[13:14], s[8:9], v[19:20], v[19:20], v[17:18]
	v_rcp_f64_e32 v[15:16], v[13:14]
	v_fma_f64 v[29:30], -v[13:14], v[15:16], 1.0
	v_fma_f64 v[15:16], v[15:16], v[29:30], v[15:16]
	v_div_scale_f64 v[29:30], vcc, v[17:18], v[19:20], v[17:18]
	v_fma_f64 v[31:32], -v[13:14], v[15:16], 1.0
	v_fma_f64 v[15:16], v[15:16], v[31:32], v[15:16]
	v_mul_f64 v[31:32], v[29:30], v[15:16]
	v_fma_f64 v[13:14], -v[13:14], v[31:32], v[29:30]
	v_div_fmas_f64 v[13:14], v[13:14], v[15:16], v[31:32]
	v_div_fixup_f64 v[13:14], v[13:14], v[19:20], v[17:18]
	v_fma_f64 v[15:16], v[17:18], v[13:14], v[19:20]
	v_div_scale_f64 v[29:30], s[8:9], v[15:16], v[15:16], 1.0
	s_mov_b64 s[8:9], 0
	v_rcp_f64_e32 v[31:32], v[29:30]
	v_fma_f64 v[33:34], -v[29:30], v[31:32], 1.0
	v_fma_f64 v[31:32], v[31:32], v[33:34], v[31:32]
	v_div_scale_f64 v[33:34], vcc, 1.0, v[15:16], 1.0
	v_fma_f64 v[35:36], -v[29:30], v[31:32], 1.0
	v_fma_f64 v[31:32], v[31:32], v[35:36], v[31:32]
	v_mul_f64 v[35:36], v[33:34], v[31:32]
	v_fma_f64 v[29:30], -v[29:30], v[35:36], v[33:34]
	v_div_fmas_f64 v[29:30], v[29:30], v[31:32], v[35:36]
	v_fma_f64 v[31:32], v[13:14], v[21:22], v[23:24]
	v_div_fixup_f64 v[15:16], v[29:30], v[15:16], 1.0
	v_fma_f64 v[29:30], v[13:14], v[23:24], -v[21:22]
	v_mul_f64 v[13:14], v[31:32], v[15:16]
	v_mul_f64 v[15:16], v[29:30], v[15:16]
.LBB228_22:                             ;   in Loop: Header=BB228_14 Depth=1
	s_andn2_b64 vcc, exec, s[8:9]
	s_cbranch_vccnz .LBB228_24
; %bb.23:                               ;   in Loop: Header=BB228_14 Depth=1
	v_div_scale_f64 v[13:14], s[8:9], v[17:18], v[17:18], v[19:20]
	v_rcp_f64_e32 v[15:16], v[13:14]
	v_fma_f64 v[29:30], -v[13:14], v[15:16], 1.0
	v_fma_f64 v[15:16], v[15:16], v[29:30], v[15:16]
	v_div_scale_f64 v[29:30], vcc, v[19:20], v[17:18], v[19:20]
	v_fma_f64 v[31:32], -v[13:14], v[15:16], 1.0
	v_fma_f64 v[15:16], v[15:16], v[31:32], v[15:16]
	v_mul_f64 v[31:32], v[29:30], v[15:16]
	v_fma_f64 v[13:14], -v[13:14], v[31:32], v[29:30]
	v_div_fmas_f64 v[13:14], v[13:14], v[15:16], v[31:32]
	v_div_fixup_f64 v[13:14], v[13:14], v[17:18], v[19:20]
	v_fma_f64 v[15:16], v[19:20], v[13:14], v[17:18]
	v_div_scale_f64 v[17:18], s[8:9], v[15:16], v[15:16], 1.0
	v_rcp_f64_e32 v[19:20], v[17:18]
	v_fma_f64 v[29:30], -v[17:18], v[19:20], 1.0
	v_fma_f64 v[19:20], v[19:20], v[29:30], v[19:20]
	v_div_scale_f64 v[29:30], vcc, 1.0, v[15:16], 1.0
	v_fma_f64 v[31:32], -v[17:18], v[19:20], 1.0
	v_fma_f64 v[19:20], v[19:20], v[31:32], v[19:20]
	v_mul_f64 v[31:32], v[29:30], v[19:20]
	v_fma_f64 v[17:18], -v[17:18], v[31:32], v[29:30]
	v_div_fmas_f64 v[17:18], v[17:18], v[19:20], v[31:32]
	v_fma_f64 v[19:20], v[13:14], v[23:24], v[21:22]
	v_div_fixup_f64 v[15:16], v[17:18], v[15:16], 1.0
	v_fma_f64 v[17:18], -v[13:14], v[21:22], v[23:24]
	v_mul_f64 v[13:14], v[19:20], v[15:16]
	v_mul_f64 v[15:16], v[17:18], v[15:16]
.LBB228_24:                             ;   in Loop: Header=BB228_14 Depth=1
	v_mov_b32_e32 v21, s15
	ds_read_b128 v[17:20], v21 offset:32
	s_add_i32 s16, s15, 0x190
	s_or_b32 s8, s14, 16
	s_sub_i32 s17, s16, s8
	s_add_i32 s17, s17, s14
	v_mov_b32_e32 v29, s17
	ds_read_b128 v[29:32], v29 offset:32
	s_waitcnt lgkmcnt(1)
	v_mul_f64 v[33:34], v[11:12], v[19:20]
	v_mul_f64 v[19:20], v[9:10], v[19:20]
	ds_read_b128 v[21:24], v21 offset:800
	s_mov_b64 s[8:9], -1
	s_waitcnt lgkmcnt(1)
	v_mul_f64 v[35:36], v[15:16], v[31:32]
	v_mul_f64 v[31:32], v[13:14], v[31:32]
	ds_write_b128 v28, v[13:16] offset:384
	s_waitcnt lgkmcnt(1)
	v_cmp_ngt_f64_e64 s[22:23], |v[21:22]|, |v[23:24]|
	v_fma_f64 v[33:34], v[9:10], v[17:18], -v[33:34]
	v_fma_f64 v[17:18], v[11:12], v[17:18], v[19:20]
	v_fma_f64 v[19:20], v[13:14], v[29:30], -v[35:36]
	v_fma_f64 v[29:30], v[15:16], v[29:30], v[31:32]
	s_and_b64 vcc, exec, s[22:23]
	v_add_f64 v[5:6], v[5:6], -v[33:34]
	v_add_f64 v[7:8], v[7:8], -v[17:18]
	;; [unrolled: 1-line block ×4, first 2 shown]
                                        ; implicit-def: $vgpr19_vgpr20
	s_cbranch_vccz .LBB228_26
; %bb.25:                               ;   in Loop: Header=BB228_14 Depth=1
	v_div_scale_f64 v[17:18], s[8:9], v[23:24], v[23:24], v[21:22]
	v_rcp_f64_e32 v[19:20], v[17:18]
	v_fma_f64 v[29:30], -v[17:18], v[19:20], 1.0
	v_fma_f64 v[19:20], v[19:20], v[29:30], v[19:20]
	v_div_scale_f64 v[29:30], vcc, v[21:22], v[23:24], v[21:22]
	v_fma_f64 v[31:32], -v[17:18], v[19:20], 1.0
	v_fma_f64 v[19:20], v[19:20], v[31:32], v[19:20]
	v_mul_f64 v[31:32], v[29:30], v[19:20]
	v_fma_f64 v[17:18], -v[17:18], v[31:32], v[29:30]
	v_div_fmas_f64 v[17:18], v[17:18], v[19:20], v[31:32]
	v_div_fixup_f64 v[17:18], v[17:18], v[23:24], v[21:22]
	v_fma_f64 v[19:20], v[21:22], v[17:18], v[23:24]
	v_div_scale_f64 v[29:30], s[8:9], v[19:20], v[19:20], 1.0
	s_mov_b64 s[8:9], 0
	v_rcp_f64_e32 v[31:32], v[29:30]
	v_fma_f64 v[33:34], -v[29:30], v[31:32], 1.0
	v_fma_f64 v[31:32], v[31:32], v[33:34], v[31:32]
	v_div_scale_f64 v[33:34], vcc, 1.0, v[19:20], 1.0
	v_fma_f64 v[35:36], -v[29:30], v[31:32], 1.0
	v_fma_f64 v[31:32], v[31:32], v[35:36], v[31:32]
	v_mul_f64 v[35:36], v[33:34], v[31:32]
	v_fma_f64 v[29:30], -v[29:30], v[35:36], v[33:34]
	v_div_fmas_f64 v[29:30], v[29:30], v[31:32], v[35:36]
	v_fma_f64 v[31:32], v[17:18], v[5:6], v[7:8]
	v_div_fixup_f64 v[19:20], v[29:30], v[19:20], 1.0
	v_fma_f64 v[29:30], v[17:18], v[7:8], -v[5:6]
	v_mul_f64 v[17:18], v[31:32], v[19:20]
	v_mul_f64 v[19:20], v[29:30], v[19:20]
.LBB228_26:                             ;   in Loop: Header=BB228_14 Depth=1
	s_andn2_b64 vcc, exec, s[8:9]
	s_cbranch_vccnz .LBB228_28
; %bb.27:                               ;   in Loop: Header=BB228_14 Depth=1
	v_div_scale_f64 v[17:18], s[8:9], v[21:22], v[21:22], v[23:24]
	v_rcp_f64_e32 v[19:20], v[17:18]
	v_fma_f64 v[29:30], -v[17:18], v[19:20], 1.0
	v_fma_f64 v[19:20], v[19:20], v[29:30], v[19:20]
	v_div_scale_f64 v[29:30], vcc, v[23:24], v[21:22], v[23:24]
	v_fma_f64 v[31:32], -v[17:18], v[19:20], 1.0
	v_fma_f64 v[19:20], v[19:20], v[31:32], v[19:20]
	v_mul_f64 v[31:32], v[29:30], v[19:20]
	v_fma_f64 v[17:18], -v[17:18], v[31:32], v[29:30]
	v_div_fmas_f64 v[17:18], v[17:18], v[19:20], v[31:32]
	v_div_fixup_f64 v[17:18], v[17:18], v[21:22], v[23:24]
	v_fma_f64 v[19:20], v[23:24], v[17:18], v[21:22]
	v_div_scale_f64 v[21:22], s[8:9], v[19:20], v[19:20], 1.0
	v_rcp_f64_e32 v[23:24], v[21:22]
	v_fma_f64 v[29:30], -v[21:22], v[23:24], 1.0
	v_fma_f64 v[23:24], v[23:24], v[29:30], v[23:24]
	v_div_scale_f64 v[29:30], vcc, 1.0, v[19:20], 1.0
	v_fma_f64 v[31:32], -v[21:22], v[23:24], 1.0
	v_fma_f64 v[23:24], v[23:24], v[31:32], v[23:24]
	v_mul_f64 v[31:32], v[29:30], v[23:24]
	v_fma_f64 v[21:22], -v[21:22], v[31:32], v[29:30]
	v_div_fmas_f64 v[21:22], v[21:22], v[23:24], v[31:32]
	v_fma_f64 v[23:24], v[17:18], v[7:8], v[5:6]
	v_fma_f64 v[5:6], -v[17:18], v[5:6], v[7:8]
	v_div_fixup_f64 v[19:20], v[21:22], v[19:20], 1.0
	v_mul_f64 v[17:18], v[23:24], v[19:20]
	v_mul_f64 v[19:20], v[5:6], v[19:20]
.LBB228_28:                             ;   in Loop: Header=BB228_14 Depth=1
	v_mov_b32_e32 v5, s15
	ds_read_b128 v[21:24], v5 offset:48
	v_mov_b32_e32 v6, s17
	ds_read_b128 v[29:32], v6 offset:48
	ds_read_b128 v[5:8], v5 offset:1200
	s_or_b32 s8, s14, 32
	s_sub_i32 s8, s16, s8
	s_waitcnt lgkmcnt(2)
	v_mul_f64 v[37:38], v[11:12], v[23:24]
	v_mul_f64 v[23:24], v[9:10], v[23:24]
	s_waitcnt lgkmcnt(1)
	v_mul_f64 v[39:40], v[15:16], v[31:32]
	v_mul_f64 v[31:32], v[13:14], v[31:32]
	s_add_i32 s8, s8, s14
	v_mov_b32_e32 v33, s8
	ds_read_b128 v[33:36], v33 offset:448
	s_waitcnt lgkmcnt(1)
	v_cmp_ngt_f64_e64 s[14:15], |v[5:6]|, |v[7:8]|
	v_fma_f64 v[9:10], v[9:10], v[21:22], -v[37:38]
	v_fma_f64 v[11:12], v[11:12], v[21:22], v[23:24]
	v_fma_f64 v[13:14], v[13:14], v[29:30], -v[39:40]
	s_waitcnt lgkmcnt(0)
	v_mul_f64 v[21:22], v[19:20], v[35:36]
	v_mul_f64 v[23:24], v[17:18], v[35:36]
	v_fma_f64 v[15:16], v[15:16], v[29:30], v[31:32]
	s_mov_b64 s[8:9], -1
	s_and_b64 vcc, exec, s[14:15]
	v_add_f64 v[1:2], v[1:2], -v[9:10]
	v_add_f64 v[3:4], v[3:4], -v[11:12]
	ds_write_b128 v28, v[17:20] offset:768
	v_fma_f64 v[9:10], v[17:18], v[33:34], -v[21:22]
	v_fma_f64 v[11:12], v[19:20], v[33:34], v[23:24]
	v_add_f64 v[1:2], v[1:2], -v[13:14]
	v_add_f64 v[3:4], v[3:4], -v[15:16]
	;; [unrolled: 1-line block ×4, first 2 shown]
                                        ; implicit-def: $vgpr3_vgpr4
	s_cbranch_vccz .LBB228_30
; %bb.29:                               ;   in Loop: Header=BB228_14 Depth=1
	v_div_scale_f64 v[1:2], s[8:9], v[7:8], v[7:8], v[5:6]
	v_rcp_f64_e32 v[3:4], v[1:2]
	v_fma_f64 v[13:14], -v[1:2], v[3:4], 1.0
	v_fma_f64 v[3:4], v[3:4], v[13:14], v[3:4]
	v_div_scale_f64 v[13:14], vcc, v[5:6], v[7:8], v[5:6]
	v_fma_f64 v[15:16], -v[1:2], v[3:4], 1.0
	v_fma_f64 v[3:4], v[3:4], v[15:16], v[3:4]
	v_mul_f64 v[15:16], v[13:14], v[3:4]
	v_fma_f64 v[1:2], -v[1:2], v[15:16], v[13:14]
	v_div_fmas_f64 v[1:2], v[1:2], v[3:4], v[15:16]
	v_div_fixup_f64 v[1:2], v[1:2], v[7:8], v[5:6]
	v_fma_f64 v[3:4], v[5:6], v[1:2], v[7:8]
	v_div_scale_f64 v[13:14], s[8:9], v[3:4], v[3:4], 1.0
	s_mov_b64 s[8:9], 0
	v_rcp_f64_e32 v[15:16], v[13:14]
	v_fma_f64 v[17:18], -v[13:14], v[15:16], 1.0
	v_fma_f64 v[15:16], v[15:16], v[17:18], v[15:16]
	v_div_scale_f64 v[17:18], vcc, 1.0, v[3:4], 1.0
	v_fma_f64 v[19:20], -v[13:14], v[15:16], 1.0
	v_fma_f64 v[15:16], v[15:16], v[19:20], v[15:16]
	v_mul_f64 v[19:20], v[17:18], v[15:16]
	v_fma_f64 v[13:14], -v[13:14], v[19:20], v[17:18]
	v_div_fmas_f64 v[13:14], v[13:14], v[15:16], v[19:20]
	v_fma_f64 v[15:16], v[1:2], v[9:10], v[11:12]
	v_div_fixup_f64 v[3:4], v[13:14], v[3:4], 1.0
	v_fma_f64 v[13:14], v[1:2], v[11:12], -v[9:10]
	v_mul_f64 v[1:2], v[15:16], v[3:4]
	v_mul_f64 v[3:4], v[13:14], v[3:4]
.LBB228_30:                             ;   in Loop: Header=BB228_14 Depth=1
	s_andn2_b64 vcc, exec, s[8:9]
	s_cbranch_vccnz .LBB228_32
; %bb.31:                               ;   in Loop: Header=BB228_14 Depth=1
	v_div_scale_f64 v[1:2], s[8:9], v[5:6], v[5:6], v[7:8]
	v_rcp_f64_e32 v[3:4], v[1:2]
	v_fma_f64 v[13:14], -v[1:2], v[3:4], 1.0
	v_fma_f64 v[3:4], v[3:4], v[13:14], v[3:4]
	v_div_scale_f64 v[13:14], vcc, v[7:8], v[5:6], v[7:8]
	v_fma_f64 v[15:16], -v[1:2], v[3:4], 1.0
	v_fma_f64 v[3:4], v[3:4], v[15:16], v[3:4]
	v_mul_f64 v[15:16], v[13:14], v[3:4]
	v_fma_f64 v[1:2], -v[1:2], v[15:16], v[13:14]
	v_div_fmas_f64 v[1:2], v[1:2], v[3:4], v[15:16]
	v_div_fixup_f64 v[1:2], v[1:2], v[5:6], v[7:8]
	v_fma_f64 v[3:4], v[7:8], v[1:2], v[5:6]
	v_div_scale_f64 v[5:6], s[8:9], v[3:4], v[3:4], 1.0
	v_rcp_f64_e32 v[7:8], v[5:6]
	v_fma_f64 v[13:14], -v[5:6], v[7:8], 1.0
	v_fma_f64 v[7:8], v[7:8], v[13:14], v[7:8]
	v_div_scale_f64 v[13:14], vcc, 1.0, v[3:4], 1.0
	v_fma_f64 v[15:16], -v[5:6], v[7:8], 1.0
	v_fma_f64 v[7:8], v[7:8], v[15:16], v[7:8]
	v_mul_f64 v[15:16], v[13:14], v[7:8]
	v_fma_f64 v[5:6], -v[5:6], v[15:16], v[13:14]
	v_div_fmas_f64 v[5:6], v[5:6], v[7:8], v[15:16]
	v_fma_f64 v[7:8], v[1:2], v[11:12], v[9:10]
	v_div_fixup_f64 v[3:4], v[5:6], v[3:4], 1.0
	v_fma_f64 v[5:6], -v[1:2], v[9:10], v[11:12]
	v_mul_f64 v[1:2], v[7:8], v[3:4]
	v_mul_f64 v[3:4], v[5:6], v[3:4]
.LBB228_32:                             ;   in Loop: Header=BB228_14 Depth=1
	s_add_i32 s14, s11, 4
	s_add_i32 s8, s11, 7
	;; [unrolled: 1-line block ×3, first 2 shown]
	s_cmp_ge_i32 s8, s25
	ds_write_b128 v27, v[1:4]
	s_cbranch_scc1 .LBB228_34
; %bb.33:                               ;   in Loop: Header=BB228_14 Depth=1
	s_mov_b32 s11, s14
	s_branch .LBB228_14
.LBB228_34:
	s_cmp_ge_i32 s14, s25
	s_cbranch_scc1 .LBB228_43
; %bb.35:
	v_mov_b32_e32 v1, 0x2400
	s_lshl_b32 s10, s14, 4
	v_lshl_or_b32 v13, v0, 4, v1
	s_branch .LBB228_37
.LBB228_36:                             ;   in Loop: Header=BB228_37 Depth=1
	s_add_i32 s14, s14, 1
	s_add_i32 s10, s10, 16
	s_cmp_ge_i32 s14, s25
	ds_write_b128 v14, v[9:12]
	s_cbranch_scc1 .LBB228_43
.LBB228_37:                             ; =>This Loop Header: Depth=1
                                        ;     Child Loop BB228_38 Depth 2
	s_mul_i32 s8, s14, 0x180
	v_add_u32_e32 v14, s8, v25
	ds_read_b128 v[1:4], v14
	s_cmp_eq_u32 s14, 0
	v_mov_b32_e32 v5, v13
	s_mov_b32 s9, s10
	s_mov_b32 s11, s14
	s_cbranch_scc1 .LBB228_39
.LBB228_38:                             ;   Parent Loop BB228_37 Depth=1
                                        ; =>  This Inner Loop Header: Depth=2
	v_mov_b32_e32 v10, s9
	ds_read_b128 v[6:9], v5
	ds_read_b128 v[15:18], v10
	s_add_i32 s11, s11, -1
	s_addk_i32 s9, 0x180
	s_cmp_eq_u32 s11, 0
	v_add_u32_e32 v5, 0x180, v5
	s_waitcnt lgkmcnt(0)
	v_mul_f64 v[10:11], v[17:18], v[8:9]
	v_mul_f64 v[8:9], v[15:16], v[8:9]
	v_fma_f64 v[10:11], v[15:16], v[6:7], -v[10:11]
	v_fma_f64 v[6:7], v[17:18], v[6:7], v[8:9]
	v_add_f64 v[1:2], v[1:2], -v[10:11]
	v_add_f64 v[3:4], v[3:4], -v[6:7]
	s_cbranch_scc0 .LBB228_38
.LBB228_39:                             ;   in Loop: Header=BB228_37 Depth=1
	s_lshl_b32 s9, s14, 4
	s_add_i32 s8, s9, s8
	v_mov_b32_e32 v5, s8
	ds_read_b128 v[5:8], v5
	s_mov_b64 s[8:9], -1
                                        ; implicit-def: $vgpr9_vgpr10
	s_waitcnt lgkmcnt(0)
	v_cmp_ngt_f64_e64 s[16:17], |v[5:6]|, |v[7:8]|
	s_and_b64 vcc, exec, s[16:17]
	s_cbranch_vccz .LBB228_41
; %bb.40:                               ;   in Loop: Header=BB228_37 Depth=1
	v_div_scale_f64 v[9:10], s[8:9], v[7:8], v[7:8], v[5:6]
	v_rcp_f64_e32 v[11:12], v[9:10]
	v_fma_f64 v[15:16], -v[9:10], v[11:12], 1.0
	v_fma_f64 v[11:12], v[11:12], v[15:16], v[11:12]
	v_div_scale_f64 v[15:16], vcc, v[5:6], v[7:8], v[5:6]
	v_fma_f64 v[17:18], -v[9:10], v[11:12], 1.0
	v_fma_f64 v[11:12], v[11:12], v[17:18], v[11:12]
	v_mul_f64 v[17:18], v[15:16], v[11:12]
	v_fma_f64 v[9:10], -v[9:10], v[17:18], v[15:16]
	v_div_fmas_f64 v[9:10], v[9:10], v[11:12], v[17:18]
	v_div_fixup_f64 v[9:10], v[9:10], v[7:8], v[5:6]
	v_fma_f64 v[11:12], v[5:6], v[9:10], v[7:8]
	v_div_scale_f64 v[15:16], s[8:9], v[11:12], v[11:12], 1.0
	s_mov_b64 s[8:9], 0
	v_rcp_f64_e32 v[17:18], v[15:16]
	v_fma_f64 v[19:20], -v[15:16], v[17:18], 1.0
	v_fma_f64 v[17:18], v[17:18], v[19:20], v[17:18]
	v_div_scale_f64 v[19:20], vcc, 1.0, v[11:12], 1.0
	v_fma_f64 v[21:22], -v[15:16], v[17:18], 1.0
	v_fma_f64 v[17:18], v[17:18], v[21:22], v[17:18]
	v_mul_f64 v[21:22], v[19:20], v[17:18]
	v_fma_f64 v[15:16], -v[15:16], v[21:22], v[19:20]
	v_div_fmas_f64 v[15:16], v[15:16], v[17:18], v[21:22]
	v_fma_f64 v[17:18], v[1:2], v[9:10], v[3:4]
	v_div_fixup_f64 v[11:12], v[15:16], v[11:12], 1.0
	v_fma_f64 v[15:16], v[3:4], v[9:10], -v[1:2]
	v_mul_f64 v[9:10], v[17:18], v[11:12]
	v_mul_f64 v[11:12], v[15:16], v[11:12]
.LBB228_41:                             ;   in Loop: Header=BB228_37 Depth=1
	s_andn2_b64 vcc, exec, s[8:9]
	s_cbranch_vccnz .LBB228_36
; %bb.42:                               ;   in Loop: Header=BB228_37 Depth=1
	v_div_scale_f64 v[9:10], s[8:9], v[5:6], v[5:6], v[7:8]
	v_rcp_f64_e32 v[11:12], v[9:10]
	v_fma_f64 v[15:16], -v[9:10], v[11:12], 1.0
	v_fma_f64 v[11:12], v[11:12], v[15:16], v[11:12]
	v_div_scale_f64 v[15:16], vcc, v[7:8], v[5:6], v[7:8]
	v_fma_f64 v[17:18], -v[9:10], v[11:12], 1.0
	v_fma_f64 v[11:12], v[11:12], v[17:18], v[11:12]
	v_mul_f64 v[17:18], v[15:16], v[11:12]
	v_fma_f64 v[9:10], -v[9:10], v[17:18], v[15:16]
	v_div_fmas_f64 v[9:10], v[9:10], v[11:12], v[17:18]
	v_div_fixup_f64 v[9:10], v[9:10], v[5:6], v[7:8]
	v_fma_f64 v[5:6], v[7:8], v[9:10], v[5:6]
	v_div_scale_f64 v[7:8], s[8:9], v[5:6], v[5:6], 1.0
	v_rcp_f64_e32 v[11:12], v[7:8]
	v_fma_f64 v[15:16], -v[7:8], v[11:12], 1.0
	v_fma_f64 v[11:12], v[11:12], v[15:16], v[11:12]
	v_div_scale_f64 v[15:16], vcc, 1.0, v[5:6], 1.0
	v_fma_f64 v[17:18], -v[7:8], v[11:12], 1.0
	v_fma_f64 v[11:12], v[11:12], v[17:18], v[11:12]
	v_mul_f64 v[17:18], v[15:16], v[11:12]
	v_fma_f64 v[7:8], -v[7:8], v[17:18], v[15:16]
	v_div_fmas_f64 v[7:8], v[7:8], v[11:12], v[17:18]
	v_fma_f64 v[11:12], v[3:4], v[9:10], v[1:2]
	v_fma_f64 v[1:2], -v[1:2], v[9:10], v[3:4]
	v_div_fixup_f64 v[5:6], v[7:8], v[5:6], 1.0
	v_mul_f64 v[9:10], v[11:12], v[5:6]
	v_mul_f64 v[11:12], v[1:2], v[5:6]
	s_branch .LBB228_36
.LBB228_43:
	s_mov_b64 s[8:9], 0
.LBB228_44:
	s_and_b64 vcc, exec, s[8:9]
	s_cbranch_vccz .LBB228_76
; %bb.45:
	s_andn2_b64 vcc, exec, s[6:7]
	s_mov_b32 s14, s13
	s_cbranch_vccnz .LBB228_67
; %bb.46:
	s_mul_i32 s8, s25, 0x190
	s_add_i32 s10, s8, 0xfffffe40
	s_mul_i32 s8, s25, 0x180
	v_lshl_add_u32 v1, v0, 4, s8
	v_add_u32_e32 v26, 0x2280, v1
	s_mov_b32 s11, s13
.LBB228_47:                             ; =>This Loop Header: Depth=1
                                        ;     Child Loop BB228_48 Depth 2
	s_mul_i32 s8, s11, 0x180
	v_add_u32_e32 v30, s8, v25
	v_add_u32_e32 v28, 0xfffffd00, v30
	s_add_i32 s9, s8, 0xfffffb80
	v_add_u32_e32 v29, 0xfffffe80, v30
	ds_read_b128 v[17:20], v30
	ds_read_b128 v[13:16], v29
	v_add_u32_e32 v27, s9, v25
	ds_read_b128 v[5:8], v28
	ds_read_b128 v[1:4], v27
	s_cmp_le_i32 s13, s11
	v_mov_b32_e32 v9, v26
	s_mov_b32 s9, s10
	s_mov_b32 s14, s13
	s_cbranch_scc1 .LBB228_49
.LBB228_48:                             ;   Parent Loop BB228_47 Depth=1
                                        ; =>  This Inner Loop Header: Depth=2
	v_mov_b32_e32 v10, s9
	ds_read_b128 v[21:24], v9
	ds_read_b128 v[31:34], v10 offset:48
	ds_read_b128 v[35:38], v10 offset:32
	ds_read_b128 v[39:42], v10
	ds_read_b128 v[43:46], v10 offset:16
	s_add_i32 s14, s14, -1
	s_addk_i32 s9, 0xfe80
	s_cmp_le_i32 s14, s11
	s_waitcnt lgkmcnt(3)
	v_mul_f64 v[10:11], v[23:24], v[33:34]
	v_mul_f64 v[33:34], v[21:22], v[33:34]
	s_waitcnt lgkmcnt(2)
	v_mul_f64 v[47:48], v[23:24], v[37:38]
	v_mul_f64 v[37:38], v[21:22], v[37:38]
	;; [unrolled: 3-line block ×3, first 2 shown]
	v_mul_f64 v[51:52], v[23:24], v[41:42]
	v_mul_f64 v[41:42], v[21:22], v[41:42]
	v_fma_f64 v[10:11], v[21:22], v[31:32], -v[10:11]
	v_fma_f64 v[31:32], v[23:24], v[31:32], v[33:34]
	v_fma_f64 v[33:34], v[21:22], v[35:36], -v[47:48]
	v_fma_f64 v[35:36], v[23:24], v[35:36], v[37:38]
	;; [unrolled: 2-line block ×4, first 2 shown]
	v_add_f64 v[17:18], v[17:18], -v[10:11]
	v_add_f64 v[19:20], v[19:20], -v[31:32]
	;; [unrolled: 1-line block ×8, first 2 shown]
	v_add_u32_e32 v9, 0xfffffe80, v9
	s_cbranch_scc0 .LBB228_48
.LBB228_49:                             ;   in Loop: Header=BB228_47 Depth=1
	s_lshl_b32 s15, s11, 4
	s_add_i32 s15, s15, s8
	v_mov_b32_e32 v9, s15
	ds_read_b128 v[21:24], v9
	s_add_i32 s14, s11, -3
	s_mov_b64 s[8:9], -1
                                        ; implicit-def: $vgpr11_vgpr12
	s_waitcnt lgkmcnt(0)
	v_cmp_ngt_f64_e64 s[16:17], |v[21:22]|, |v[23:24]|
	s_and_b64 vcc, exec, s[16:17]
	s_cbranch_vccz .LBB228_51
; %bb.50:                               ;   in Loop: Header=BB228_47 Depth=1
	v_div_scale_f64 v[9:10], s[8:9], v[23:24], v[23:24], v[21:22]
	v_rcp_f64_e32 v[11:12], v[9:10]
	v_fma_f64 v[31:32], -v[9:10], v[11:12], 1.0
	v_fma_f64 v[11:12], v[11:12], v[31:32], v[11:12]
	v_div_scale_f64 v[31:32], vcc, v[21:22], v[23:24], v[21:22]
	v_fma_f64 v[33:34], -v[9:10], v[11:12], 1.0
	v_fma_f64 v[11:12], v[11:12], v[33:34], v[11:12]
	v_mul_f64 v[33:34], v[31:32], v[11:12]
	v_fma_f64 v[9:10], -v[9:10], v[33:34], v[31:32]
	v_div_fmas_f64 v[9:10], v[9:10], v[11:12], v[33:34]
	v_div_fixup_f64 v[9:10], v[9:10], v[23:24], v[21:22]
	v_fma_f64 v[11:12], v[21:22], v[9:10], v[23:24]
	v_div_scale_f64 v[31:32], s[8:9], v[11:12], v[11:12], 1.0
	s_mov_b64 s[8:9], 0
	v_rcp_f64_e32 v[33:34], v[31:32]
	v_fma_f64 v[35:36], -v[31:32], v[33:34], 1.0
	v_fma_f64 v[33:34], v[33:34], v[35:36], v[33:34]
	v_div_scale_f64 v[35:36], vcc, 1.0, v[11:12], 1.0
	v_fma_f64 v[37:38], -v[31:32], v[33:34], 1.0
	v_fma_f64 v[33:34], v[33:34], v[37:38], v[33:34]
	v_mul_f64 v[37:38], v[35:36], v[33:34]
	v_fma_f64 v[31:32], -v[31:32], v[37:38], v[35:36]
	v_div_fmas_f64 v[31:32], v[31:32], v[33:34], v[37:38]
	v_fma_f64 v[33:34], v[17:18], v[9:10], v[19:20]
	v_div_fixup_f64 v[11:12], v[31:32], v[11:12], 1.0
	v_fma_f64 v[31:32], v[19:20], v[9:10], -v[17:18]
	v_mul_f64 v[9:10], v[33:34], v[11:12]
	v_mul_f64 v[11:12], v[31:32], v[11:12]
.LBB228_51:                             ;   in Loop: Header=BB228_47 Depth=1
	s_andn2_b64 vcc, exec, s[8:9]
	s_cbranch_vccnz .LBB228_53
; %bb.52:                               ;   in Loop: Header=BB228_47 Depth=1
	v_div_scale_f64 v[9:10], s[8:9], v[21:22], v[21:22], v[23:24]
	v_rcp_f64_e32 v[11:12], v[9:10]
	v_fma_f64 v[31:32], -v[9:10], v[11:12], 1.0
	v_fma_f64 v[11:12], v[11:12], v[31:32], v[11:12]
	v_div_scale_f64 v[31:32], vcc, v[23:24], v[21:22], v[23:24]
	v_fma_f64 v[33:34], -v[9:10], v[11:12], 1.0
	v_fma_f64 v[11:12], v[11:12], v[33:34], v[11:12]
	v_mul_f64 v[33:34], v[31:32], v[11:12]
	v_fma_f64 v[9:10], -v[9:10], v[33:34], v[31:32]
	v_div_fmas_f64 v[9:10], v[9:10], v[11:12], v[33:34]
	v_div_fixup_f64 v[9:10], v[9:10], v[21:22], v[23:24]
	v_fma_f64 v[11:12], v[23:24], v[9:10], v[21:22]
	v_div_scale_f64 v[21:22], s[8:9], v[11:12], v[11:12], 1.0
	v_rcp_f64_e32 v[23:24], v[21:22]
	v_fma_f64 v[31:32], -v[21:22], v[23:24], 1.0
	v_fma_f64 v[23:24], v[23:24], v[31:32], v[23:24]
	v_div_scale_f64 v[31:32], vcc, 1.0, v[11:12], 1.0
	v_fma_f64 v[33:34], -v[21:22], v[23:24], 1.0
	v_fma_f64 v[23:24], v[23:24], v[33:34], v[23:24]
	v_mul_f64 v[33:34], v[31:32], v[23:24]
	v_fma_f64 v[21:22], -v[21:22], v[33:34], v[31:32]
	v_div_fmas_f64 v[21:22], v[21:22], v[23:24], v[33:34]
	v_fma_f64 v[23:24], v[19:20], v[9:10], v[17:18]
	v_fma_f64 v[17:18], -v[17:18], v[9:10], v[19:20]
	v_div_fixup_f64 v[11:12], v[21:22], v[11:12], 1.0
	v_mul_f64 v[9:10], v[23:24], v[11:12]
	v_mul_f64 v[11:12], v[17:18], v[11:12]
.LBB228_53:                             ;   in Loop: Header=BB228_47 Depth=1
	s_add_i32 s8, s15, -16
	v_mov_b32_e32 v17, s8
	ds_read_b128 v[21:24], v17
	s_add_i32 s16, s15, 0xfffffe70
	v_mov_b32_e32 v17, s16
	ds_read_b128 v[17:20], v17
	s_mov_b64 s[8:9], -1
	s_waitcnt lgkmcnt(1)
	v_mul_f64 v[31:32], v[11:12], v[23:24]
	v_mul_f64 v[23:24], v[9:10], v[23:24]
	ds_write_b128 v30, v[9:12]
	s_waitcnt lgkmcnt(1)
	v_cmp_ngt_f64_e64 s[22:23], |v[17:18]|, |v[19:20]|
	v_fma_f64 v[31:32], v[9:10], v[21:22], -v[31:32]
	v_fma_f64 v[23:24], v[11:12], v[21:22], v[23:24]
	s_and_b64 vcc, exec, s[22:23]
	v_add_f64 v[21:22], v[13:14], -v[31:32]
	v_add_f64 v[23:24], v[15:16], -v[23:24]
                                        ; implicit-def: $vgpr15_vgpr16
	s_cbranch_vccz .LBB228_55
; %bb.54:                               ;   in Loop: Header=BB228_47 Depth=1
	v_div_scale_f64 v[13:14], s[8:9], v[19:20], v[19:20], v[17:18]
	v_rcp_f64_e32 v[15:16], v[13:14]
	v_fma_f64 v[30:31], -v[13:14], v[15:16], 1.0
	v_fma_f64 v[15:16], v[15:16], v[30:31], v[15:16]
	v_div_scale_f64 v[30:31], vcc, v[17:18], v[19:20], v[17:18]
	v_fma_f64 v[32:33], -v[13:14], v[15:16], 1.0
	v_fma_f64 v[15:16], v[15:16], v[32:33], v[15:16]
	v_mul_f64 v[32:33], v[30:31], v[15:16]
	v_fma_f64 v[13:14], -v[13:14], v[32:33], v[30:31]
	v_div_fmas_f64 v[13:14], v[13:14], v[15:16], v[32:33]
	v_div_fixup_f64 v[13:14], v[13:14], v[19:20], v[17:18]
	v_fma_f64 v[15:16], v[17:18], v[13:14], v[19:20]
	v_div_scale_f64 v[30:31], s[8:9], v[15:16], v[15:16], 1.0
	s_mov_b64 s[8:9], 0
	v_rcp_f64_e32 v[32:33], v[30:31]
	v_fma_f64 v[34:35], -v[30:31], v[32:33], 1.0
	v_fma_f64 v[32:33], v[32:33], v[34:35], v[32:33]
	v_div_scale_f64 v[34:35], vcc, 1.0, v[15:16], 1.0
	v_fma_f64 v[36:37], -v[30:31], v[32:33], 1.0
	v_fma_f64 v[32:33], v[32:33], v[36:37], v[32:33]
	v_mul_f64 v[36:37], v[34:35], v[32:33]
	v_fma_f64 v[30:31], -v[30:31], v[36:37], v[34:35]
	v_div_fmas_f64 v[30:31], v[30:31], v[32:33], v[36:37]
	v_fma_f64 v[32:33], v[13:14], v[21:22], v[23:24]
	v_div_fixup_f64 v[15:16], v[30:31], v[15:16], 1.0
	v_fma_f64 v[30:31], v[13:14], v[23:24], -v[21:22]
	v_mul_f64 v[13:14], v[32:33], v[15:16]
	v_mul_f64 v[15:16], v[30:31], v[15:16]
.LBB228_55:                             ;   in Loop: Header=BB228_47 Depth=1
	s_andn2_b64 vcc, exec, s[8:9]
	s_cbranch_vccnz .LBB228_57
; %bb.56:                               ;   in Loop: Header=BB228_47 Depth=1
	v_div_scale_f64 v[13:14], s[8:9], v[17:18], v[17:18], v[19:20]
	v_rcp_f64_e32 v[15:16], v[13:14]
	v_fma_f64 v[30:31], -v[13:14], v[15:16], 1.0
	v_fma_f64 v[15:16], v[15:16], v[30:31], v[15:16]
	v_div_scale_f64 v[30:31], vcc, v[19:20], v[17:18], v[19:20]
	v_fma_f64 v[32:33], -v[13:14], v[15:16], 1.0
	v_fma_f64 v[15:16], v[15:16], v[32:33], v[15:16]
	v_mul_f64 v[32:33], v[30:31], v[15:16]
	v_fma_f64 v[13:14], -v[13:14], v[32:33], v[30:31]
	v_div_fmas_f64 v[13:14], v[13:14], v[15:16], v[32:33]
	v_div_fixup_f64 v[13:14], v[13:14], v[17:18], v[19:20]
	v_fma_f64 v[15:16], v[19:20], v[13:14], v[17:18]
	v_div_scale_f64 v[17:18], s[8:9], v[15:16], v[15:16], 1.0
	v_rcp_f64_e32 v[19:20], v[17:18]
	v_fma_f64 v[30:31], -v[17:18], v[19:20], 1.0
	v_fma_f64 v[19:20], v[19:20], v[30:31], v[19:20]
	v_div_scale_f64 v[30:31], vcc, 1.0, v[15:16], 1.0
	v_fma_f64 v[32:33], -v[17:18], v[19:20], 1.0
	v_fma_f64 v[19:20], v[19:20], v[32:33], v[19:20]
	v_mul_f64 v[32:33], v[30:31], v[19:20]
	v_fma_f64 v[17:18], -v[17:18], v[32:33], v[30:31]
	v_div_fmas_f64 v[17:18], v[17:18], v[19:20], v[32:33]
	v_fma_f64 v[19:20], v[13:14], v[23:24], v[21:22]
	v_div_fixup_f64 v[15:16], v[17:18], v[15:16], 1.0
	v_fma_f64 v[17:18], -v[13:14], v[21:22], v[23:24]
	v_mul_f64 v[13:14], v[19:20], v[15:16]
	v_mul_f64 v[15:16], v[17:18], v[15:16]
.LBB228_57:                             ;   in Loop: Header=BB228_47 Depth=1
	s_sub_i32 s17, s15, 32
	v_mov_b32_e32 v17, s17
	s_add_i32 s8, s11, -1
	ds_read_b128 v[17:20], v17
	s_add_i32 s9, s11, -2
	s_lshl_b32 s8, s8, 4
	s_sub_i32 s22, s16, s8
	s_lshl_b32 s16, s9, 4
	s_add_i32 s8, s22, s16
	v_mov_b32_e32 v21, s8
	ds_read_b128 v[21:24], v21
	s_waitcnt lgkmcnt(1)
	v_mul_f64 v[30:31], v[11:12], v[19:20]
	v_mul_f64 v[19:20], v[9:10], v[19:20]
	s_add_i32 s17, s15, 0xfffffce0
	s_mov_b64 s[8:9], -1
	s_waitcnt lgkmcnt(0)
	v_mul_f64 v[32:33], v[15:16], v[23:24]
	v_mul_f64 v[23:24], v[13:14], v[23:24]
	ds_write_b128 v29, v[13:16]
	v_fma_f64 v[30:31], v[9:10], v[17:18], -v[30:31]
	v_fma_f64 v[34:35], v[11:12], v[17:18], v[19:20]
	v_mov_b32_e32 v17, s17
	ds_read_b128 v[17:20], v17
	v_fma_f64 v[32:33], v[13:14], v[21:22], -v[32:33]
	v_fma_f64 v[23:24], v[15:16], v[21:22], v[23:24]
	v_add_f64 v[5:6], v[5:6], -v[30:31]
	v_add_f64 v[7:8], v[7:8], -v[34:35]
	s_waitcnt lgkmcnt(0)
	v_cmp_ngt_f64_e64 s[26:27], |v[17:18]|, |v[19:20]|
	v_add_f64 v[21:22], v[5:6], -v[32:33]
	v_add_f64 v[23:24], v[7:8], -v[23:24]
	s_and_b64 vcc, exec, s[26:27]
                                        ; implicit-def: $vgpr7_vgpr8
	s_cbranch_vccz .LBB228_59
; %bb.58:                               ;   in Loop: Header=BB228_47 Depth=1
	v_div_scale_f64 v[5:6], s[8:9], v[19:20], v[19:20], v[17:18]
	v_rcp_f64_e32 v[7:8], v[5:6]
	v_fma_f64 v[29:30], -v[5:6], v[7:8], 1.0
	v_fma_f64 v[7:8], v[7:8], v[29:30], v[7:8]
	v_div_scale_f64 v[29:30], vcc, v[17:18], v[19:20], v[17:18]
	v_fma_f64 v[31:32], -v[5:6], v[7:8], 1.0
	v_fma_f64 v[7:8], v[7:8], v[31:32], v[7:8]
	v_mul_f64 v[31:32], v[29:30], v[7:8]
	v_fma_f64 v[5:6], -v[5:6], v[31:32], v[29:30]
	v_div_fmas_f64 v[5:6], v[5:6], v[7:8], v[31:32]
	v_div_fixup_f64 v[5:6], v[5:6], v[19:20], v[17:18]
	v_fma_f64 v[7:8], v[17:18], v[5:6], v[19:20]
	v_div_scale_f64 v[29:30], s[8:9], v[7:8], v[7:8], 1.0
	s_mov_b64 s[8:9], 0
	v_rcp_f64_e32 v[31:32], v[29:30]
	v_fma_f64 v[33:34], -v[29:30], v[31:32], 1.0
	v_fma_f64 v[31:32], v[31:32], v[33:34], v[31:32]
	v_div_scale_f64 v[33:34], vcc, 1.0, v[7:8], 1.0
	v_fma_f64 v[35:36], -v[29:30], v[31:32], 1.0
	v_fma_f64 v[31:32], v[31:32], v[35:36], v[31:32]
	v_mul_f64 v[35:36], v[33:34], v[31:32]
	v_fma_f64 v[29:30], -v[29:30], v[35:36], v[33:34]
	v_div_fmas_f64 v[29:30], v[29:30], v[31:32], v[35:36]
	v_fma_f64 v[31:32], v[5:6], v[21:22], v[23:24]
	v_div_fixup_f64 v[7:8], v[29:30], v[7:8], 1.0
	v_fma_f64 v[29:30], v[5:6], v[23:24], -v[21:22]
	v_mul_f64 v[5:6], v[31:32], v[7:8]
	v_mul_f64 v[7:8], v[29:30], v[7:8]
.LBB228_59:                             ;   in Loop: Header=BB228_47 Depth=1
	s_andn2_b64 vcc, exec, s[8:9]
	s_cbranch_vccnz .LBB228_61
; %bb.60:                               ;   in Loop: Header=BB228_47 Depth=1
	v_div_scale_f64 v[5:6], s[8:9], v[17:18], v[17:18], v[19:20]
	v_rcp_f64_e32 v[7:8], v[5:6]
	v_fma_f64 v[29:30], -v[5:6], v[7:8], 1.0
	v_fma_f64 v[7:8], v[7:8], v[29:30], v[7:8]
	v_div_scale_f64 v[29:30], vcc, v[19:20], v[17:18], v[19:20]
	v_fma_f64 v[31:32], -v[5:6], v[7:8], 1.0
	v_fma_f64 v[7:8], v[7:8], v[31:32], v[7:8]
	v_mul_f64 v[31:32], v[29:30], v[7:8]
	v_fma_f64 v[5:6], -v[5:6], v[31:32], v[29:30]
	v_div_fmas_f64 v[5:6], v[5:6], v[7:8], v[31:32]
	v_div_fixup_f64 v[5:6], v[5:6], v[17:18], v[19:20]
	v_fma_f64 v[7:8], v[19:20], v[5:6], v[17:18]
	v_div_scale_f64 v[17:18], s[8:9], v[7:8], v[7:8], 1.0
	v_rcp_f64_e32 v[19:20], v[17:18]
	v_fma_f64 v[29:30], -v[17:18], v[19:20], 1.0
	v_fma_f64 v[19:20], v[19:20], v[29:30], v[19:20]
	v_div_scale_f64 v[29:30], vcc, 1.0, v[7:8], 1.0
	v_fma_f64 v[31:32], -v[17:18], v[19:20], 1.0
	v_fma_f64 v[19:20], v[19:20], v[31:32], v[19:20]
	v_mul_f64 v[31:32], v[29:30], v[19:20]
	v_fma_f64 v[17:18], -v[17:18], v[31:32], v[29:30]
	v_div_fmas_f64 v[17:18], v[17:18], v[19:20], v[31:32]
	v_fma_f64 v[19:20], v[5:6], v[23:24], v[21:22]
	v_div_fixup_f64 v[7:8], v[17:18], v[7:8], 1.0
	v_fma_f64 v[17:18], -v[5:6], v[21:22], v[23:24]
	v_mul_f64 v[5:6], v[19:20], v[7:8]
	v_mul_f64 v[7:8], v[17:18], v[7:8]
.LBB228_61:                             ;   in Loop: Header=BB228_47 Depth=1
	s_sub_i32 s8, s15, 48
	v_mov_b32_e32 v17, s8
	ds_read_b128 v[17:20], v17
	s_lshl_b32 s8, s14, 4
	s_add_i32 s9, s22, s8
	v_mov_b32_e32 v21, s9
	s_sub_i32 s9, s17, s16
	s_add_i32 s8, s9, s8
	v_mov_b32_e32 v29, s8
	ds_read_b128 v[29:32], v29
	s_waitcnt lgkmcnt(1)
	v_mul_f64 v[33:34], v[11:12], v[19:20]
	v_mul_f64 v[19:20], v[9:10], v[19:20]
	ds_read_b128 v[21:24], v21
	s_add_i32 s14, s17, 0xfffffe70
	s_mov_b64 s[8:9], -1
	ds_write_b128 v28, v[5:8]
	v_fma_f64 v[33:34], v[9:10], v[17:18], -v[33:34]
	v_mov_b32_e32 v9, s14
	v_fma_f64 v[17:18], v[11:12], v[17:18], v[19:20]
	ds_read_b128 v[9:12], v9
	s_waitcnt lgkmcnt(2)
	v_mul_f64 v[35:36], v[15:16], v[23:24]
	v_mul_f64 v[23:24], v[13:14], v[23:24]
	;; [unrolled: 1-line block ×4, first 2 shown]
	v_add_f64 v[1:2], v[1:2], -v[33:34]
	s_waitcnt lgkmcnt(0)
	v_cmp_ngt_f64_e64 s[14:15], |v[9:10]|, |v[11:12]|
	v_add_f64 v[3:4], v[3:4], -v[17:18]
	v_fma_f64 v[13:14], v[13:14], v[21:22], -v[35:36]
	v_fma_f64 v[15:16], v[15:16], v[21:22], v[23:24]
	v_fma_f64 v[17:18], v[5:6], v[29:30], -v[19:20]
	v_fma_f64 v[19:20], v[7:8], v[29:30], v[31:32]
	s_and_b64 vcc, exec, s[14:15]
	v_add_f64 v[1:2], v[1:2], -v[13:14]
	v_add_f64 v[3:4], v[3:4], -v[15:16]
	v_add_f64 v[13:14], v[1:2], -v[17:18]
	v_add_f64 v[15:16], v[3:4], -v[19:20]
                                        ; implicit-def: $vgpr3_vgpr4
	s_cbranch_vccz .LBB228_63
; %bb.62:                               ;   in Loop: Header=BB228_47 Depth=1
	v_div_scale_f64 v[1:2], s[8:9], v[11:12], v[11:12], v[9:10]
	v_rcp_f64_e32 v[3:4], v[1:2]
	v_fma_f64 v[5:6], -v[1:2], v[3:4], 1.0
	v_fma_f64 v[3:4], v[3:4], v[5:6], v[3:4]
	v_div_scale_f64 v[5:6], vcc, v[9:10], v[11:12], v[9:10]
	v_fma_f64 v[7:8], -v[1:2], v[3:4], 1.0
	v_fma_f64 v[3:4], v[3:4], v[7:8], v[3:4]
	v_mul_f64 v[7:8], v[5:6], v[3:4]
	v_fma_f64 v[1:2], -v[1:2], v[7:8], v[5:6]
	v_div_fmas_f64 v[1:2], v[1:2], v[3:4], v[7:8]
	v_div_fixup_f64 v[1:2], v[1:2], v[11:12], v[9:10]
	v_fma_f64 v[3:4], v[9:10], v[1:2], v[11:12]
	v_div_scale_f64 v[5:6], s[8:9], v[3:4], v[3:4], 1.0
	s_mov_b64 s[8:9], 0
	v_rcp_f64_e32 v[7:8], v[5:6]
	v_fma_f64 v[17:18], -v[5:6], v[7:8], 1.0
	v_fma_f64 v[7:8], v[7:8], v[17:18], v[7:8]
	v_div_scale_f64 v[17:18], vcc, 1.0, v[3:4], 1.0
	v_fma_f64 v[19:20], -v[5:6], v[7:8], 1.0
	v_fma_f64 v[7:8], v[7:8], v[19:20], v[7:8]
	v_mul_f64 v[19:20], v[17:18], v[7:8]
	v_fma_f64 v[5:6], -v[5:6], v[19:20], v[17:18]
	v_div_fmas_f64 v[5:6], v[5:6], v[7:8], v[19:20]
	v_fma_f64 v[7:8], v[1:2], v[13:14], v[15:16]
	v_div_fixup_f64 v[3:4], v[5:6], v[3:4], 1.0
	v_fma_f64 v[5:6], v[1:2], v[15:16], -v[13:14]
	v_mul_f64 v[1:2], v[7:8], v[3:4]
	v_mul_f64 v[3:4], v[5:6], v[3:4]
.LBB228_63:                             ;   in Loop: Header=BB228_47 Depth=1
	s_andn2_b64 vcc, exec, s[8:9]
	s_cbranch_vccnz .LBB228_65
; %bb.64:                               ;   in Loop: Header=BB228_47 Depth=1
	v_div_scale_f64 v[1:2], s[8:9], v[9:10], v[9:10], v[11:12]
	v_rcp_f64_e32 v[3:4], v[1:2]
	v_fma_f64 v[5:6], -v[1:2], v[3:4], 1.0
	v_fma_f64 v[3:4], v[3:4], v[5:6], v[3:4]
	v_div_scale_f64 v[5:6], vcc, v[11:12], v[9:10], v[11:12]
	v_fma_f64 v[7:8], -v[1:2], v[3:4], 1.0
	v_fma_f64 v[3:4], v[3:4], v[7:8], v[3:4]
	v_mul_f64 v[7:8], v[5:6], v[3:4]
	v_fma_f64 v[1:2], -v[1:2], v[7:8], v[5:6]
	v_div_fmas_f64 v[1:2], v[1:2], v[3:4], v[7:8]
	v_div_fixup_f64 v[1:2], v[1:2], v[9:10], v[11:12]
	v_fma_f64 v[3:4], v[11:12], v[1:2], v[9:10]
	v_div_scale_f64 v[5:6], s[8:9], v[3:4], v[3:4], 1.0
	v_rcp_f64_e32 v[7:8], v[5:6]
	v_fma_f64 v[9:10], -v[5:6], v[7:8], 1.0
	v_fma_f64 v[7:8], v[7:8], v[9:10], v[7:8]
	v_div_scale_f64 v[9:10], vcc, 1.0, v[3:4], 1.0
	v_fma_f64 v[11:12], -v[5:6], v[7:8], 1.0
	v_fma_f64 v[7:8], v[7:8], v[11:12], v[7:8]
	v_mul_f64 v[11:12], v[9:10], v[7:8]
	v_fma_f64 v[5:6], -v[5:6], v[11:12], v[9:10]
	v_div_fmas_f64 v[5:6], v[5:6], v[7:8], v[11:12]
	v_fma_f64 v[7:8], v[1:2], v[15:16], v[13:14]
	v_div_fixup_f64 v[3:4], v[5:6], v[3:4], 1.0
	v_fma_f64 v[5:6], -v[1:2], v[13:14], v[15:16]
	v_mul_f64 v[1:2], v[7:8], v[3:4]
	v_mul_f64 v[3:4], v[5:6], v[3:4]
.LBB228_65:                             ;   in Loop: Header=BB228_47 Depth=1
	s_add_i32 s14, s11, -4
	s_sub_i32 s10, s10, 64
	s_cmp_lt_i32 s11, 7
	ds_write_b128 v27, v[1:4]
	s_cbranch_scc1 .LBB228_67
; %bb.66:                               ;   in Loop: Header=BB228_47 Depth=1
	s_mov_b32 s11, s14
	s_branch .LBB228_47
.LBB228_67:
	s_cmp_lt_i32 s14, 0
	s_cbranch_scc1 .LBB228_76
; %bb.68:
	s_mul_i32 s8, s25, 0x180
	s_lshl_b32 s9, s14, 4
	s_add_i32 s9, s8, s9
	v_lshl_add_u32 v1, v0, 4, s8
	s_add_i32 s10, s9, 0xfffffe80
	v_add_u32_e32 v13, 0x2280, v1
	s_branch .LBB228_70
.LBB228_69:                             ;   in Loop: Header=BB228_70 Depth=1
	v_sub_co_u32_e64 v1, s[8:9], s14, 1
	v_readfirstlane_b32 s14, v1
	s_add_i32 s10, s10, -16
	s_and_b64 vcc, exec, s[8:9]
	ds_write_b128 v14, v[9:12]
	s_cbranch_vccnz .LBB228_76
.LBB228_70:                             ; =>This Loop Header: Depth=1
                                        ;     Child Loop BB228_71 Depth 2
	s_mul_i32 s8, s14, 0x180
	v_add_u32_e32 v14, s8, v25
	ds_read_b128 v[1:4], v14
	s_cmp_le_i32 s13, s14
	v_mov_b32_e32 v5, v13
	s_mov_b32 s9, s10
	s_mov_b32 s11, s13
	s_cbranch_scc1 .LBB228_72
.LBB228_71:                             ;   Parent Loop BB228_70 Depth=1
                                        ; =>  This Inner Loop Header: Depth=2
	v_mov_b32_e32 v10, s9
	ds_read_b128 v[6:9], v5
	ds_read_b128 v[15:18], v10
	s_add_i32 s11, s11, -1
	s_addk_i32 s9, 0xfe80
	s_cmp_le_u32 s11, s14
	v_add_u32_e32 v5, 0xfffffe80, v5
	s_waitcnt lgkmcnt(0)
	v_mul_f64 v[10:11], v[17:18], v[8:9]
	v_mul_f64 v[8:9], v[15:16], v[8:9]
	v_fma_f64 v[10:11], v[15:16], v[6:7], -v[10:11]
	v_fma_f64 v[6:7], v[17:18], v[6:7], v[8:9]
	v_add_f64 v[1:2], v[1:2], -v[10:11]
	v_add_f64 v[3:4], v[3:4], -v[6:7]
	s_cbranch_scc0 .LBB228_71
.LBB228_72:                             ;   in Loop: Header=BB228_70 Depth=1
	s_lshl_b32 s9, s14, 4
	s_add_i32 s8, s9, s8
	v_mov_b32_e32 v5, s8
	ds_read_b128 v[5:8], v5
	s_mov_b64 s[8:9], -1
                                        ; implicit-def: $vgpr9_vgpr10
	s_waitcnt lgkmcnt(0)
	v_cmp_ngt_f64_e64 s[16:17], |v[5:6]|, |v[7:8]|
	s_and_b64 vcc, exec, s[16:17]
	s_cbranch_vccz .LBB228_74
; %bb.73:                               ;   in Loop: Header=BB228_70 Depth=1
	v_div_scale_f64 v[9:10], s[8:9], v[7:8], v[7:8], v[5:6]
	v_rcp_f64_e32 v[11:12], v[9:10]
	v_fma_f64 v[15:16], -v[9:10], v[11:12], 1.0
	v_fma_f64 v[11:12], v[11:12], v[15:16], v[11:12]
	v_div_scale_f64 v[15:16], vcc, v[5:6], v[7:8], v[5:6]
	v_fma_f64 v[17:18], -v[9:10], v[11:12], 1.0
	v_fma_f64 v[11:12], v[11:12], v[17:18], v[11:12]
	v_mul_f64 v[17:18], v[15:16], v[11:12]
	v_fma_f64 v[9:10], -v[9:10], v[17:18], v[15:16]
	v_div_fmas_f64 v[9:10], v[9:10], v[11:12], v[17:18]
	v_div_fixup_f64 v[9:10], v[9:10], v[7:8], v[5:6]
	v_fma_f64 v[11:12], v[5:6], v[9:10], v[7:8]
	v_div_scale_f64 v[15:16], s[8:9], v[11:12], v[11:12], 1.0
	s_mov_b64 s[8:9], 0
	v_rcp_f64_e32 v[17:18], v[15:16]
	v_fma_f64 v[19:20], -v[15:16], v[17:18], 1.0
	v_fma_f64 v[17:18], v[17:18], v[19:20], v[17:18]
	v_div_scale_f64 v[19:20], vcc, 1.0, v[11:12], 1.0
	v_fma_f64 v[21:22], -v[15:16], v[17:18], 1.0
	v_fma_f64 v[17:18], v[17:18], v[21:22], v[17:18]
	v_mul_f64 v[21:22], v[19:20], v[17:18]
	v_fma_f64 v[15:16], -v[15:16], v[21:22], v[19:20]
	v_div_fmas_f64 v[15:16], v[15:16], v[17:18], v[21:22]
	v_fma_f64 v[17:18], v[1:2], v[9:10], v[3:4]
	v_div_fixup_f64 v[11:12], v[15:16], v[11:12], 1.0
	v_fma_f64 v[15:16], v[3:4], v[9:10], -v[1:2]
	v_mul_f64 v[9:10], v[17:18], v[11:12]
	v_mul_f64 v[11:12], v[15:16], v[11:12]
.LBB228_74:                             ;   in Loop: Header=BB228_70 Depth=1
	s_andn2_b64 vcc, exec, s[8:9]
	s_cbranch_vccnz .LBB228_69
; %bb.75:                               ;   in Loop: Header=BB228_70 Depth=1
	v_div_scale_f64 v[9:10], s[8:9], v[5:6], v[5:6], v[7:8]
	v_rcp_f64_e32 v[11:12], v[9:10]
	v_fma_f64 v[15:16], -v[9:10], v[11:12], 1.0
	v_fma_f64 v[11:12], v[11:12], v[15:16], v[11:12]
	v_div_scale_f64 v[15:16], vcc, v[7:8], v[5:6], v[7:8]
	v_fma_f64 v[17:18], -v[9:10], v[11:12], 1.0
	v_fma_f64 v[11:12], v[11:12], v[17:18], v[11:12]
	v_mul_f64 v[17:18], v[15:16], v[11:12]
	v_fma_f64 v[9:10], -v[9:10], v[17:18], v[15:16]
	v_div_fmas_f64 v[9:10], v[9:10], v[11:12], v[17:18]
	v_div_fixup_f64 v[9:10], v[9:10], v[5:6], v[7:8]
	v_fma_f64 v[5:6], v[7:8], v[9:10], v[5:6]
	v_div_scale_f64 v[7:8], s[8:9], v[5:6], v[5:6], 1.0
	v_rcp_f64_e32 v[11:12], v[7:8]
	v_fma_f64 v[15:16], -v[7:8], v[11:12], 1.0
	v_fma_f64 v[11:12], v[11:12], v[15:16], v[11:12]
	v_div_scale_f64 v[15:16], vcc, 1.0, v[5:6], 1.0
	v_fma_f64 v[17:18], -v[7:8], v[11:12], 1.0
	v_fma_f64 v[11:12], v[11:12], v[17:18], v[11:12]
	v_mul_f64 v[17:18], v[15:16], v[11:12]
	v_fma_f64 v[7:8], -v[7:8], v[17:18], v[15:16]
	v_div_fmas_f64 v[7:8], v[7:8], v[11:12], v[17:18]
	v_fma_f64 v[11:12], v[3:4], v[9:10], v[1:2]
	v_fma_f64 v[1:2], -v[1:2], v[9:10], v[3:4]
	v_div_fixup_f64 v[5:6], v[7:8], v[5:6], 1.0
	v_mul_f64 v[9:10], v[11:12], v[5:6]
	v_mul_f64 v[11:12], v[1:2], v[5:6]
	s_branch .LBB228_69
.LBB228_76:
	s_mov_b64 s[10:11], 0
.LBB228_77:
	s_andn2_b64 vcc, exec, s[10:11]
	s_cbranch_vccnz .LBB228_109
; %bb.78:
	s_andn2_b64 vcc, exec, s[6:7]
	s_mul_i32 s8, s25, 0x180
	s_mov_b32 s11, s13
	s_cbranch_vccnz .LBB228_100
; %bb.79:
	v_lshl_add_u32 v1, v0, 4, s8
	s_mul_i32 s6, s25, 0x190
	v_add_u32_e32 v26, 0x2280, v1
	s_add_i32 s9, s6, 0xfffff9f0
	s_mov_b32 s10, s13
.LBB228_80:                             ; =>This Loop Header: Depth=1
                                        ;     Child Loop BB228_81 Depth 2
	s_mul_i32 s11, s10, 24
	v_lshl_add_u32 v30, s11, 4, v25
	v_add_u32_e32 v28, 0xfffffd00, v30
	v_add_u32_e32 v29, 0xfffffe80, v30
	ds_read_b128 v[17:20], v30
	ds_read_b128 v[13:16], v29
	v_add_u32_e32 v27, 0xfffffb80, v30
	ds_read_b128 v[5:8], v28
	ds_read_b128 v[1:4], v27
	s_cmp_le_i32 s13, s10
	s_mov_b32 s6, s9
	v_mov_b32_e32 v9, v26
	s_mov_b32 s7, s13
	s_cbranch_scc1 .LBB228_82
.LBB228_81:                             ;   Parent Loop BB228_80 Depth=1
                                        ; =>  This Inner Loop Header: Depth=2
	v_mov_b32_e32 v10, s6
	ds_read_b128 v[21:24], v9
	ds_read_b128 v[31:34], v10 offset:1152
	ds_read_b128 v[35:38], v10 offset:768
	;; [unrolled: 1-line block ×3, first 2 shown]
	ds_read_b128 v[43:46], v10
	s_add_i32 s7, s7, -1
	s_add_i32 s6, s6, -16
	s_cmp_le_i32 s7, s10
	s_waitcnt lgkmcnt(3)
	v_mul_f64 v[10:11], v[23:24], v[33:34]
	v_mul_f64 v[33:34], v[21:22], v[33:34]
	s_waitcnt lgkmcnt(2)
	v_mul_f64 v[47:48], v[23:24], v[37:38]
	v_mul_f64 v[37:38], v[21:22], v[37:38]
	;; [unrolled: 3-line block ×4, first 2 shown]
	v_fma_f64 v[10:11], v[21:22], v[31:32], -v[10:11]
	v_fma_f64 v[31:32], v[23:24], v[31:32], v[33:34]
	v_fma_f64 v[33:34], v[21:22], v[35:36], -v[47:48]
	v_fma_f64 v[35:36], v[23:24], v[35:36], v[37:38]
	;; [unrolled: 2-line block ×4, first 2 shown]
	v_add_f64 v[17:18], v[17:18], -v[10:11]
	v_add_f64 v[19:20], v[19:20], -v[31:32]
	;; [unrolled: 1-line block ×8, first 2 shown]
	v_add_u32_e32 v9, 0xfffffe80, v9
	s_cbranch_scc0 .LBB228_81
.LBB228_82:                             ;   in Loop: Header=BB228_80 Depth=1
	s_mul_i32 s6, s10, 0x190
	v_mov_b32_e32 v9, s6
	ds_read_b128 v[21:24], v9
	s_mov_b64 s[6:7], -1
                                        ; implicit-def: $vgpr11_vgpr12
	s_waitcnt lgkmcnt(0)
	v_cmp_ngt_f64_e64 s[14:15], |v[21:22]|, |v[23:24]|
	s_and_b64 vcc, exec, s[14:15]
	s_cbranch_vccz .LBB228_84
; %bb.83:                               ;   in Loop: Header=BB228_80 Depth=1
	v_div_scale_f64 v[9:10], s[6:7], v[23:24], v[23:24], v[21:22]
	v_rcp_f64_e32 v[11:12], v[9:10]
	v_fma_f64 v[31:32], -v[9:10], v[11:12], 1.0
	v_fma_f64 v[11:12], v[11:12], v[31:32], v[11:12]
	v_div_scale_f64 v[31:32], vcc, v[21:22], v[23:24], v[21:22]
	v_fma_f64 v[33:34], -v[9:10], v[11:12], 1.0
	v_fma_f64 v[11:12], v[11:12], v[33:34], v[11:12]
	v_mul_f64 v[33:34], v[31:32], v[11:12]
	v_fma_f64 v[9:10], -v[9:10], v[33:34], v[31:32]
	v_div_fmas_f64 v[9:10], v[9:10], v[11:12], v[33:34]
	v_div_fixup_f64 v[9:10], v[9:10], v[23:24], v[21:22]
	v_fma_f64 v[11:12], v[21:22], v[9:10], v[23:24]
	v_div_scale_f64 v[31:32], s[6:7], v[11:12], v[11:12], 1.0
	s_mov_b64 s[6:7], 0
	v_rcp_f64_e32 v[33:34], v[31:32]
	v_fma_f64 v[35:36], -v[31:32], v[33:34], 1.0
	v_fma_f64 v[33:34], v[33:34], v[35:36], v[33:34]
	v_div_scale_f64 v[35:36], vcc, 1.0, v[11:12], 1.0
	v_fma_f64 v[37:38], -v[31:32], v[33:34], 1.0
	v_fma_f64 v[33:34], v[33:34], v[37:38], v[33:34]
	v_mul_f64 v[37:38], v[35:36], v[33:34]
	v_fma_f64 v[31:32], -v[31:32], v[37:38], v[35:36]
	v_div_fmas_f64 v[31:32], v[31:32], v[33:34], v[37:38]
	v_fma_f64 v[33:34], v[17:18], v[9:10], v[19:20]
	v_div_fixup_f64 v[11:12], v[31:32], v[11:12], 1.0
	v_fma_f64 v[31:32], v[19:20], v[9:10], -v[17:18]
	v_mul_f64 v[9:10], v[33:34], v[11:12]
	v_mul_f64 v[11:12], v[31:32], v[11:12]
.LBB228_84:                             ;   in Loop: Header=BB228_80 Depth=1
	s_andn2_b64 vcc, exec, s[6:7]
	s_cbranch_vccnz .LBB228_86
; %bb.85:                               ;   in Loop: Header=BB228_80 Depth=1
	v_div_scale_f64 v[9:10], s[6:7], v[21:22], v[21:22], v[23:24]
	v_rcp_f64_e32 v[11:12], v[9:10]
	v_fma_f64 v[31:32], -v[9:10], v[11:12], 1.0
	v_fma_f64 v[11:12], v[11:12], v[31:32], v[11:12]
	v_div_scale_f64 v[31:32], vcc, v[23:24], v[21:22], v[23:24]
	v_fma_f64 v[33:34], -v[9:10], v[11:12], 1.0
	v_fma_f64 v[11:12], v[11:12], v[33:34], v[11:12]
	v_mul_f64 v[33:34], v[31:32], v[11:12]
	v_fma_f64 v[9:10], -v[9:10], v[33:34], v[31:32]
	v_div_fmas_f64 v[9:10], v[9:10], v[11:12], v[33:34]
	v_div_fixup_f64 v[9:10], v[9:10], v[21:22], v[23:24]
	v_fma_f64 v[11:12], v[23:24], v[9:10], v[21:22]
	v_div_scale_f64 v[21:22], s[6:7], v[11:12], v[11:12], 1.0
	v_rcp_f64_e32 v[23:24], v[21:22]
	v_fma_f64 v[31:32], -v[21:22], v[23:24], 1.0
	v_fma_f64 v[23:24], v[23:24], v[31:32], v[23:24]
	v_div_scale_f64 v[31:32], vcc, 1.0, v[11:12], 1.0
	v_fma_f64 v[33:34], -v[21:22], v[23:24], 1.0
	v_fma_f64 v[23:24], v[23:24], v[33:34], v[23:24]
	v_mul_f64 v[33:34], v[31:32], v[23:24]
	v_fma_f64 v[21:22], -v[21:22], v[33:34], v[31:32]
	v_div_fmas_f64 v[21:22], v[21:22], v[23:24], v[33:34]
	v_fma_f64 v[23:24], v[19:20], v[9:10], v[17:18]
	v_fma_f64 v[17:18], -v[17:18], v[9:10], v[19:20]
	v_div_fixup_f64 v[11:12], v[21:22], v[11:12], 1.0
	v_mul_f64 v[9:10], v[23:24], v[11:12]
	v_mul_f64 v[11:12], v[17:18], v[11:12]
.LBB228_86:                             ;   in Loop: Header=BB228_80 Depth=1
	s_lshl_b32 s11, s11, 4
	s_addk_i32 s11, 0xfe80
	s_lshl_b32 s14, s10, 4
	s_add_i32 s6, s11, s14
	v_mov_b32_e32 v17, s6
	ds_read_b128 v[21:24], v17
	s_add_i32 s6, s6, -16
	v_mov_b32_e32 v17, s6
	ds_read_b128 v[17:20], v17
	s_mov_b64 s[6:7], -1
	s_waitcnt lgkmcnt(1)
	v_mul_f64 v[31:32], v[11:12], v[23:24]
	v_mul_f64 v[23:24], v[9:10], v[23:24]
	ds_write_b128 v30, v[9:12]
	s_waitcnt lgkmcnt(1)
	v_cmp_ngt_f64_e64 s[16:17], |v[17:18]|, |v[19:20]|
	v_fma_f64 v[31:32], v[9:10], v[21:22], -v[31:32]
	v_fma_f64 v[23:24], v[11:12], v[21:22], v[23:24]
	s_and_b64 vcc, exec, s[16:17]
	v_add_f64 v[21:22], v[13:14], -v[31:32]
	v_add_f64 v[23:24], v[15:16], -v[23:24]
                                        ; implicit-def: $vgpr15_vgpr16
	s_cbranch_vccz .LBB228_88
; %bb.87:                               ;   in Loop: Header=BB228_80 Depth=1
	v_div_scale_f64 v[13:14], s[6:7], v[19:20], v[19:20], v[17:18]
	v_rcp_f64_e32 v[15:16], v[13:14]
	v_fma_f64 v[30:31], -v[13:14], v[15:16], 1.0
	v_fma_f64 v[15:16], v[15:16], v[30:31], v[15:16]
	v_div_scale_f64 v[30:31], vcc, v[17:18], v[19:20], v[17:18]
	v_fma_f64 v[32:33], -v[13:14], v[15:16], 1.0
	v_fma_f64 v[15:16], v[15:16], v[32:33], v[15:16]
	v_mul_f64 v[32:33], v[30:31], v[15:16]
	v_fma_f64 v[13:14], -v[13:14], v[32:33], v[30:31]
	v_div_fmas_f64 v[13:14], v[13:14], v[15:16], v[32:33]
	v_div_fixup_f64 v[13:14], v[13:14], v[19:20], v[17:18]
	v_fma_f64 v[15:16], v[17:18], v[13:14], v[19:20]
	v_div_scale_f64 v[30:31], s[6:7], v[15:16], v[15:16], 1.0
	s_mov_b64 s[6:7], 0
	v_rcp_f64_e32 v[32:33], v[30:31]
	v_fma_f64 v[34:35], -v[30:31], v[32:33], 1.0
	v_fma_f64 v[32:33], v[32:33], v[34:35], v[32:33]
	v_div_scale_f64 v[34:35], vcc, 1.0, v[15:16], 1.0
	v_fma_f64 v[36:37], -v[30:31], v[32:33], 1.0
	v_fma_f64 v[32:33], v[32:33], v[36:37], v[32:33]
	v_mul_f64 v[36:37], v[34:35], v[32:33]
	v_fma_f64 v[30:31], -v[30:31], v[36:37], v[34:35]
	v_div_fmas_f64 v[30:31], v[30:31], v[32:33], v[36:37]
	v_fma_f64 v[32:33], v[13:14], v[21:22], v[23:24]
	v_div_fixup_f64 v[15:16], v[30:31], v[15:16], 1.0
	v_fma_f64 v[30:31], v[13:14], v[23:24], -v[21:22]
	v_mul_f64 v[13:14], v[32:33], v[15:16]
	v_mul_f64 v[15:16], v[30:31], v[15:16]
.LBB228_88:                             ;   in Loop: Header=BB228_80 Depth=1
	s_andn2_b64 vcc, exec, s[6:7]
	s_cbranch_vccnz .LBB228_90
; %bb.89:                               ;   in Loop: Header=BB228_80 Depth=1
	v_div_scale_f64 v[13:14], s[6:7], v[17:18], v[17:18], v[19:20]
	v_rcp_f64_e32 v[15:16], v[13:14]
	v_fma_f64 v[30:31], -v[13:14], v[15:16], 1.0
	v_fma_f64 v[15:16], v[15:16], v[30:31], v[15:16]
	v_div_scale_f64 v[30:31], vcc, v[19:20], v[17:18], v[19:20]
	v_fma_f64 v[32:33], -v[13:14], v[15:16], 1.0
	v_fma_f64 v[15:16], v[15:16], v[32:33], v[15:16]
	v_mul_f64 v[32:33], v[30:31], v[15:16]
	v_fma_f64 v[13:14], -v[13:14], v[32:33], v[30:31]
	v_div_fmas_f64 v[13:14], v[13:14], v[15:16], v[32:33]
	v_div_fixup_f64 v[13:14], v[13:14], v[17:18], v[19:20]
	v_fma_f64 v[15:16], v[19:20], v[13:14], v[17:18]
	v_div_scale_f64 v[17:18], s[6:7], v[15:16], v[15:16], 1.0
	v_rcp_f64_e32 v[19:20], v[17:18]
	v_fma_f64 v[30:31], -v[17:18], v[19:20], 1.0
	v_fma_f64 v[19:20], v[19:20], v[30:31], v[19:20]
	v_div_scale_f64 v[30:31], vcc, 1.0, v[15:16], 1.0
	v_fma_f64 v[32:33], -v[17:18], v[19:20], 1.0
	v_fma_f64 v[19:20], v[19:20], v[32:33], v[19:20]
	v_mul_f64 v[32:33], v[30:31], v[19:20]
	v_fma_f64 v[17:18], -v[17:18], v[32:33], v[30:31]
	v_div_fmas_f64 v[17:18], v[17:18], v[19:20], v[32:33]
	v_fma_f64 v[19:20], v[13:14], v[23:24], v[21:22]
	v_div_fixup_f64 v[15:16], v[17:18], v[15:16], 1.0
	v_fma_f64 v[17:18], -v[13:14], v[21:22], v[23:24]
	v_mul_f64 v[13:14], v[19:20], v[15:16]
	v_mul_f64 v[15:16], v[17:18], v[15:16]
.LBB228_90:                             ;   in Loop: Header=BB228_80 Depth=1
	s_addk_i32 s11, 0xfe80
	s_add_i32 s11, s11, s14
	v_mov_b32_e32 v17, s11
	ds_read_b128 v[17:20], v17
	s_add_i32 s6, s11, -16
	v_mov_b32_e32 v21, s6
	ds_read_b128 v[21:24], v21
	s_sub_i32 s6, s11, 32
	s_waitcnt lgkmcnt(1)
	v_mul_f64 v[30:31], v[11:12], v[19:20]
	v_mul_f64 v[19:20], v[9:10], v[19:20]
	ds_write_b128 v29, v[13:16]
	s_waitcnt lgkmcnt(1)
	v_mul_f64 v[32:33], v[15:16], v[23:24]
	v_mul_f64 v[23:24], v[13:14], v[23:24]
	v_fma_f64 v[30:31], v[9:10], v[17:18], -v[30:31]
	v_fma_f64 v[34:35], v[11:12], v[17:18], v[19:20]
	v_mov_b32_e32 v17, s6
	v_fma_f64 v[32:33], v[13:14], v[21:22], -v[32:33]
	v_fma_f64 v[23:24], v[15:16], v[21:22], v[23:24]
	ds_read_b128 v[17:20], v17
	s_mov_b64 s[6:7], -1
	v_add_f64 v[5:6], v[5:6], -v[30:31]
	v_add_f64 v[7:8], v[7:8], -v[34:35]
	s_waitcnt lgkmcnt(0)
	v_cmp_ngt_f64_e64 s[14:15], |v[17:18]|, |v[19:20]|
	v_add_f64 v[21:22], v[5:6], -v[32:33]
	v_add_f64 v[23:24], v[7:8], -v[23:24]
	s_and_b64 vcc, exec, s[14:15]
                                        ; implicit-def: $vgpr7_vgpr8
	s_cbranch_vccz .LBB228_92
; %bb.91:                               ;   in Loop: Header=BB228_80 Depth=1
	v_div_scale_f64 v[5:6], s[6:7], v[19:20], v[19:20], v[17:18]
	v_rcp_f64_e32 v[7:8], v[5:6]
	v_fma_f64 v[29:30], -v[5:6], v[7:8], 1.0
	v_fma_f64 v[7:8], v[7:8], v[29:30], v[7:8]
	v_div_scale_f64 v[29:30], vcc, v[17:18], v[19:20], v[17:18]
	v_fma_f64 v[31:32], -v[5:6], v[7:8], 1.0
	v_fma_f64 v[7:8], v[7:8], v[31:32], v[7:8]
	v_mul_f64 v[31:32], v[29:30], v[7:8]
	v_fma_f64 v[5:6], -v[5:6], v[31:32], v[29:30]
	v_div_fmas_f64 v[5:6], v[5:6], v[7:8], v[31:32]
	v_div_fixup_f64 v[5:6], v[5:6], v[19:20], v[17:18]
	v_fma_f64 v[7:8], v[17:18], v[5:6], v[19:20]
	v_div_scale_f64 v[29:30], s[6:7], v[7:8], v[7:8], 1.0
	s_mov_b64 s[6:7], 0
	v_rcp_f64_e32 v[31:32], v[29:30]
	v_fma_f64 v[33:34], -v[29:30], v[31:32], 1.0
	v_fma_f64 v[31:32], v[31:32], v[33:34], v[31:32]
	v_div_scale_f64 v[33:34], vcc, 1.0, v[7:8], 1.0
	v_fma_f64 v[35:36], -v[29:30], v[31:32], 1.0
	v_fma_f64 v[31:32], v[31:32], v[35:36], v[31:32]
	v_mul_f64 v[35:36], v[33:34], v[31:32]
	v_fma_f64 v[29:30], -v[29:30], v[35:36], v[33:34]
	v_div_fmas_f64 v[29:30], v[29:30], v[31:32], v[35:36]
	v_fma_f64 v[31:32], v[5:6], v[21:22], v[23:24]
	v_div_fixup_f64 v[7:8], v[29:30], v[7:8], 1.0
	v_fma_f64 v[29:30], v[5:6], v[23:24], -v[21:22]
	v_mul_f64 v[5:6], v[31:32], v[7:8]
	v_mul_f64 v[7:8], v[29:30], v[7:8]
.LBB228_92:                             ;   in Loop: Header=BB228_80 Depth=1
	s_andn2_b64 vcc, exec, s[6:7]
	s_cbranch_vccnz .LBB228_94
; %bb.93:                               ;   in Loop: Header=BB228_80 Depth=1
	v_div_scale_f64 v[5:6], s[6:7], v[17:18], v[17:18], v[19:20]
	v_rcp_f64_e32 v[7:8], v[5:6]
	v_fma_f64 v[29:30], -v[5:6], v[7:8], 1.0
	v_fma_f64 v[7:8], v[7:8], v[29:30], v[7:8]
	v_div_scale_f64 v[29:30], vcc, v[19:20], v[17:18], v[19:20]
	v_fma_f64 v[31:32], -v[5:6], v[7:8], 1.0
	v_fma_f64 v[7:8], v[7:8], v[31:32], v[7:8]
	v_mul_f64 v[31:32], v[29:30], v[7:8]
	v_fma_f64 v[5:6], -v[5:6], v[31:32], v[29:30]
	v_div_fmas_f64 v[5:6], v[5:6], v[7:8], v[31:32]
	v_div_fixup_f64 v[5:6], v[5:6], v[17:18], v[19:20]
	v_fma_f64 v[7:8], v[19:20], v[5:6], v[17:18]
	v_div_scale_f64 v[17:18], s[6:7], v[7:8], v[7:8], 1.0
	v_rcp_f64_e32 v[19:20], v[17:18]
	v_fma_f64 v[29:30], -v[17:18], v[19:20], 1.0
	v_fma_f64 v[19:20], v[19:20], v[29:30], v[19:20]
	v_div_scale_f64 v[29:30], vcc, 1.0, v[7:8], 1.0
	v_fma_f64 v[31:32], -v[17:18], v[19:20], 1.0
	v_fma_f64 v[19:20], v[19:20], v[31:32], v[19:20]
	v_mul_f64 v[31:32], v[29:30], v[19:20]
	v_fma_f64 v[17:18], -v[17:18], v[31:32], v[29:30]
	v_div_fmas_f64 v[17:18], v[17:18], v[19:20], v[31:32]
	v_fma_f64 v[19:20], v[5:6], v[23:24], v[21:22]
	v_div_fixup_f64 v[7:8], v[17:18], v[7:8], 1.0
	v_fma_f64 v[17:18], -v[5:6], v[21:22], v[23:24]
	v_mul_f64 v[5:6], v[19:20], v[7:8]
	v_mul_f64 v[7:8], v[17:18], v[7:8]
.LBB228_94:                             ;   in Loop: Header=BB228_80 Depth=1
	s_add_i32 s6, s11, 0xfffffe80
	v_mov_b32_e32 v17, s6
	ds_read_b128 v[17:20], v17
	s_add_i32 s6, s11, 0xfffffe70
	v_mov_b32_e32 v21, s6
	s_add_i32 s6, s11, 0xfffffe60
	v_mov_b32_e32 v29, s6
	ds_read_b128 v[29:32], v29
	s_waitcnt lgkmcnt(1)
	v_mul_f64 v[33:34], v[11:12], v[19:20]
	v_mul_f64 v[19:20], v[9:10], v[19:20]
	ds_read_b128 v[21:24], v21
	s_add_i32 s7, s11, 0xfffffe50
	ds_write_b128 v28, v[5:8]
	v_fma_f64 v[33:34], v[9:10], v[17:18], -v[33:34]
	v_mov_b32_e32 v9, s7
	v_fma_f64 v[17:18], v[11:12], v[17:18], v[19:20]
	ds_read_b128 v[9:12], v9
	s_waitcnt lgkmcnt(2)
	v_mul_f64 v[35:36], v[15:16], v[23:24]
	v_mul_f64 v[23:24], v[13:14], v[23:24]
	;; [unrolled: 1-line block ×4, first 2 shown]
	v_add_f64 v[1:2], v[1:2], -v[33:34]
	s_waitcnt lgkmcnt(0)
	v_cmp_ngt_f64_e64 s[14:15], |v[9:10]|, |v[11:12]|
	v_add_f64 v[3:4], v[3:4], -v[17:18]
	s_mov_b64 s[6:7], -1
	v_fma_f64 v[13:14], v[13:14], v[21:22], -v[35:36]
	v_fma_f64 v[15:16], v[15:16], v[21:22], v[23:24]
	v_fma_f64 v[17:18], v[5:6], v[29:30], -v[19:20]
	v_fma_f64 v[19:20], v[7:8], v[29:30], v[31:32]
	s_and_b64 vcc, exec, s[14:15]
	v_add_f64 v[1:2], v[1:2], -v[13:14]
	v_add_f64 v[3:4], v[3:4], -v[15:16]
	;; [unrolled: 1-line block ×4, first 2 shown]
                                        ; implicit-def: $vgpr3_vgpr4
	s_cbranch_vccz .LBB228_96
; %bb.95:                               ;   in Loop: Header=BB228_80 Depth=1
	v_div_scale_f64 v[1:2], s[6:7], v[11:12], v[11:12], v[9:10]
	v_rcp_f64_e32 v[3:4], v[1:2]
	v_fma_f64 v[5:6], -v[1:2], v[3:4], 1.0
	v_fma_f64 v[3:4], v[3:4], v[5:6], v[3:4]
	v_div_scale_f64 v[5:6], vcc, v[9:10], v[11:12], v[9:10]
	v_fma_f64 v[7:8], -v[1:2], v[3:4], 1.0
	v_fma_f64 v[3:4], v[3:4], v[7:8], v[3:4]
	v_mul_f64 v[7:8], v[5:6], v[3:4]
	v_fma_f64 v[1:2], -v[1:2], v[7:8], v[5:6]
	v_div_fmas_f64 v[1:2], v[1:2], v[3:4], v[7:8]
	v_div_fixup_f64 v[1:2], v[1:2], v[11:12], v[9:10]
	v_fma_f64 v[3:4], v[9:10], v[1:2], v[11:12]
	v_div_scale_f64 v[5:6], s[6:7], v[3:4], v[3:4], 1.0
	s_mov_b64 s[6:7], 0
	v_rcp_f64_e32 v[7:8], v[5:6]
	v_fma_f64 v[17:18], -v[5:6], v[7:8], 1.0
	v_fma_f64 v[7:8], v[7:8], v[17:18], v[7:8]
	v_div_scale_f64 v[17:18], vcc, 1.0, v[3:4], 1.0
	v_fma_f64 v[19:20], -v[5:6], v[7:8], 1.0
	v_fma_f64 v[7:8], v[7:8], v[19:20], v[7:8]
	v_mul_f64 v[19:20], v[17:18], v[7:8]
	v_fma_f64 v[5:6], -v[5:6], v[19:20], v[17:18]
	v_div_fmas_f64 v[5:6], v[5:6], v[7:8], v[19:20]
	v_fma_f64 v[7:8], v[1:2], v[13:14], v[15:16]
	v_div_fixup_f64 v[3:4], v[5:6], v[3:4], 1.0
	v_fma_f64 v[5:6], v[1:2], v[15:16], -v[13:14]
	v_mul_f64 v[1:2], v[7:8], v[3:4]
	v_mul_f64 v[3:4], v[5:6], v[3:4]
.LBB228_96:                             ;   in Loop: Header=BB228_80 Depth=1
	s_andn2_b64 vcc, exec, s[6:7]
	s_cbranch_vccnz .LBB228_98
; %bb.97:                               ;   in Loop: Header=BB228_80 Depth=1
	v_div_scale_f64 v[1:2], s[6:7], v[9:10], v[9:10], v[11:12]
	v_rcp_f64_e32 v[3:4], v[1:2]
	v_fma_f64 v[5:6], -v[1:2], v[3:4], 1.0
	v_fma_f64 v[3:4], v[3:4], v[5:6], v[3:4]
	v_div_scale_f64 v[5:6], vcc, v[11:12], v[9:10], v[11:12]
	v_fma_f64 v[7:8], -v[1:2], v[3:4], 1.0
	v_fma_f64 v[3:4], v[3:4], v[7:8], v[3:4]
	v_mul_f64 v[7:8], v[5:6], v[3:4]
	v_fma_f64 v[1:2], -v[1:2], v[7:8], v[5:6]
	v_div_fmas_f64 v[1:2], v[1:2], v[3:4], v[7:8]
	v_div_fixup_f64 v[1:2], v[1:2], v[9:10], v[11:12]
	v_fma_f64 v[3:4], v[11:12], v[1:2], v[9:10]
	v_div_scale_f64 v[5:6], s[6:7], v[3:4], v[3:4], 1.0
	v_rcp_f64_e32 v[7:8], v[5:6]
	v_fma_f64 v[9:10], -v[5:6], v[7:8], 1.0
	v_fma_f64 v[7:8], v[7:8], v[9:10], v[7:8]
	v_div_scale_f64 v[9:10], vcc, 1.0, v[3:4], 1.0
	v_fma_f64 v[11:12], -v[5:6], v[7:8], 1.0
	v_fma_f64 v[7:8], v[7:8], v[11:12], v[7:8]
	v_mul_f64 v[11:12], v[9:10], v[7:8]
	v_fma_f64 v[5:6], -v[5:6], v[11:12], v[9:10]
	v_div_fmas_f64 v[5:6], v[5:6], v[7:8], v[11:12]
	v_fma_f64 v[7:8], v[1:2], v[15:16], v[13:14]
	v_div_fixup_f64 v[3:4], v[5:6], v[3:4], 1.0
	v_fma_f64 v[5:6], -v[1:2], v[13:14], v[15:16]
	v_mul_f64 v[1:2], v[7:8], v[3:4]
	v_mul_f64 v[3:4], v[5:6], v[3:4]
.LBB228_98:                             ;   in Loop: Header=BB228_80 Depth=1
	s_add_i32 s11, s10, -4
	s_addk_i32 s9, 0xfa00
	s_cmp_lt_i32 s10, 7
	ds_write_b128 v27, v[1:4]
	s_cbranch_scc1 .LBB228_100
; %bb.99:                               ;   in Loop: Header=BB228_80 Depth=1
	s_mov_b32 s10, s11
	s_branch .LBB228_80
.LBB228_100:
	s_cmp_lt_i32 s11, 0
	s_cbranch_scc1 .LBB228_109
; %bb.101:
	s_mul_i32 s6, s11, 0x180
	s_lshl_b32 s7, s25, 4
	v_lshl_add_u32 v1, v0, 4, s8
	s_add_i32 s6, s6, s7
	v_add_u32_e32 v13, 0x2280, v1
	s_add_i32 s8, s6, -16
	s_branch .LBB228_103
.LBB228_102:                            ;   in Loop: Header=BB228_103 Depth=1
	v_sub_co_u32_e64 v1, s[6:7], s11, 1
	v_readfirstlane_b32 s11, v1
	s_addk_i32 s8, 0xfe80
	s_and_b64 vcc, exec, s[6:7]
	ds_write_b128 v14, v[9:12]
	s_cbranch_vccnz .LBB228_109
.LBB228_103:                            ; =>This Loop Header: Depth=1
                                        ;     Child Loop BB228_104 Depth 2
	s_mul_i32 s6, s11, 0x180
	v_add_u32_e32 v14, s6, v25
	ds_read_b128 v[1:4], v14
	s_cmp_le_i32 s13, s11
	s_mov_b32 s6, s8
	v_mov_b32_e32 v5, v13
	s_mov_b32 s7, s13
	s_cbranch_scc1 .LBB228_105
.LBB228_104:                            ;   Parent Loop BB228_103 Depth=1
                                        ; =>  This Inner Loop Header: Depth=2
	v_mov_b32_e32 v10, s6
	ds_read_b128 v[6:9], v5
	ds_read_b128 v[15:18], v10
	s_add_i32 s7, s7, -1
	s_add_i32 s6, s6, -16
	s_cmp_le_u32 s7, s11
	v_add_u32_e32 v5, 0xfffffe80, v5
	s_waitcnt lgkmcnt(0)
	v_mul_f64 v[10:11], v[17:18], v[8:9]
	v_mul_f64 v[8:9], v[15:16], v[8:9]
	v_fma_f64 v[10:11], v[15:16], v[6:7], -v[10:11]
	v_fma_f64 v[6:7], v[17:18], v[6:7], v[8:9]
	v_add_f64 v[1:2], v[1:2], -v[10:11]
	v_add_f64 v[3:4], v[3:4], -v[6:7]
	s_cbranch_scc0 .LBB228_104
.LBB228_105:                            ;   in Loop: Header=BB228_103 Depth=1
	s_mul_i32 s6, s11, 0x190
	v_mov_b32_e32 v5, s6
	ds_read_b128 v[5:8], v5
	s_mov_b64 s[6:7], -1
                                        ; implicit-def: $vgpr9_vgpr10
	s_waitcnt lgkmcnt(0)
	v_cmp_ngt_f64_e64 s[14:15], |v[5:6]|, |v[7:8]|
	s_and_b64 vcc, exec, s[14:15]
	s_cbranch_vccz .LBB228_107
; %bb.106:                              ;   in Loop: Header=BB228_103 Depth=1
	v_div_scale_f64 v[9:10], s[6:7], v[7:8], v[7:8], v[5:6]
	v_rcp_f64_e32 v[11:12], v[9:10]
	v_fma_f64 v[15:16], -v[9:10], v[11:12], 1.0
	v_fma_f64 v[11:12], v[11:12], v[15:16], v[11:12]
	v_div_scale_f64 v[15:16], vcc, v[5:6], v[7:8], v[5:6]
	v_fma_f64 v[17:18], -v[9:10], v[11:12], 1.0
	v_fma_f64 v[11:12], v[11:12], v[17:18], v[11:12]
	v_mul_f64 v[17:18], v[15:16], v[11:12]
	v_fma_f64 v[9:10], -v[9:10], v[17:18], v[15:16]
	v_div_fmas_f64 v[9:10], v[9:10], v[11:12], v[17:18]
	v_div_fixup_f64 v[9:10], v[9:10], v[7:8], v[5:6]
	v_fma_f64 v[11:12], v[5:6], v[9:10], v[7:8]
	v_div_scale_f64 v[15:16], s[6:7], v[11:12], v[11:12], 1.0
	s_mov_b64 s[6:7], 0
	v_rcp_f64_e32 v[17:18], v[15:16]
	v_fma_f64 v[19:20], -v[15:16], v[17:18], 1.0
	v_fma_f64 v[17:18], v[17:18], v[19:20], v[17:18]
	v_div_scale_f64 v[19:20], vcc, 1.0, v[11:12], 1.0
	v_fma_f64 v[21:22], -v[15:16], v[17:18], 1.0
	v_fma_f64 v[17:18], v[17:18], v[21:22], v[17:18]
	v_mul_f64 v[21:22], v[19:20], v[17:18]
	v_fma_f64 v[15:16], -v[15:16], v[21:22], v[19:20]
	v_div_fmas_f64 v[15:16], v[15:16], v[17:18], v[21:22]
	v_fma_f64 v[17:18], v[1:2], v[9:10], v[3:4]
	v_div_fixup_f64 v[11:12], v[15:16], v[11:12], 1.0
	v_fma_f64 v[15:16], v[3:4], v[9:10], -v[1:2]
	v_mul_f64 v[9:10], v[17:18], v[11:12]
	v_mul_f64 v[11:12], v[15:16], v[11:12]
.LBB228_107:                            ;   in Loop: Header=BB228_103 Depth=1
	s_andn2_b64 vcc, exec, s[6:7]
	s_cbranch_vccnz .LBB228_102
; %bb.108:                              ;   in Loop: Header=BB228_103 Depth=1
	v_div_scale_f64 v[9:10], s[6:7], v[5:6], v[5:6], v[7:8]
	v_rcp_f64_e32 v[11:12], v[9:10]
	v_fma_f64 v[15:16], -v[9:10], v[11:12], 1.0
	v_fma_f64 v[11:12], v[11:12], v[15:16], v[11:12]
	v_div_scale_f64 v[15:16], vcc, v[7:8], v[5:6], v[7:8]
	v_fma_f64 v[17:18], -v[9:10], v[11:12], 1.0
	v_fma_f64 v[11:12], v[11:12], v[17:18], v[11:12]
	v_mul_f64 v[17:18], v[15:16], v[11:12]
	v_fma_f64 v[9:10], -v[9:10], v[17:18], v[15:16]
	v_div_fmas_f64 v[9:10], v[9:10], v[11:12], v[17:18]
	v_div_fixup_f64 v[9:10], v[9:10], v[5:6], v[7:8]
	v_fma_f64 v[5:6], v[7:8], v[9:10], v[5:6]
	v_div_scale_f64 v[7:8], s[6:7], v[5:6], v[5:6], 1.0
	v_rcp_f64_e32 v[11:12], v[7:8]
	v_fma_f64 v[15:16], -v[7:8], v[11:12], 1.0
	v_fma_f64 v[11:12], v[11:12], v[15:16], v[11:12]
	v_div_scale_f64 v[15:16], vcc, 1.0, v[5:6], 1.0
	v_fma_f64 v[17:18], -v[7:8], v[11:12], 1.0
	v_fma_f64 v[11:12], v[11:12], v[17:18], v[11:12]
	v_mul_f64 v[17:18], v[15:16], v[11:12]
	v_fma_f64 v[7:8], -v[7:8], v[17:18], v[15:16]
	v_div_fmas_f64 v[7:8], v[7:8], v[11:12], v[17:18]
	v_fma_f64 v[11:12], v[3:4], v[9:10], v[1:2]
	v_fma_f64 v[1:2], -v[1:2], v[9:10], v[3:4]
	v_div_fixup_f64 v[5:6], v[7:8], v[5:6], 1.0
	v_mul_f64 v[9:10], v[11:12], v[5:6]
	v_mul_f64 v[11:12], v[1:2], v[5:6]
	s_branch .LBB228_102
.LBB228_109:
	s_mov_b64 s[10:11], 0
.LBB228_110:
	s_andn2_b64 vcc, exec, s[10:11]
	s_cbranch_vccnz .LBB228_142
; %bb.111:
	v_mov_b32_e32 v1, 0x2400
	v_lshl_or_b32 v25, v0, 4, v1
	s_cmp_lt_i32 s24, 4
	s_mov_b32 s10, 0
	s_cbranch_scc1 .LBB228_133
; %bb.112:
	s_mov_b32 s8, 0
	s_mov_b32 s9, 0
.LBB228_113:                            ; =>This Loop Header: Depth=1
                                        ;     Child Loop BB228_114 Depth 2
	s_mul_i32 s10, s9, 24
	v_lshl_add_u32 v26, s10, 4, v25
	ds_read_b128 v[17:20], v26
	ds_read_b128 v[13:16], v26 offset:384
	ds_read_b128 v[5:8], v26 offset:768
	;; [unrolled: 1-line block ×3, first 2 shown]
	s_cmp_eq_u32 s9, 0
	s_mov_b32 s6, s8
	v_mov_b32_e32 v9, v25
	s_mov_b32 s7, s9
	s_cbranch_scc1 .LBB228_115
.LBB228_114:                            ;   Parent Loop BB228_113 Depth=1
                                        ; =>  This Inner Loop Header: Depth=2
	v_mov_b32_e32 v10, s6
	ds_read_b128 v[21:24], v9
	ds_read_b128 v[27:30], v10
	ds_read_b128 v[31:34], v10 offset:384
	ds_read_b128 v[35:38], v10 offset:768
	;; [unrolled: 1-line block ×3, first 2 shown]
	s_add_i32 s7, s7, -1
	s_add_i32 s6, s6, 16
	s_cmp_eq_u32 s7, 0
	s_waitcnt lgkmcnt(3)
	v_mul_f64 v[10:11], v[23:24], v[29:30]
	v_mul_f64 v[29:30], v[21:22], v[29:30]
	s_waitcnt lgkmcnt(2)
	v_mul_f64 v[43:44], v[23:24], v[33:34]
	v_mul_f64 v[33:34], v[21:22], v[33:34]
	;; [unrolled: 3-line block ×4, first 2 shown]
	v_fma_f64 v[10:11], v[21:22], v[27:28], -v[10:11]
	v_fma_f64 v[27:28], v[23:24], v[27:28], v[29:30]
	v_fma_f64 v[29:30], v[21:22], v[31:32], -v[43:44]
	v_fma_f64 v[31:32], v[23:24], v[31:32], v[33:34]
	;; [unrolled: 2-line block ×4, first 2 shown]
	v_add_f64 v[17:18], v[17:18], -v[10:11]
	v_add_f64 v[19:20], v[19:20], -v[27:28]
	;; [unrolled: 1-line block ×8, first 2 shown]
	v_add_u32_e32 v9, 0x180, v9
	s_cbranch_scc0 .LBB228_114
.LBB228_115:                            ;   in Loop: Header=BB228_113 Depth=1
	s_mul_i32 s6, s9, 0x190
	v_mov_b32_e32 v9, s6
	ds_read_b128 v[21:24], v9
	s_mov_b64 s[6:7], -1
                                        ; implicit-def: $vgpr11_vgpr12
	s_waitcnt lgkmcnt(0)
	v_cmp_ngt_f64_e64 s[14:15], |v[21:22]|, |v[23:24]|
	s_and_b64 vcc, exec, s[14:15]
	s_cbranch_vccz .LBB228_117
; %bb.116:                              ;   in Loop: Header=BB228_113 Depth=1
	v_div_scale_f64 v[9:10], s[6:7], v[23:24], v[23:24], v[21:22]
	v_rcp_f64_e32 v[11:12], v[9:10]
	v_fma_f64 v[27:28], -v[9:10], v[11:12], 1.0
	v_fma_f64 v[11:12], v[11:12], v[27:28], v[11:12]
	v_div_scale_f64 v[27:28], vcc, v[21:22], v[23:24], v[21:22]
	v_fma_f64 v[29:30], -v[9:10], v[11:12], 1.0
	v_fma_f64 v[11:12], v[11:12], v[29:30], v[11:12]
	v_mul_f64 v[29:30], v[27:28], v[11:12]
	v_fma_f64 v[9:10], -v[9:10], v[29:30], v[27:28]
	v_div_fmas_f64 v[9:10], v[9:10], v[11:12], v[29:30]
	v_div_fixup_f64 v[9:10], v[9:10], v[23:24], v[21:22]
	v_fma_f64 v[11:12], v[21:22], v[9:10], v[23:24]
	v_div_scale_f64 v[27:28], s[6:7], v[11:12], v[11:12], 1.0
	s_mov_b64 s[6:7], 0
	v_rcp_f64_e32 v[29:30], v[27:28]
	v_fma_f64 v[31:32], -v[27:28], v[29:30], 1.0
	v_fma_f64 v[29:30], v[29:30], v[31:32], v[29:30]
	v_div_scale_f64 v[31:32], vcc, 1.0, v[11:12], 1.0
	v_fma_f64 v[33:34], -v[27:28], v[29:30], 1.0
	v_fma_f64 v[29:30], v[29:30], v[33:34], v[29:30]
	v_mul_f64 v[33:34], v[31:32], v[29:30]
	v_fma_f64 v[27:28], -v[27:28], v[33:34], v[31:32]
	v_div_fmas_f64 v[27:28], v[27:28], v[29:30], v[33:34]
	v_fma_f64 v[29:30], v[17:18], v[9:10], v[19:20]
	v_div_fixup_f64 v[11:12], v[27:28], v[11:12], 1.0
	v_fma_f64 v[27:28], v[19:20], v[9:10], -v[17:18]
	v_mul_f64 v[9:10], v[29:30], v[11:12]
	v_mul_f64 v[11:12], v[27:28], v[11:12]
.LBB228_117:                            ;   in Loop: Header=BB228_113 Depth=1
	s_andn2_b64 vcc, exec, s[6:7]
	s_cbranch_vccnz .LBB228_119
; %bb.118:                              ;   in Loop: Header=BB228_113 Depth=1
	v_div_scale_f64 v[9:10], s[6:7], v[21:22], v[21:22], v[23:24]
	v_rcp_f64_e32 v[11:12], v[9:10]
	v_fma_f64 v[27:28], -v[9:10], v[11:12], 1.0
	v_fma_f64 v[11:12], v[11:12], v[27:28], v[11:12]
	v_div_scale_f64 v[27:28], vcc, v[23:24], v[21:22], v[23:24]
	v_fma_f64 v[29:30], -v[9:10], v[11:12], 1.0
	v_fma_f64 v[11:12], v[11:12], v[29:30], v[11:12]
	v_mul_f64 v[29:30], v[27:28], v[11:12]
	v_fma_f64 v[9:10], -v[9:10], v[29:30], v[27:28]
	v_div_fmas_f64 v[9:10], v[9:10], v[11:12], v[29:30]
	v_div_fixup_f64 v[9:10], v[9:10], v[21:22], v[23:24]
	v_fma_f64 v[11:12], v[23:24], v[9:10], v[21:22]
	v_div_scale_f64 v[21:22], s[6:7], v[11:12], v[11:12], 1.0
	v_rcp_f64_e32 v[23:24], v[21:22]
	v_fma_f64 v[27:28], -v[21:22], v[23:24], 1.0
	v_fma_f64 v[23:24], v[23:24], v[27:28], v[23:24]
	v_div_scale_f64 v[27:28], vcc, 1.0, v[11:12], 1.0
	v_fma_f64 v[29:30], -v[21:22], v[23:24], 1.0
	v_fma_f64 v[23:24], v[23:24], v[29:30], v[23:24]
	v_mul_f64 v[29:30], v[27:28], v[23:24]
	v_fma_f64 v[21:22], -v[21:22], v[29:30], v[27:28]
	v_div_fmas_f64 v[21:22], v[21:22], v[23:24], v[29:30]
	v_fma_f64 v[23:24], v[19:20], v[9:10], v[17:18]
	v_fma_f64 v[17:18], -v[17:18], v[9:10], v[19:20]
	v_div_fixup_f64 v[11:12], v[21:22], v[11:12], 1.0
	v_mul_f64 v[9:10], v[23:24], v[11:12]
	v_mul_f64 v[11:12], v[17:18], v[11:12]
.LBB228_119:                            ;   in Loop: Header=BB228_113 Depth=1
	s_lshl_b32 s10, s10, 4
	s_addk_i32 s10, 0x180
	s_lshl_b32 s11, s9, 4
	s_add_i32 s6, s10, s11
	v_mov_b32_e32 v17, s6
	ds_read_b128 v[21:24], v17
	ds_read_b128 v[17:20], v17 offset:16
	s_mov_b64 s[6:7], -1
	ds_write_b128 v26, v[9:12]
	s_waitcnt lgkmcnt(2)
	v_mul_f64 v[27:28], v[11:12], v[23:24]
	v_mul_f64 v[23:24], v[9:10], v[23:24]
	s_waitcnt lgkmcnt(1)
	v_cmp_ngt_f64_e64 s[14:15], |v[17:18]|, |v[19:20]|
	v_fma_f64 v[27:28], v[9:10], v[21:22], -v[27:28]
	v_fma_f64 v[23:24], v[11:12], v[21:22], v[23:24]
	s_and_b64 vcc, exec, s[14:15]
	v_add_f64 v[21:22], v[13:14], -v[27:28]
	v_add_f64 v[23:24], v[15:16], -v[23:24]
                                        ; implicit-def: $vgpr15_vgpr16
	s_cbranch_vccz .LBB228_121
; %bb.120:                              ;   in Loop: Header=BB228_113 Depth=1
	v_div_scale_f64 v[13:14], s[6:7], v[19:20], v[19:20], v[17:18]
	v_rcp_f64_e32 v[15:16], v[13:14]
	v_fma_f64 v[27:28], -v[13:14], v[15:16], 1.0
	v_fma_f64 v[15:16], v[15:16], v[27:28], v[15:16]
	v_div_scale_f64 v[27:28], vcc, v[17:18], v[19:20], v[17:18]
	v_fma_f64 v[29:30], -v[13:14], v[15:16], 1.0
	v_fma_f64 v[15:16], v[15:16], v[29:30], v[15:16]
	v_mul_f64 v[29:30], v[27:28], v[15:16]
	v_fma_f64 v[13:14], -v[13:14], v[29:30], v[27:28]
	v_div_fmas_f64 v[13:14], v[13:14], v[15:16], v[29:30]
	v_div_fixup_f64 v[13:14], v[13:14], v[19:20], v[17:18]
	v_fma_f64 v[15:16], v[17:18], v[13:14], v[19:20]
	v_div_scale_f64 v[27:28], s[6:7], v[15:16], v[15:16], 1.0
	s_mov_b64 s[6:7], 0
	v_rcp_f64_e32 v[29:30], v[27:28]
	v_fma_f64 v[31:32], -v[27:28], v[29:30], 1.0
	v_fma_f64 v[29:30], v[29:30], v[31:32], v[29:30]
	v_div_scale_f64 v[31:32], vcc, 1.0, v[15:16], 1.0
	v_fma_f64 v[33:34], -v[27:28], v[29:30], 1.0
	v_fma_f64 v[29:30], v[29:30], v[33:34], v[29:30]
	v_mul_f64 v[33:34], v[31:32], v[29:30]
	v_fma_f64 v[27:28], -v[27:28], v[33:34], v[31:32]
	v_div_fmas_f64 v[27:28], v[27:28], v[29:30], v[33:34]
	v_fma_f64 v[29:30], v[13:14], v[21:22], v[23:24]
	v_div_fixup_f64 v[15:16], v[27:28], v[15:16], 1.0
	v_fma_f64 v[27:28], v[13:14], v[23:24], -v[21:22]
	v_mul_f64 v[13:14], v[29:30], v[15:16]
	v_mul_f64 v[15:16], v[27:28], v[15:16]
.LBB228_121:                            ;   in Loop: Header=BB228_113 Depth=1
	s_andn2_b64 vcc, exec, s[6:7]
	s_cbranch_vccnz .LBB228_123
; %bb.122:                              ;   in Loop: Header=BB228_113 Depth=1
	v_div_scale_f64 v[13:14], s[6:7], v[17:18], v[17:18], v[19:20]
	v_rcp_f64_e32 v[15:16], v[13:14]
	v_fma_f64 v[27:28], -v[13:14], v[15:16], 1.0
	v_fma_f64 v[15:16], v[15:16], v[27:28], v[15:16]
	v_div_scale_f64 v[27:28], vcc, v[19:20], v[17:18], v[19:20]
	v_fma_f64 v[29:30], -v[13:14], v[15:16], 1.0
	v_fma_f64 v[15:16], v[15:16], v[29:30], v[15:16]
	v_mul_f64 v[29:30], v[27:28], v[15:16]
	v_fma_f64 v[13:14], -v[13:14], v[29:30], v[27:28]
	v_div_fmas_f64 v[13:14], v[13:14], v[15:16], v[29:30]
	v_div_fixup_f64 v[13:14], v[13:14], v[17:18], v[19:20]
	v_fma_f64 v[15:16], v[19:20], v[13:14], v[17:18]
	v_div_scale_f64 v[17:18], s[6:7], v[15:16], v[15:16], 1.0
	v_rcp_f64_e32 v[19:20], v[17:18]
	v_fma_f64 v[27:28], -v[17:18], v[19:20], 1.0
	v_fma_f64 v[19:20], v[19:20], v[27:28], v[19:20]
	v_div_scale_f64 v[27:28], vcc, 1.0, v[15:16], 1.0
	v_fma_f64 v[29:30], -v[17:18], v[19:20], 1.0
	v_fma_f64 v[19:20], v[19:20], v[29:30], v[19:20]
	v_mul_f64 v[29:30], v[27:28], v[19:20]
	v_fma_f64 v[17:18], -v[17:18], v[29:30], v[27:28]
	v_div_fmas_f64 v[17:18], v[17:18], v[19:20], v[29:30]
	v_fma_f64 v[19:20], v[13:14], v[23:24], v[21:22]
	v_div_fixup_f64 v[15:16], v[17:18], v[15:16], 1.0
	v_fma_f64 v[17:18], -v[13:14], v[21:22], v[23:24]
	v_mul_f64 v[13:14], v[19:20], v[15:16]
	v_mul_f64 v[15:16], v[17:18], v[15:16]
.LBB228_123:                            ;   in Loop: Header=BB228_113 Depth=1
	s_addk_i32 s10, 0x180
	s_add_i32 s10, s10, s11
	v_mov_b32_e32 v33, s10
	ds_read_b128 v[17:20], v33
	ds_read_b128 v[21:24], v33 offset:16
	s_mov_b64 s[6:7], -1
	ds_write_b128 v26, v[13:16] offset:384
	s_waitcnt lgkmcnt(2)
	v_mul_f64 v[27:28], v[11:12], v[19:20]
	v_mul_f64 v[19:20], v[9:10], v[19:20]
	s_waitcnt lgkmcnt(1)
	v_mul_f64 v[29:30], v[15:16], v[23:24]
	v_mul_f64 v[23:24], v[13:14], v[23:24]
	v_fma_f64 v[27:28], v[9:10], v[17:18], -v[27:28]
	v_fma_f64 v[31:32], v[11:12], v[17:18], v[19:20]
	v_fma_f64 v[29:30], v[13:14], v[21:22], -v[29:30]
	v_fma_f64 v[21:22], v[15:16], v[21:22], v[23:24]
	ds_read_b128 v[17:20], v33 offset:32
	v_add_f64 v[5:6], v[5:6], -v[27:28]
	v_add_f64 v[7:8], v[7:8], -v[31:32]
	s_waitcnt lgkmcnt(0)
	v_cmp_ngt_f64_e64 s[14:15], |v[17:18]|, |v[19:20]|
	v_add_f64 v[5:6], v[5:6], -v[29:30]
	v_add_f64 v[7:8], v[7:8], -v[21:22]
	s_and_b64 vcc, exec, s[14:15]
                                        ; implicit-def: $vgpr23_vgpr24
	s_cbranch_vccz .LBB228_125
; %bb.124:                              ;   in Loop: Header=BB228_113 Depth=1
	v_div_scale_f64 v[21:22], s[6:7], v[19:20], v[19:20], v[17:18]
	v_rcp_f64_e32 v[23:24], v[21:22]
	v_fma_f64 v[27:28], -v[21:22], v[23:24], 1.0
	v_fma_f64 v[23:24], v[23:24], v[27:28], v[23:24]
	v_div_scale_f64 v[27:28], vcc, v[17:18], v[19:20], v[17:18]
	v_fma_f64 v[29:30], -v[21:22], v[23:24], 1.0
	v_fma_f64 v[23:24], v[23:24], v[29:30], v[23:24]
	v_mul_f64 v[29:30], v[27:28], v[23:24]
	v_fma_f64 v[21:22], -v[21:22], v[29:30], v[27:28]
	v_div_fmas_f64 v[21:22], v[21:22], v[23:24], v[29:30]
	v_div_fixup_f64 v[21:22], v[21:22], v[19:20], v[17:18]
	v_fma_f64 v[23:24], v[17:18], v[21:22], v[19:20]
	v_div_scale_f64 v[27:28], s[6:7], v[23:24], v[23:24], 1.0
	s_mov_b64 s[6:7], 0
	v_rcp_f64_e32 v[29:30], v[27:28]
	v_fma_f64 v[31:32], -v[27:28], v[29:30], 1.0
	v_fma_f64 v[29:30], v[29:30], v[31:32], v[29:30]
	v_div_scale_f64 v[31:32], vcc, 1.0, v[23:24], 1.0
	v_fma_f64 v[33:34], -v[27:28], v[29:30], 1.0
	v_fma_f64 v[29:30], v[29:30], v[33:34], v[29:30]
	v_mul_f64 v[33:34], v[31:32], v[29:30]
	v_fma_f64 v[27:28], -v[27:28], v[33:34], v[31:32]
	v_div_fmas_f64 v[27:28], v[27:28], v[29:30], v[33:34]
	v_fma_f64 v[29:30], v[21:22], v[5:6], v[7:8]
	v_div_fixup_f64 v[23:24], v[27:28], v[23:24], 1.0
	v_fma_f64 v[27:28], v[21:22], v[7:8], -v[5:6]
	v_mul_f64 v[21:22], v[29:30], v[23:24]
	v_mul_f64 v[23:24], v[27:28], v[23:24]
.LBB228_125:                            ;   in Loop: Header=BB228_113 Depth=1
	s_andn2_b64 vcc, exec, s[6:7]
	s_cbranch_vccnz .LBB228_127
; %bb.126:                              ;   in Loop: Header=BB228_113 Depth=1
	v_div_scale_f64 v[21:22], s[6:7], v[17:18], v[17:18], v[19:20]
	v_rcp_f64_e32 v[23:24], v[21:22]
	v_fma_f64 v[27:28], -v[21:22], v[23:24], 1.0
	v_fma_f64 v[23:24], v[23:24], v[27:28], v[23:24]
	v_div_scale_f64 v[27:28], vcc, v[19:20], v[17:18], v[19:20]
	v_fma_f64 v[29:30], -v[21:22], v[23:24], 1.0
	v_fma_f64 v[23:24], v[23:24], v[29:30], v[23:24]
	v_mul_f64 v[29:30], v[27:28], v[23:24]
	v_fma_f64 v[21:22], -v[21:22], v[29:30], v[27:28]
	v_div_fmas_f64 v[21:22], v[21:22], v[23:24], v[29:30]
	v_div_fixup_f64 v[21:22], v[21:22], v[17:18], v[19:20]
	v_fma_f64 v[17:18], v[19:20], v[21:22], v[17:18]
	v_div_scale_f64 v[19:20], s[6:7], v[17:18], v[17:18], 1.0
	v_rcp_f64_e32 v[23:24], v[19:20]
	v_fma_f64 v[27:28], -v[19:20], v[23:24], 1.0
	v_fma_f64 v[23:24], v[23:24], v[27:28], v[23:24]
	v_div_scale_f64 v[27:28], vcc, 1.0, v[17:18], 1.0
	v_fma_f64 v[29:30], -v[19:20], v[23:24], 1.0
	v_fma_f64 v[23:24], v[23:24], v[29:30], v[23:24]
	v_mul_f64 v[29:30], v[27:28], v[23:24]
	v_fma_f64 v[19:20], -v[19:20], v[29:30], v[27:28]
	v_div_fmas_f64 v[19:20], v[19:20], v[23:24], v[29:30]
	v_fma_f64 v[23:24], v[21:22], v[7:8], v[5:6]
	v_fma_f64 v[5:6], -v[21:22], v[5:6], v[7:8]
	v_div_fixup_f64 v[17:18], v[19:20], v[17:18], 1.0
	v_mul_f64 v[21:22], v[23:24], v[17:18]
	v_mul_f64 v[23:24], v[5:6], v[17:18]
.LBB228_127:                            ;   in Loop: Header=BB228_113 Depth=1
	v_mov_b32_e32 v35, s10
	ds_read_b128 v[5:8], v35 offset:384
	ds_read_b128 v[17:20], v35 offset:400
	;; [unrolled: 1-line block ×3, first 2 shown]
	s_mov_b64 s[6:7], -1
	ds_write_b128 v26, v[21:24] offset:768
	s_waitcnt lgkmcnt(3)
	v_mul_f64 v[31:32], v[11:12], v[7:8]
	v_mul_f64 v[7:8], v[9:10], v[7:8]
	s_waitcnt lgkmcnt(2)
	v_mul_f64 v[33:34], v[15:16], v[19:20]
	v_mul_f64 v[19:20], v[13:14], v[19:20]
	v_fma_f64 v[9:10], v[9:10], v[5:6], -v[31:32]
	v_fma_f64 v[11:12], v[11:12], v[5:6], v[7:8]
	ds_read_b128 v[5:8], v35 offset:432
	s_waitcnt lgkmcnt(2)
	v_mul_f64 v[31:32], v[23:24], v[29:30]
	v_mul_f64 v[29:30], v[21:22], v[29:30]
	v_fma_f64 v[13:14], v[13:14], v[17:18], -v[33:34]
	v_fma_f64 v[15:16], v[15:16], v[17:18], v[19:20]
	s_waitcnt lgkmcnt(0)
	v_cmp_ngt_f64_e64 s[10:11], |v[5:6]|, |v[7:8]|
	v_add_f64 v[1:2], v[1:2], -v[9:10]
	v_add_f64 v[3:4], v[3:4], -v[11:12]
	v_fma_f64 v[9:10], v[21:22], v[27:28], -v[31:32]
	v_fma_f64 v[11:12], v[23:24], v[27:28], v[29:30]
	s_and_b64 vcc, exec, s[10:11]
	v_add_f64 v[1:2], v[1:2], -v[13:14]
	v_add_f64 v[3:4], v[3:4], -v[15:16]
	;; [unrolled: 1-line block ×4, first 2 shown]
                                        ; implicit-def: $vgpr3_vgpr4
	s_cbranch_vccz .LBB228_129
; %bb.128:                              ;   in Loop: Header=BB228_113 Depth=1
	v_div_scale_f64 v[1:2], s[6:7], v[7:8], v[7:8], v[5:6]
	v_rcp_f64_e32 v[3:4], v[1:2]
	v_fma_f64 v[13:14], -v[1:2], v[3:4], 1.0
	v_fma_f64 v[3:4], v[3:4], v[13:14], v[3:4]
	v_div_scale_f64 v[13:14], vcc, v[5:6], v[7:8], v[5:6]
	v_fma_f64 v[15:16], -v[1:2], v[3:4], 1.0
	v_fma_f64 v[3:4], v[3:4], v[15:16], v[3:4]
	v_mul_f64 v[15:16], v[13:14], v[3:4]
	v_fma_f64 v[1:2], -v[1:2], v[15:16], v[13:14]
	v_div_fmas_f64 v[1:2], v[1:2], v[3:4], v[15:16]
	v_div_fixup_f64 v[1:2], v[1:2], v[7:8], v[5:6]
	v_fma_f64 v[3:4], v[5:6], v[1:2], v[7:8]
	v_div_scale_f64 v[13:14], s[6:7], v[3:4], v[3:4], 1.0
	s_mov_b64 s[6:7], 0
	v_rcp_f64_e32 v[15:16], v[13:14]
	v_fma_f64 v[17:18], -v[13:14], v[15:16], 1.0
	v_fma_f64 v[15:16], v[15:16], v[17:18], v[15:16]
	v_div_scale_f64 v[17:18], vcc, 1.0, v[3:4], 1.0
	v_fma_f64 v[19:20], -v[13:14], v[15:16], 1.0
	v_fma_f64 v[15:16], v[15:16], v[19:20], v[15:16]
	v_mul_f64 v[19:20], v[17:18], v[15:16]
	v_fma_f64 v[13:14], -v[13:14], v[19:20], v[17:18]
	v_div_fmas_f64 v[13:14], v[13:14], v[15:16], v[19:20]
	v_fma_f64 v[15:16], v[1:2], v[9:10], v[11:12]
	v_div_fixup_f64 v[3:4], v[13:14], v[3:4], 1.0
	v_fma_f64 v[13:14], v[1:2], v[11:12], -v[9:10]
	v_mul_f64 v[1:2], v[15:16], v[3:4]
	v_mul_f64 v[3:4], v[13:14], v[3:4]
.LBB228_129:                            ;   in Loop: Header=BB228_113 Depth=1
	s_andn2_b64 vcc, exec, s[6:7]
	s_cbranch_vccnz .LBB228_131
; %bb.130:                              ;   in Loop: Header=BB228_113 Depth=1
	v_div_scale_f64 v[1:2], s[6:7], v[5:6], v[5:6], v[7:8]
	v_rcp_f64_e32 v[3:4], v[1:2]
	v_fma_f64 v[13:14], -v[1:2], v[3:4], 1.0
	v_fma_f64 v[3:4], v[3:4], v[13:14], v[3:4]
	v_div_scale_f64 v[13:14], vcc, v[7:8], v[5:6], v[7:8]
	v_fma_f64 v[15:16], -v[1:2], v[3:4], 1.0
	v_fma_f64 v[3:4], v[3:4], v[15:16], v[3:4]
	v_mul_f64 v[15:16], v[13:14], v[3:4]
	v_fma_f64 v[1:2], -v[1:2], v[15:16], v[13:14]
	v_div_fmas_f64 v[1:2], v[1:2], v[3:4], v[15:16]
	v_div_fixup_f64 v[1:2], v[1:2], v[5:6], v[7:8]
	v_fma_f64 v[3:4], v[7:8], v[1:2], v[5:6]
	v_div_scale_f64 v[5:6], s[6:7], v[3:4], v[3:4], 1.0
	v_rcp_f64_e32 v[7:8], v[5:6]
	v_fma_f64 v[13:14], -v[5:6], v[7:8], 1.0
	v_fma_f64 v[7:8], v[7:8], v[13:14], v[7:8]
	v_div_scale_f64 v[13:14], vcc, 1.0, v[3:4], 1.0
	v_fma_f64 v[15:16], -v[5:6], v[7:8], 1.0
	v_fma_f64 v[7:8], v[7:8], v[15:16], v[7:8]
	v_mul_f64 v[15:16], v[13:14], v[7:8]
	v_fma_f64 v[5:6], -v[5:6], v[15:16], v[13:14]
	v_div_fmas_f64 v[5:6], v[5:6], v[7:8], v[15:16]
	v_fma_f64 v[7:8], v[1:2], v[11:12], v[9:10]
	v_div_fixup_f64 v[3:4], v[5:6], v[3:4], 1.0
	v_fma_f64 v[5:6], -v[1:2], v[9:10], v[11:12]
	v_mul_f64 v[1:2], v[7:8], v[3:4]
	v_mul_f64 v[3:4], v[5:6], v[3:4]
.LBB228_131:                            ;   in Loop: Header=BB228_113 Depth=1
	s_add_i32 s10, s9, 4
	s_add_i32 s6, s9, 7
	s_addk_i32 s8, 0x600
	s_cmp_ge_i32 s6, s25
	ds_write_b128 v26, v[1:4] offset:1152
	s_cbranch_scc1 .LBB228_133
; %bb.132:                              ;   in Loop: Header=BB228_113 Depth=1
	s_mov_b32 s9, s10
	s_branch .LBB228_113
.LBB228_133:
	s_cmp_ge_i32 s10, s25
	s_cbranch_scc1 .LBB228_142
; %bb.134:
	v_mov_b32_e32 v1, 0x2400
	v_lshl_or_b32 v13, v0, 4, v1
	s_mul_i32 s8, s10, 0x180
	s_branch .LBB228_136
.LBB228_135:                            ;   in Loop: Header=BB228_136 Depth=1
	s_add_i32 s10, s10, 1
	s_addk_i32 s8, 0x180
	s_cmp_ge_i32 s10, s25
	ds_write_b128 v14, v[9:12]
	s_cbranch_scc1 .LBB228_142
.LBB228_136:                            ; =>This Loop Header: Depth=1
                                        ;     Child Loop BB228_137 Depth 2
	s_mul_i32 s6, s10, 0x180
	v_add_u32_e32 v14, s6, v25
	ds_read_b128 v[1:4], v14
	s_cmp_eq_u32 s10, 0
	s_mov_b32 s6, s8
	v_mov_b32_e32 v5, v13
	s_mov_b32 s7, s10
	s_cbranch_scc1 .LBB228_138
.LBB228_137:                            ;   Parent Loop BB228_136 Depth=1
                                        ; =>  This Inner Loop Header: Depth=2
	v_mov_b32_e32 v10, s6
	ds_read_b128 v[6:9], v5
	ds_read_b128 v[15:18], v10
	s_add_i32 s7, s7, -1
	s_add_i32 s6, s6, 16
	s_cmp_eq_u32 s7, 0
	v_add_u32_e32 v5, 0x180, v5
	s_waitcnt lgkmcnt(0)
	v_mul_f64 v[10:11], v[17:18], v[8:9]
	v_mul_f64 v[8:9], v[15:16], v[8:9]
	v_fma_f64 v[10:11], v[15:16], v[6:7], -v[10:11]
	v_fma_f64 v[6:7], v[17:18], v[6:7], v[8:9]
	v_add_f64 v[1:2], v[1:2], -v[10:11]
	v_add_f64 v[3:4], v[3:4], -v[6:7]
	s_cbranch_scc0 .LBB228_137
.LBB228_138:                            ;   in Loop: Header=BB228_136 Depth=1
	s_mul_i32 s6, s10, 0x190
	v_mov_b32_e32 v5, s6
	ds_read_b128 v[5:8], v5
	s_mov_b64 s[6:7], -1
                                        ; implicit-def: $vgpr9_vgpr10
	s_waitcnt lgkmcnt(0)
	v_cmp_ngt_f64_e64 s[14:15], |v[5:6]|, |v[7:8]|
	s_and_b64 vcc, exec, s[14:15]
	s_cbranch_vccz .LBB228_140
; %bb.139:                              ;   in Loop: Header=BB228_136 Depth=1
	v_div_scale_f64 v[9:10], s[6:7], v[7:8], v[7:8], v[5:6]
	v_rcp_f64_e32 v[11:12], v[9:10]
	v_fma_f64 v[15:16], -v[9:10], v[11:12], 1.0
	v_fma_f64 v[11:12], v[11:12], v[15:16], v[11:12]
	v_div_scale_f64 v[15:16], vcc, v[5:6], v[7:8], v[5:6]
	v_fma_f64 v[17:18], -v[9:10], v[11:12], 1.0
	v_fma_f64 v[11:12], v[11:12], v[17:18], v[11:12]
	v_mul_f64 v[17:18], v[15:16], v[11:12]
	v_fma_f64 v[9:10], -v[9:10], v[17:18], v[15:16]
	v_div_fmas_f64 v[9:10], v[9:10], v[11:12], v[17:18]
	v_div_fixup_f64 v[9:10], v[9:10], v[7:8], v[5:6]
	v_fma_f64 v[11:12], v[5:6], v[9:10], v[7:8]
	v_div_scale_f64 v[15:16], s[6:7], v[11:12], v[11:12], 1.0
	s_mov_b64 s[6:7], 0
	v_rcp_f64_e32 v[17:18], v[15:16]
	v_fma_f64 v[19:20], -v[15:16], v[17:18], 1.0
	v_fma_f64 v[17:18], v[17:18], v[19:20], v[17:18]
	v_div_scale_f64 v[19:20], vcc, 1.0, v[11:12], 1.0
	v_fma_f64 v[21:22], -v[15:16], v[17:18], 1.0
	v_fma_f64 v[17:18], v[17:18], v[21:22], v[17:18]
	v_mul_f64 v[21:22], v[19:20], v[17:18]
	v_fma_f64 v[15:16], -v[15:16], v[21:22], v[19:20]
	v_div_fmas_f64 v[15:16], v[15:16], v[17:18], v[21:22]
	v_fma_f64 v[17:18], v[1:2], v[9:10], v[3:4]
	v_div_fixup_f64 v[11:12], v[15:16], v[11:12], 1.0
	v_fma_f64 v[15:16], v[3:4], v[9:10], -v[1:2]
	v_mul_f64 v[9:10], v[17:18], v[11:12]
	v_mul_f64 v[11:12], v[15:16], v[11:12]
.LBB228_140:                            ;   in Loop: Header=BB228_136 Depth=1
	s_andn2_b64 vcc, exec, s[6:7]
	s_cbranch_vccnz .LBB228_135
; %bb.141:                              ;   in Loop: Header=BB228_136 Depth=1
	v_div_scale_f64 v[9:10], s[6:7], v[5:6], v[5:6], v[7:8]
	v_rcp_f64_e32 v[11:12], v[9:10]
	v_fma_f64 v[15:16], -v[9:10], v[11:12], 1.0
	v_fma_f64 v[11:12], v[11:12], v[15:16], v[11:12]
	v_div_scale_f64 v[15:16], vcc, v[7:8], v[5:6], v[7:8]
	v_fma_f64 v[17:18], -v[9:10], v[11:12], 1.0
	v_fma_f64 v[11:12], v[11:12], v[17:18], v[11:12]
	v_mul_f64 v[17:18], v[15:16], v[11:12]
	v_fma_f64 v[9:10], -v[9:10], v[17:18], v[15:16]
	v_div_fmas_f64 v[9:10], v[9:10], v[11:12], v[17:18]
	v_div_fixup_f64 v[9:10], v[9:10], v[5:6], v[7:8]
	v_fma_f64 v[5:6], v[7:8], v[9:10], v[5:6]
	v_div_scale_f64 v[7:8], s[6:7], v[5:6], v[5:6], 1.0
	v_rcp_f64_e32 v[11:12], v[7:8]
	v_fma_f64 v[15:16], -v[7:8], v[11:12], 1.0
	v_fma_f64 v[11:12], v[11:12], v[15:16], v[11:12]
	v_div_scale_f64 v[15:16], vcc, 1.0, v[5:6], 1.0
	v_fma_f64 v[17:18], -v[7:8], v[11:12], 1.0
	v_fma_f64 v[11:12], v[11:12], v[17:18], v[11:12]
	v_mul_f64 v[17:18], v[15:16], v[11:12]
	v_fma_f64 v[7:8], -v[7:8], v[17:18], v[15:16]
	v_div_fmas_f64 v[7:8], v[7:8], v[11:12], v[17:18]
	v_fma_f64 v[11:12], v[3:4], v[9:10], v[1:2]
	v_fma_f64 v[1:2], -v[1:2], v[9:10], v[3:4]
	v_div_fixup_f64 v[5:6], v[7:8], v[5:6], 1.0
	v_mul_f64 v[9:10], v[11:12], v[5:6]
	v_mul_f64 v[11:12], v[1:2], v[5:6]
	s_branch .LBB228_135
.LBB228_142:
	s_and_saveexec_b64 s[6:7], s[0:1]
	s_cbranch_execz .LBB228_146
; %bb.143:
	s_cmp_lt_i32 s24, 1
	s_cbranch_scc1 .LBB228_146
; %bb.144:
	s_lshl_b64 s[0:1], s[4:5], 4
	s_add_u32 s2, s2, s0
	s_addc_u32 s3, s3, s1
	s_lshl_b64 s[0:1], s[20:21], 4
	s_add_u32 s0, s2, s0
	s_addc_u32 s1, s3, s1
	s_add_u32 s0, s0, s19
	s_addc_u32 s1, s1, s18
	s_ashr_i32 s13, s12, 31
	v_lshlrev_b32_e32 v2, 4, v0
	v_mov_b32_e32 v1, s1
	v_add_co_u32_e32 v0, vcc, s0, v2
	s_lshl_b64 s[0:1], s[12:13], 4
	v_addc_co_u32_e32 v1, vcc, 0, v1, vcc
	v_or_b32_e32 v2, 0x2400, v2
	v_mov_b32_e32 v3, s1
.LBB228_145:                            ; =>This Inner Loop Header: Depth=1
	ds_read2_b64 v[4:7], v2 offset1:1
	s_add_i32 s24, s24, -1
	v_add_u32_e32 v2, 0x180, v2
	s_cmp_lg_u32 s24, 0
	s_waitcnt lgkmcnt(0)
	global_store_dwordx4 v[0:1], v[4:7], off
	v_add_co_u32_e32 v0, vcc, s0, v0
	v_addc_co_u32_e32 v1, vcc, v1, v3, vcc
	s_cbranch_scc1 .LBB228_145
.LBB228_146:
	s_endpgm
	.section	.rodata,"a",@progbits
	.p2align	6, 0x0
	.amdhsa_kernel _ZL31rocblas_trsm_small_right_deviceI19rocblas_complex_numIdES1_PKS1_PS1_Li24EEv13rocblas_fill_18rocblas_operation_17rocblas_diagonal_iiT0_T1_lilT2_lili
		.amdhsa_group_segment_fixed_size 18432
		.amdhsa_private_segment_fixed_size 0
		.amdhsa_kernarg_size 368
		.amdhsa_user_sgpr_count 6
		.amdhsa_user_sgpr_private_segment_buffer 1
		.amdhsa_user_sgpr_dispatch_ptr 0
		.amdhsa_user_sgpr_queue_ptr 0
		.amdhsa_user_sgpr_kernarg_segment_ptr 1
		.amdhsa_user_sgpr_dispatch_id 0
		.amdhsa_user_sgpr_flat_scratch_init 0
		.amdhsa_user_sgpr_private_segment_size 0
		.amdhsa_uses_dynamic_stack 0
		.amdhsa_system_sgpr_private_segment_wavefront_offset 0
		.amdhsa_system_sgpr_workgroup_id_x 1
		.amdhsa_system_sgpr_workgroup_id_y 0
		.amdhsa_system_sgpr_workgroup_id_z 1
		.amdhsa_system_sgpr_workgroup_info 0
		.amdhsa_system_vgpr_workitem_id 0
		.amdhsa_next_free_vgpr 129
		.amdhsa_next_free_sgpr 98
		.amdhsa_reserve_vcc 1
		.amdhsa_reserve_flat_scratch 0
		.amdhsa_float_round_mode_32 0
		.amdhsa_float_round_mode_16_64 0
		.amdhsa_float_denorm_mode_32 3
		.amdhsa_float_denorm_mode_16_64 3
		.amdhsa_dx10_clamp 1
		.amdhsa_ieee_mode 1
		.amdhsa_fp16_overflow 0
		.amdhsa_exception_fp_ieee_invalid_op 0
		.amdhsa_exception_fp_denorm_src 0
		.amdhsa_exception_fp_ieee_div_zero 0
		.amdhsa_exception_fp_ieee_overflow 0
		.amdhsa_exception_fp_ieee_underflow 0
		.amdhsa_exception_fp_ieee_inexact 0
		.amdhsa_exception_int_div_zero 0
	.end_amdhsa_kernel
	.section	.text._ZL31rocblas_trsm_small_right_deviceI19rocblas_complex_numIdES1_PKS1_PS1_Li24EEv13rocblas_fill_18rocblas_operation_17rocblas_diagonal_iiT0_T1_lilT2_lili,"axG",@progbits,_ZL31rocblas_trsm_small_right_deviceI19rocblas_complex_numIdES1_PKS1_PS1_Li24EEv13rocblas_fill_18rocblas_operation_17rocblas_diagonal_iiT0_T1_lilT2_lili,comdat
.Lfunc_end228:
	.size	_ZL31rocblas_trsm_small_right_deviceI19rocblas_complex_numIdES1_PKS1_PS1_Li24EEv13rocblas_fill_18rocblas_operation_17rocblas_diagonal_iiT0_T1_lilT2_lili, .Lfunc_end228-_ZL31rocblas_trsm_small_right_deviceI19rocblas_complex_numIdES1_PKS1_PS1_Li24EEv13rocblas_fill_18rocblas_operation_17rocblas_diagonal_iiT0_T1_lilT2_lili
                                        ; -- End function
	.set _ZL31rocblas_trsm_small_right_deviceI19rocblas_complex_numIdES1_PKS1_PS1_Li24EEv13rocblas_fill_18rocblas_operation_17rocblas_diagonal_iiT0_T1_lilT2_lili.num_vgpr, 53
	.set _ZL31rocblas_trsm_small_right_deviceI19rocblas_complex_numIdES1_PKS1_PS1_Li24EEv13rocblas_fill_18rocblas_operation_17rocblas_diagonal_iiT0_T1_lilT2_lili.num_agpr, 0
	.set _ZL31rocblas_trsm_small_right_deviceI19rocblas_complex_numIdES1_PKS1_PS1_Li24EEv13rocblas_fill_18rocblas_operation_17rocblas_diagonal_iiT0_T1_lilT2_lili.numbered_sgpr, 29
	.set _ZL31rocblas_trsm_small_right_deviceI19rocblas_complex_numIdES1_PKS1_PS1_Li24EEv13rocblas_fill_18rocblas_operation_17rocblas_diagonal_iiT0_T1_lilT2_lili.num_named_barrier, 0
	.set _ZL31rocblas_trsm_small_right_deviceI19rocblas_complex_numIdES1_PKS1_PS1_Li24EEv13rocblas_fill_18rocblas_operation_17rocblas_diagonal_iiT0_T1_lilT2_lili.private_seg_size, 0
	.set _ZL31rocblas_trsm_small_right_deviceI19rocblas_complex_numIdES1_PKS1_PS1_Li24EEv13rocblas_fill_18rocblas_operation_17rocblas_diagonal_iiT0_T1_lilT2_lili.uses_vcc, 1
	.set _ZL31rocblas_trsm_small_right_deviceI19rocblas_complex_numIdES1_PKS1_PS1_Li24EEv13rocblas_fill_18rocblas_operation_17rocblas_diagonal_iiT0_T1_lilT2_lili.uses_flat_scratch, 0
	.set _ZL31rocblas_trsm_small_right_deviceI19rocblas_complex_numIdES1_PKS1_PS1_Li24EEv13rocblas_fill_18rocblas_operation_17rocblas_diagonal_iiT0_T1_lilT2_lili.has_dyn_sized_stack, 0
	.set _ZL31rocblas_trsm_small_right_deviceI19rocblas_complex_numIdES1_PKS1_PS1_Li24EEv13rocblas_fill_18rocblas_operation_17rocblas_diagonal_iiT0_T1_lilT2_lili.has_recursion, 0
	.set _ZL31rocblas_trsm_small_right_deviceI19rocblas_complex_numIdES1_PKS1_PS1_Li24EEv13rocblas_fill_18rocblas_operation_17rocblas_diagonal_iiT0_T1_lilT2_lili.has_indirect_call, 0
	.section	.AMDGPU.csdata,"",@progbits
; Kernel info:
; codeLenInByte = 14568
; TotalNumSgprs: 33
; NumVgprs: 53
; ScratchSize: 0
; MemoryBound: 0
; FloatMode: 240
; IeeeMode: 1
; LDSByteSize: 18432 bytes/workgroup (compile time only)
; SGPRBlocks: 12
; VGPRBlocks: 32
; NumSGPRsForWavesPerEU: 102
; NumVGPRsForWavesPerEU: 129
; Occupancy: 1
; WaveLimiterHint : 0
; COMPUTE_PGM_RSRC2:SCRATCH_EN: 0
; COMPUTE_PGM_RSRC2:USER_SGPR: 6
; COMPUTE_PGM_RSRC2:TRAP_HANDLER: 0
; COMPUTE_PGM_RSRC2:TGID_X_EN: 1
; COMPUTE_PGM_RSRC2:TGID_Y_EN: 0
; COMPUTE_PGM_RSRC2:TGID_Z_EN: 1
; COMPUTE_PGM_RSRC2:TIDIG_COMP_CNT: 0
	.section	.text._ZL38rocblas_trsm_small_left_device_sharedBILi28ELi28ELb0E19rocblas_complex_numIdES1_PKS1_PS1_Ev13rocblas_fill_18rocblas_operation_17rocblas_diagonal_iiT3_T4_lilT5_lili,"axG",@progbits,_ZL38rocblas_trsm_small_left_device_sharedBILi28ELi28ELb0E19rocblas_complex_numIdES1_PKS1_PS1_Ev13rocblas_fill_18rocblas_operation_17rocblas_diagonal_iiT3_T4_lilT5_lili,comdat
	.globl	_ZL38rocblas_trsm_small_left_device_sharedBILi28ELi28ELb0E19rocblas_complex_numIdES1_PKS1_PS1_Ev13rocblas_fill_18rocblas_operation_17rocblas_diagonal_iiT3_T4_lilT5_lili ; -- Begin function _ZL38rocblas_trsm_small_left_device_sharedBILi28ELi28ELb0E19rocblas_complex_numIdES1_PKS1_PS1_Ev13rocblas_fill_18rocblas_operation_17rocblas_diagonal_iiT3_T4_lilT5_lili
	.p2align	8
	.type	_ZL38rocblas_trsm_small_left_device_sharedBILi28ELi28ELb0E19rocblas_complex_numIdES1_PKS1_PS1_Ev13rocblas_fill_18rocblas_operation_17rocblas_diagonal_iiT3_T4_lilT5_lili,@function
_ZL38rocblas_trsm_small_left_device_sharedBILi28ELi28ELb0E19rocblas_complex_numIdES1_PKS1_PS1_Ev13rocblas_fill_18rocblas_operation_17rocblas_diagonal_iiT3_T4_lilT5_lili: ; @_ZL38rocblas_trsm_small_left_device_sharedBILi28ELi28ELb0E19rocblas_complex_numIdES1_PKS1_PS1_Ev13rocblas_fill_18rocblas_operation_17rocblas_diagonal_iiT3_T4_lilT5_lili
; %bb.0:
	s_add_u32 s0, s0, s8
	s_load_dwordx4 s[20:23], s[4:5], 0x4
	s_load_dwordx8 s[12:19], s[4:5], 0x18
	s_load_dwordx4 s[8:11], s[4:5], 0x40
	s_load_dwordx2 s[24:25], s[4:5], 0x50
	s_load_dword s29, s[4:5], 0x70
	s_addc_u32 s1, s1, 0
	s_waitcnt lgkmcnt(0)
	s_min_i32 s28, s22, 28
	v_cmp_gt_i32_e32 vcc, s28, v0
	s_and_saveexec_b64 s[26:27], vcc
	s_cbranch_execz .LBB229_11
; %bb.1:
	s_load_dword s30, s[4:5], 0x38
	s_mul_i32 s9, s9, s7
	s_mul_hi_u32 s33, s8, s7
	s_mul_i32 s8, s8, s7
	v_lshlrev_b32_e32 v3, 4, v0
	s_waitcnt lgkmcnt(0)
	s_ashr_i32 s31, s30, 31
	s_cmpk_eq_i32 s20, 0x71
	s_cselect_b64 vcc, -1, 0
	s_add_i32 s9, s33, s9
	s_lshl_b64 s[8:9], s[8:9], 4
	s_lshl_b64 s[18:19], s[18:19], 4
	s_add_u32 s8, s8, s18
	s_addc_u32 s9, s9, s19
	s_add_u32 s8, s16, s8
	s_addc_u32 s9, s17, s9
	v_mov_b32_e32 v1, s9
	v_add_co_u32_e64 v2, s[8:9], s8, v3
	v_addc_co_u32_e64 v4, s[8:9], 0, v1, s[8:9]
	v_add_co_u32_e64 v1, s[8:9], 8, v2
	s_lshl_b64 s[16:17], s[30:31], 4
	v_addc_co_u32_e64 v2, s[8:9], 0, v4, s[8:9]
	v_mov_b32_e32 v4, s17
	v_mov_b32_e32 v5, v3
	s_mov_b32 s17, s28
.LBB229_2:                              ; =>This Inner Loop Header: Depth=1
	global_load_dwordx4 v[6:9], v[1:2], off offset:-8
	s_add_i32 s17, s17, -1
	v_add_co_u32_e64 v1, s[8:9], s16, v1
	v_addc_co_u32_e64 v2, s[8:9], v2, v4, s[8:9]
	s_cmp_eq_u32 s17, 0
	s_waitcnt vmcnt(0)
	v_xor_b32_e32 v10, 0x80000000, v9
	v_cndmask_b32_e32 v9, v9, v10, vcc
	ds_write_b128 v5, v[6:9]
	v_add_u32_e32 v5, 0x1c0, v5
	s_cbranch_scc0 .LBB229_2
; %bb.3:
	v_mul_u32_u24_e32 v1, 0x1c0, v0
	s_cmpk_lg_i32 s21, 0x84
	v_add_u32_e32 v9, v3, v1
	s_cbranch_scc0 .LBB229_9
; %bb.4:
	ds_read_b128 v[1:4], v9
                                        ; implicit-def: $vgpr7_vgpr8
	s_waitcnt lgkmcnt(0)
	v_cmp_ngt_f64_e64 s[8:9], |v[1:2]|, |v[3:4]|
	s_and_saveexec_b64 s[16:17], s[8:9]
	s_xor_b64 s[8:9], exec, s[16:17]
	s_cbranch_execz .LBB229_6
; %bb.5:
	v_div_scale_f64 v[5:6], s[16:17], v[3:4], v[3:4], v[1:2]
	v_rcp_f64_e32 v[7:8], v[5:6]
	v_fma_f64 v[10:11], -v[5:6], v[7:8], 1.0
	v_fma_f64 v[7:8], v[7:8], v[10:11], v[7:8]
	v_div_scale_f64 v[10:11], vcc, v[1:2], v[3:4], v[1:2]
	v_fma_f64 v[12:13], -v[5:6], v[7:8], 1.0
	v_fma_f64 v[7:8], v[7:8], v[12:13], v[7:8]
	v_mul_f64 v[12:13], v[10:11], v[7:8]
	v_fma_f64 v[5:6], -v[5:6], v[12:13], v[10:11]
	v_div_fmas_f64 v[5:6], v[5:6], v[7:8], v[12:13]
	v_div_fixup_f64 v[5:6], v[5:6], v[3:4], v[1:2]
	v_fma_f64 v[1:2], v[1:2], v[5:6], v[3:4]
	v_div_scale_f64 v[3:4], s[16:17], v[1:2], v[1:2], 1.0
	v_rcp_f64_e32 v[7:8], v[3:4]
	v_fma_f64 v[10:11], -v[3:4], v[7:8], 1.0
	v_fma_f64 v[7:8], v[7:8], v[10:11], v[7:8]
	v_div_scale_f64 v[10:11], vcc, 1.0, v[1:2], 1.0
	v_fma_f64 v[12:13], -v[3:4], v[7:8], 1.0
	v_fma_f64 v[7:8], v[7:8], v[12:13], v[7:8]
	v_mul_f64 v[12:13], v[10:11], v[7:8]
	v_fma_f64 v[3:4], -v[3:4], v[12:13], v[10:11]
	v_div_fmas_f64 v[3:4], v[3:4], v[7:8], v[12:13]
	v_add_f64 v[7:8], v[5:6], 0
	v_div_fixup_f64 v[1:2], v[3:4], v[1:2], 1.0
	v_fma_f64 v[3:4], v[5:6], 0, -1.0
	v_mul_f64 v[5:6], v[7:8], v[1:2]
	v_mul_f64 v[7:8], v[3:4], v[1:2]
                                        ; implicit-def: $vgpr1_vgpr2
.LBB229_6:
	s_andn2_saveexec_b64 s[8:9], s[8:9]
	s_cbranch_execz .LBB229_8
; %bb.7:
	v_div_scale_f64 v[5:6], s[16:17], v[1:2], v[1:2], v[3:4]
	v_rcp_f64_e32 v[7:8], v[5:6]
	v_fma_f64 v[10:11], -v[5:6], v[7:8], 1.0
	v_fma_f64 v[7:8], v[7:8], v[10:11], v[7:8]
	v_div_scale_f64 v[10:11], vcc, v[3:4], v[1:2], v[3:4]
	v_fma_f64 v[12:13], -v[5:6], v[7:8], 1.0
	v_fma_f64 v[7:8], v[7:8], v[12:13], v[7:8]
	v_mul_f64 v[12:13], v[10:11], v[7:8]
	v_fma_f64 v[5:6], -v[5:6], v[12:13], v[10:11]
	v_div_fmas_f64 v[5:6], v[5:6], v[7:8], v[12:13]
	v_div_fixup_f64 v[5:6], v[5:6], v[1:2], v[3:4]
	v_fma_f64 v[1:2], v[3:4], v[5:6], v[1:2]
	v_div_scale_f64 v[3:4], s[16:17], v[1:2], v[1:2], 1.0
	v_rcp_f64_e32 v[7:8], v[3:4]
	v_fma_f64 v[10:11], -v[3:4], v[7:8], 1.0
	v_fma_f64 v[7:8], v[7:8], v[10:11], v[7:8]
	v_div_scale_f64 v[10:11], vcc, 1.0, v[1:2], 1.0
	v_fma_f64 v[12:13], -v[3:4], v[7:8], 1.0
	v_fma_f64 v[7:8], v[7:8], v[12:13], v[7:8]
	v_mul_f64 v[12:13], v[10:11], v[7:8]
	v_fma_f64 v[3:4], -v[3:4], v[12:13], v[10:11]
	v_div_fmas_f64 v[3:4], v[3:4], v[7:8], v[12:13]
	v_fma_f64 v[7:8], v[5:6], 0, 1.0
	v_div_fixup_f64 v[1:2], v[3:4], v[1:2], 1.0
	v_add_f64 v[3:4], -v[5:6], 0
	v_mul_f64 v[5:6], v[7:8], v[1:2]
	v_mul_f64 v[7:8], v[3:4], v[1:2]
.LBB229_8:
	s_or_b64 exec, exec, s[8:9]
	s_branch .LBB229_10
.LBB229_9:
	v_mov_b32_e32 v7, 0
	v_mov_b32_e32 v5, 0
	v_mov_b32_e32 v8, 0
	v_mov_b32_e32 v6, 0x3ff00000
.LBB229_10:
	ds_write_b128 v9, v[5:8]
.LBB229_11:
	s_or_b64 exec, exec, s[26:27]
	s_load_dword s21, s[4:5], 0x58
	s_load_dwordx2 s[8:9], s[4:5], 0x60
	s_add_i32 s29, s29, -1
	s_waitcnt lgkmcnt(0)
	s_ashr_i32 s26, s21, 31
	s_mul_i32 s4, s9, s7
	s_mul_hi_u32 s5, s8, s7
	s_add_i32 s9, s5, s4
	s_mul_i32 s4, s6, 0xffffffe4
	s_add_i32 s4, s23, s4
	s_cmp_ge_u32 s6, s29
	s_mul_i32 s6, s6, 28
	s_mul_i32 s8, s8, s7
	s_cselect_b32 s4, s4, 28
	s_ashr_i32 s7, s6, 31
	s_cmp_gt_i32 s22, 0
	v_cmp_gt_i32_e64 s[4:5], s4, v0
	s_cselect_b64 s[16:17], -1, 0
	s_and_b64 s[22:23], s[4:5], s[16:17]
	s_and_saveexec_b64 s[18:19], s[22:23]
	s_cbranch_execz .LBB229_14
; %bb.12:
	v_lshlrev_b32_e32 v3, 4, v0
	s_lshl_b64 s[30:31], s[6:7], 4
	s_lshl_b64 s[22:23], s[8:9], 4
	v_mov_b32_e32 v1, s31
	v_add_co_u32_e32 v4, vcc, s30, v3
	s_lshl_b64 s[30:31], s[24:25], 4
	s_add_u32 s7, s10, s30
	s_addc_u32 s27, s11, s31
	s_add_u32 s22, s7, s22
	v_addc_co_u32_e32 v5, vcc, 0, v1, vcc
	s_addc_u32 s23, s27, s23
	v_mov_b32_e32 v1, s22
	v_mov_b32_e32 v2, s23
	v_mad_u64_u32 v[1:2], s[22:23], v4, s21, v[1:2]
	v_mul_lo_u32 v4, v4, s26
	v_mul_lo_u32 v5, v5, s21
	v_add_co_u32_e32 v1, vcc, 8, v1
	v_add_u32_e32 v3, 0x3100, v3
	v_add3_u32 v2, v5, v2, v4
	v_addc_co_u32_e32 v2, vcc, 0, v2, vcc
	s_mov_b32 s7, s28
.LBB229_13:                             ; =>This Inner Loop Header: Depth=1
	global_load_dwordx4 v[4:7], v[1:2], off offset:-8
	s_add_i32 s7, s7, -1
	v_add_co_u32_e32 v1, vcc, 16, v1
	v_addc_co_u32_e32 v2, vcc, 0, v2, vcc
	s_cmp_lg_u32 s7, 0
	s_waitcnt vmcnt(0)
	v_mul_f64 v[8:9], s[14:15], v[6:7]
	v_mul_f64 v[10:11], s[12:13], v[6:7]
	v_fma_f64 v[6:7], s[12:13], v[4:5], -v[8:9]
	v_fma_f64 v[8:9], s[14:15], v[4:5], v[10:11]
	ds_write_b128 v3, v[6:9]
	v_add_u32_e32 v3, 0x1c0, v3
	s_cbranch_scc1 .LBB229_13
.LBB229_14:
	s_or_b64 exec, exec, s[18:19]
	v_mov_b32_e32 v1, 0x3100
	s_cmpk_eq_i32 s20, 0x6f
	v_lshl_add_u32 v5, v0, 4, v1
	s_mov_b64 s[12:13], -1
	s_waitcnt lgkmcnt(0)
	; wave barrier
	s_cbranch_scc1 .LBB229_36
; %bb.15:
	s_mov_b32 s13, 0
	s_mov_b32 s12, s13
	;; [unrolled: 1-line block ×3, first 2 shown]
	s_branch .LBB229_17
.LBB229_16:                             ;   in Loop: Header=BB229_17 Depth=1
	s_cmp_ge_i32 s7, s28
	s_cselect_b64 s[14:15], -1, 0
	s_add_i32 s12, s12, 1
	s_cmp_eq_u32 s12, 3
	s_cselect_b64 s[18:19], -1, 0
	s_or_b64 s[14:15], s[14:15], s[18:19]
	s_andn2_b64 vcc, exec, s[14:15]
	s_cbranch_vccz .LBB229_35
.LBB229_17:                             ; =>This Loop Header: Depth=1
                                        ;     Child Loop BB229_20 Depth 2
                                        ;       Child Loop BB229_21 Depth 3
                                        ;       Child Loop BB229_24 Depth 3
                                        ;         Child Loop BB229_25 Depth 4
                                        ;       Child Loop BB229_29 Depth 3
                                        ;         Child Loop BB229_31 Depth 4
	s_lshl_b64 s[14:15], s[12:13], 2
	s_getpc_b64 s[18:19]
	s_add_u32 s18, s18, __const._ZL38rocblas_trsm_small_left_device_sharedBILi28ELi28ELb0E19rocblas_complex_numIdES1_PKS1_PS1_Ev13rocblas_fill_18rocblas_operation_17rocblas_diagonal_iiT3_T4_lilT5_lili.step_sizes@rel32@lo+4
	s_addc_u32 s19, s19, __const._ZL38rocblas_trsm_small_left_device_sharedBILi28ELi28ELb0E19rocblas_complex_numIdES1_PKS1_PS1_Ev13rocblas_fill_18rocblas_operation_17rocblas_diagonal_iiT3_T4_lilT5_lili.step_sizes@rel32@hi+12
	s_add_u32 s14, s18, s14
	s_addc_u32 s15, s19, s15
	s_load_dword s18, s[14:15], 0x0
	s_waitcnt lgkmcnt(0)
	s_add_i32 s19, s18, -1
	s_add_i32 s14, s19, s7
	s_cmp_ge_i32 s14, s28
	s_cbranch_scc1 .LBB229_16
; %bb.18:                               ;   in Loop: Header=BB229_17 Depth=1
	s_mul_i32 s22, s7, 0x1c0
	s_max_i32 s20, s18, 1
	v_add_u32_e32 v6, s22, v5
	s_mul_i32 s23, s18, 0x1c0
	s_mul_i32 s26, s7, 0x1d0
	;; [unrolled: 1-line block ×3, first 2 shown]
	s_branch .LBB229_20
.LBB229_19:                             ;   in Loop: Header=BB229_20 Depth=2
	s_add_i32 s7, s7, s18
	s_add_i32 s14, s19, s7
	;; [unrolled: 1-line block ×4, first 2 shown]
	s_cmp_ge_i32 s14, s28
	v_add_u32_e32 v6, s23, v6
	s_cbranch_scc1 .LBB229_16
.LBB229_20:                             ;   Parent Loop BB229_17 Depth=1
                                        ; =>  This Loop Header: Depth=2
                                        ;       Child Loop BB229_21 Depth 3
                                        ;       Child Loop BB229_24 Depth 3
                                        ;         Child Loop BB229_25 Depth 4
                                        ;       Child Loop BB229_29 Depth 3
                                        ;         Child Loop BB229_31 Depth 4
	s_mov_b32 s14, 0
	v_mov_b32_e32 v1, v6
	s_mov_b32 s15, s20
.LBB229_21:                             ;   Parent Loop BB229_17 Depth=1
                                        ;     Parent Loop BB229_20 Depth=2
                                        ; =>    This Inner Loop Header: Depth=3
	ds_read_b128 v[7:10], v1
	v_mov_b32_e32 v2, s14
	s_add_i32 s15, s15, -1
	s_add_i32 s14, s14, 16
	v_add_u32_e32 v1, 0x1c0, v1
	s_cmp_eq_u32 s15, 0
	s_waitcnt lgkmcnt(0)
	buffer_store_dword v10, v2, s[0:3], 0 offen offset:12
	buffer_store_dword v9, v2, s[0:3], 0 offen offset:8
	;; [unrolled: 1-line block ×3, first 2 shown]
	buffer_store_dword v7, v2, s[0:3], 0 offen
	s_cbranch_scc0 .LBB229_21
; %bb.22:                               ;   in Loop: Header=BB229_20 Depth=2
	s_cmp_lt_i32 s7, 1
	s_cbranch_scc1 .LBB229_27
; %bb.23:                               ;   in Loop: Header=BB229_20 Depth=2
	s_mov_b32 s14, 0
	s_mov_b32 s15, s22
.LBB229_24:                             ;   Parent Loop BB229_17 Depth=1
                                        ;     Parent Loop BB229_20 Depth=2
                                        ; =>    This Loop Header: Depth=3
                                        ;         Child Loop BB229_25 Depth 4
	s_mul_i32 s29, s14, 0x1c0
	v_add_u32_e32 v1, s29, v5
	ds_read_b128 v[1:4], v1
	s_mov_b32 s29, 0
	s_mov_b32 s30, s15
	;; [unrolled: 1-line block ×3, first 2 shown]
.LBB229_25:                             ;   Parent Loop BB229_17 Depth=1
                                        ;     Parent Loop BB229_20 Depth=2
                                        ;       Parent Loop BB229_24 Depth=3
                                        ; =>      This Inner Loop Header: Depth=4
	v_mov_b32_e32 v17, s29
	buffer_load_dword v11, v17, s[0:3], 0 offen
	buffer_load_dword v12, v17, s[0:3], 0 offen offset:4
	buffer_load_dword v13, v17, s[0:3], 0 offen offset:8
	;; [unrolled: 1-line block ×3, first 2 shown]
	v_mov_b32_e32 v7, s30
	ds_read_b128 v[7:10], v7
	s_add_i32 s31, s31, -1
	s_addk_i32 s30, 0x1c0
	s_add_i32 s29, s29, 16
	s_cmp_eq_u32 s31, 0
	s_waitcnt lgkmcnt(0)
	v_mul_f64 v[15:16], v[3:4], v[9:10]
	v_mul_f64 v[9:10], v[1:2], v[9:10]
	v_fma_f64 v[15:16], v[1:2], v[7:8], -v[15:16]
	v_fma_f64 v[7:8], v[3:4], v[7:8], v[9:10]
	s_waitcnt vmcnt(2)
	v_add_f64 v[9:10], v[11:12], -v[15:16]
	s_waitcnt vmcnt(0)
	v_add_f64 v[7:8], v[13:14], -v[7:8]
	buffer_store_dword v9, v17, s[0:3], 0 offen
	buffer_store_dword v10, v17, s[0:3], 0 offen offset:4
	buffer_store_dword v7, v17, s[0:3], 0 offen offset:8
	;; [unrolled: 1-line block ×3, first 2 shown]
	s_cbranch_scc0 .LBB229_25
; %bb.26:                               ;   in Loop: Header=BB229_24 Depth=3
	s_add_i32 s14, s14, 1
	s_add_i32 s15, s15, 16
	s_cmp_eq_u32 s14, s7
	s_cbranch_scc0 .LBB229_24
.LBB229_27:                             ;   in Loop: Header=BB229_20 Depth=2
	s_mul_i32 s29, s7, 0x1c0
	s_mov_b32 s30, 0
	s_mov_b32 s31, s26
	s_branch .LBB229_29
.LBB229_28:                             ;   in Loop: Header=BB229_29 Depth=3
	s_mul_i32 s14, s34, 0x1d0
	v_mov_b32_e32 v7, s14
	ds_read_b128 v[7:10], v7
	s_lshl_b32 s14, s30, 4
	s_add_i32 s30, s30, 1
	s_addk_i32 s31, 0x1c0
	s_cmp_eq_u32 s30, s20
	s_waitcnt vmcnt(0) lgkmcnt(0)
	v_mul_f64 v[11:12], v[9:10], v[3:4]
	v_mul_f64 v[3:4], v[7:8], v[3:4]
	v_fma_f64 v[7:8], v[7:8], v[1:2], -v[11:12]
	v_fma_f64 v[9:10], v[9:10], v[1:2], v[3:4]
	v_add_u32_e32 v1, s33, v5
	v_mov_b32_e32 v2, s14
	buffer_store_dword v8, v2, s[0:3], 0 offen offset:4
	buffer_store_dword v7, v2, s[0:3], 0 offen
	buffer_store_dword v10, v2, s[0:3], 0 offen offset:12
	buffer_store_dword v9, v2, s[0:3], 0 offen offset:8
	ds_write_b128 v1, v[7:10]
	s_cbranch_scc1 .LBB229_19
.LBB229_29:                             ;   Parent Loop BB229_17 Depth=1
                                        ;     Parent Loop BB229_20 Depth=2
                                        ; =>    This Loop Header: Depth=3
                                        ;         Child Loop BB229_31 Depth 4
	s_cmp_lg_u32 s30, 0
	s_cbranch_scc0 .LBB229_33
; %bb.30:                               ;   in Loop: Header=BB229_29 Depth=3
	s_lshl_b32 s14, s30, 4
	v_mov_b32_e32 v7, s14
	buffer_load_dword v1, v7, s[0:3], 0 offen
	buffer_load_dword v2, v7, s[0:3], 0 offen offset:4
	buffer_load_dword v3, v7, s[0:3], 0 offen offset:8
	;; [unrolled: 1-line block ×3, first 2 shown]
	s_add_i32 s34, s30, s7
	s_mul_i32 s33, s34, 0x1c0
	s_mov_b32 s14, 0
	s_mov_b32 s15, s31
	;; [unrolled: 1-line block ×3, first 2 shown]
.LBB229_31:                             ;   Parent Loop BB229_17 Depth=1
                                        ;     Parent Loop BB229_20 Depth=2
                                        ;       Parent Loop BB229_29 Depth=3
                                        ; =>      This Inner Loop Header: Depth=4
	v_mov_b32_e32 v8, s14
	buffer_load_dword v12, v8, s[0:3], 0 offen offset:8
	buffer_load_dword v13, v8, s[0:3], 0 offen offset:12
	buffer_load_dword v14, v8, s[0:3], 0 offen
	buffer_load_dword v15, v8, s[0:3], 0 offen offset:4
	v_mov_b32_e32 v8, s15
	ds_read_b128 v[8:11], v8
	s_add_i32 s35, s35, -1
	s_add_i32 s14, s14, 16
	s_add_i32 s15, s15, 16
	s_cmp_eq_u32 s35, 0
	s_waitcnt vmcnt(2) lgkmcnt(0)
	v_mul_f64 v[16:17], v[10:11], v[12:13]
	v_mul_f64 v[12:13], v[8:9], v[12:13]
	s_waitcnt vmcnt(0)
	v_fma_f64 v[8:9], v[8:9], v[14:15], -v[16:17]
	v_fma_f64 v[10:11], v[10:11], v[14:15], v[12:13]
	v_add_f64 v[1:2], v[1:2], -v[8:9]
	v_add_f64 v[3:4], v[3:4], -v[10:11]
	buffer_store_dword v1, v7, s[0:3], 0 offen
	buffer_store_dword v2, v7, s[0:3], 0 offen offset:4
	buffer_store_dword v3, v7, s[0:3], 0 offen offset:8
	;; [unrolled: 1-line block ×3, first 2 shown]
	s_cbranch_scc0 .LBB229_31
; %bb.32:                               ;   in Loop: Header=BB229_29 Depth=3
	s_branch .LBB229_28
.LBB229_33:                             ;   in Loop: Header=BB229_29 Depth=3
                                        ; implicit-def: $vgpr1_vgpr2
                                        ; implicit-def: $vgpr3_vgpr4
                                        ; implicit-def: $sgpr34
                                        ; implicit-def: $sgpr33
	s_cbranch_execz .LBB229_28
; %bb.34:                               ;   in Loop: Header=BB229_29 Depth=3
	buffer_load_dword v1, off, s[0:3], 0
	buffer_load_dword v2, off, s[0:3], 0 offset:4
	buffer_load_dword v3, off, s[0:3], 0 offset:8
	;; [unrolled: 1-line block ×3, first 2 shown]
	s_mov_b32 s33, s29
	s_mov_b32 s34, s7
	s_branch .LBB229_28
.LBB229_35:
	s_mov_b64 s[12:13], 0
.LBB229_36:
	s_and_b64 vcc, exec, s[12:13]
	s_cbranch_vccz .LBB229_56
; %bb.37:
	s_add_i32 s7, s28, -1
	v_mov_b32_e32 v1, 0x3100
	s_mul_i32 s18, s28, 0x1c0
	s_mov_b32 s13, 0
	v_lshl_add_u32 v6, v0, 4, v1
	s_addk_i32 s18, 0xfe40
	s_mov_b32 s12, s13
	s_mov_b32 s19, s7
	s_branch .LBB229_39
.LBB229_38:                             ;   in Loop: Header=BB229_39 Depth=1
	s_cmp_lt_i32 s19, 0
	s_cselect_b64 s[14:15], -1, 0
	s_add_i32 s12, s12, 1
	s_cmp_eq_u32 s12, 3
	s_cselect_b64 s[22:23], -1, 0
	s_or_b64 s[14:15], s[14:15], s[22:23]
	s_and_b64 vcc, exec, s[14:15]
	s_cbranch_vccnz .LBB229_56
.LBB229_39:                             ; =>This Loop Header: Depth=1
                                        ;     Child Loop BB229_42 Depth 2
                                        ;       Child Loop BB229_43 Depth 3
                                        ;       Child Loop BB229_45 Depth 3
                                        ;         Child Loop BB229_46 Depth 4
                                        ;       Child Loop BB229_50 Depth 3
                                        ;         Child Loop BB229_52 Depth 4
	s_lshl_b64 s[14:15], s[12:13], 2
	s_getpc_b64 s[22:23]
	s_add_u32 s22, s22, __const._ZL38rocblas_trsm_small_left_device_sharedBILi28ELi28ELb0E19rocblas_complex_numIdES1_PKS1_PS1_Ev13rocblas_fill_18rocblas_operation_17rocblas_diagonal_iiT3_T4_lilT5_lili.step_sizes@rel32@lo+4
	s_addc_u32 s23, s23, __const._ZL38rocblas_trsm_small_left_device_sharedBILi28ELi28ELb0E19rocblas_complex_numIdES1_PKS1_PS1_Ev13rocblas_fill_18rocblas_operation_17rocblas_diagonal_iiT3_T4_lilT5_lili.step_sizes@rel32@hi+12
	s_add_u32 s14, s22, s14
	s_addc_u32 s15, s23, s15
	s_load_dword s20, s[14:15], 0x0
	s_waitcnt lgkmcnt(0)
	s_add_i32 s22, s20, -1
	s_cmp_lt_i32 s19, s22
	s_cbranch_scc1 .LBB229_38
; %bb.40:                               ;   in Loop: Header=BB229_39 Depth=1
	s_mul_i32 s14, s19, 0x1c0
	v_add_u32_e32 v7, s14, v6
	s_lshl_b32 s14, s19, 4
	s_add_i32 s27, s18, s14
	s_lshl_b32 s14, s20, 4
	s_max_i32 s23, s20, 1
	s_mul_i32 s26, s20, 0xfffffe40
	s_sub_i32 s29, 0, s14
	s_mul_i32 s30, s19, 0x1d0
	s_mul_i32 s31, s20, 0xfffffe30
	s_branch .LBB229_42
.LBB229_41:                             ;   in Loop: Header=BB229_42 Depth=2
	s_sub_i32 s19, s19, s20
	s_add_i32 s27, s27, s29
	s_add_i32 s30, s30, s31
	s_cmp_lt_i32 s19, s22
	v_add_u32_e32 v7, s26, v7
	s_cbranch_scc1 .LBB229_38
.LBB229_42:                             ;   Parent Loop BB229_39 Depth=1
                                        ; =>  This Loop Header: Depth=2
                                        ;       Child Loop BB229_43 Depth 3
                                        ;       Child Loop BB229_45 Depth 3
                                        ;         Child Loop BB229_46 Depth 4
                                        ;       Child Loop BB229_50 Depth 3
                                        ;         Child Loop BB229_52 Depth 4
	s_mov_b32 s14, 0
	v_mov_b32_e32 v1, v7
	s_mov_b32 s15, s23
.LBB229_43:                             ;   Parent Loop BB229_39 Depth=1
                                        ;     Parent Loop BB229_42 Depth=2
                                        ; =>    This Inner Loop Header: Depth=3
	ds_read_b128 v[8:11], v1
	v_mov_b32_e32 v2, s14
	s_add_i32 s15, s15, -1
	s_add_i32 s14, s14, 16
	v_add_u32_e32 v1, 0xfffffe40, v1
	s_cmp_eq_u32 s15, 0
	s_waitcnt lgkmcnt(0)
	buffer_store_dword v11, v2, s[0:3], 0 offen offset:12
	buffer_store_dword v10, v2, s[0:3], 0 offen offset:8
	;; [unrolled: 1-line block ×3, first 2 shown]
	buffer_store_dword v8, v2, s[0:3], 0 offen
	s_cbranch_scc0 .LBB229_43
; %bb.44:                               ;   in Loop: Header=BB229_42 Depth=2
	s_cmp_le_i32 s7, s19
	s_mov_b32 s14, s27
	s_mov_b32 s15, s7
	s_cbranch_scc1 .LBB229_48
.LBB229_45:                             ;   Parent Loop BB229_39 Depth=1
                                        ;     Parent Loop BB229_42 Depth=2
                                        ; =>    This Loop Header: Depth=3
                                        ;         Child Loop BB229_46 Depth 4
	s_mul_i32 s33, s15, 0x1c0
	v_add_u32_e32 v1, s33, v5
	ds_read_b128 v[1:4], v1
	s_mov_b32 s33, 0
	s_mov_b32 s34, s14
	;; [unrolled: 1-line block ×3, first 2 shown]
.LBB229_46:                             ;   Parent Loop BB229_39 Depth=1
                                        ;     Parent Loop BB229_42 Depth=2
                                        ;       Parent Loop BB229_45 Depth=3
                                        ; =>      This Inner Loop Header: Depth=4
	v_mov_b32_e32 v18, s33
	buffer_load_dword v12, v18, s[0:3], 0 offen
	buffer_load_dword v13, v18, s[0:3], 0 offen offset:4
	buffer_load_dword v14, v18, s[0:3], 0 offen offset:8
	;; [unrolled: 1-line block ×3, first 2 shown]
	v_mov_b32_e32 v8, s34
	ds_read_b128 v[8:11], v8
	s_add_i32 s35, s35, -1
	s_add_i32 s34, s34, -16
	s_add_i32 s33, s33, 16
	s_cmp_eq_u32 s35, 0
	s_waitcnt lgkmcnt(0)
	v_mul_f64 v[16:17], v[3:4], v[10:11]
	v_mul_f64 v[10:11], v[1:2], v[10:11]
	v_fma_f64 v[16:17], v[1:2], v[8:9], -v[16:17]
	v_fma_f64 v[8:9], v[3:4], v[8:9], v[10:11]
	s_waitcnt vmcnt(2)
	v_add_f64 v[10:11], v[12:13], -v[16:17]
	s_waitcnt vmcnt(0)
	v_add_f64 v[8:9], v[14:15], -v[8:9]
	buffer_store_dword v10, v18, s[0:3], 0 offen
	buffer_store_dword v11, v18, s[0:3], 0 offen offset:4
	buffer_store_dword v8, v18, s[0:3], 0 offen offset:8
	;; [unrolled: 1-line block ×3, first 2 shown]
	s_cbranch_scc0 .LBB229_46
; %bb.47:                               ;   in Loop: Header=BB229_45 Depth=3
	s_add_i32 s15, s15, -1
	s_addk_i32 s14, 0xfe40
	s_cmp_le_i32 s15, s19
	s_cbranch_scc0 .LBB229_45
.LBB229_48:                             ;   in Loop: Header=BB229_42 Depth=2
	s_mov_b32 s33, 0
	s_mov_b32 s34, s30
	s_branch .LBB229_50
.LBB229_49:                             ;   in Loop: Header=BB229_50 Depth=3
	s_mul_i32 s14, s35, 0x1d0
	v_mov_b32_e32 v8, s14
	ds_read_b128 v[8:11], v8
	s_lshl_b32 s14, s33, 4
	s_mul_i32 s15, s35, 0x1c0
	s_add_i32 s33, s33, 1
	s_add_i32 s34, s34, -16
	s_waitcnt vmcnt(0) lgkmcnt(0)
	v_mul_f64 v[12:13], v[10:11], v[3:4]
	v_mul_f64 v[3:4], v[8:9], v[3:4]
	s_cmp_eq_u32 s33, s23
	v_fma_f64 v[8:9], v[8:9], v[1:2], -v[12:13]
	v_fma_f64 v[10:11], v[10:11], v[1:2], v[3:4]
	v_mov_b32_e32 v1, s14
	v_add_u32_e32 v2, s15, v5
	buffer_store_dword v9, v1, s[0:3], 0 offen offset:4
	buffer_store_dword v8, v1, s[0:3], 0 offen
	buffer_store_dword v11, v1, s[0:3], 0 offen offset:12
	buffer_store_dword v10, v1, s[0:3], 0 offen offset:8
	ds_write_b128 v2, v[8:11]
	s_cbranch_scc1 .LBB229_41
.LBB229_50:                             ;   Parent Loop BB229_39 Depth=1
                                        ;     Parent Loop BB229_42 Depth=2
                                        ; =>    This Loop Header: Depth=3
                                        ;         Child Loop BB229_52 Depth 4
	s_cmp_lg_u32 s33, 0
	s_cbranch_scc0 .LBB229_54
; %bb.51:                               ;   in Loop: Header=BB229_50 Depth=3
	s_lshl_b32 s14, s33, 4
	v_mov_b32_e32 v8, s14
	buffer_load_dword v1, v8, s[0:3], 0 offen
	buffer_load_dword v2, v8, s[0:3], 0 offen offset:4
	buffer_load_dword v3, v8, s[0:3], 0 offen offset:8
	;; [unrolled: 1-line block ×3, first 2 shown]
	s_sub_i32 s35, s19, s33
	s_mov_b32 s14, 0
	s_mov_b32 s15, s34
	;; [unrolled: 1-line block ×3, first 2 shown]
.LBB229_52:                             ;   Parent Loop BB229_39 Depth=1
                                        ;     Parent Loop BB229_42 Depth=2
                                        ;       Parent Loop BB229_50 Depth=3
                                        ; =>      This Inner Loop Header: Depth=4
	v_mov_b32_e32 v9, s14
	buffer_load_dword v13, v9, s[0:3], 0 offen offset:8
	buffer_load_dword v14, v9, s[0:3], 0 offen offset:12
	buffer_load_dword v15, v9, s[0:3], 0 offen
	buffer_load_dword v16, v9, s[0:3], 0 offen offset:4
	v_mov_b32_e32 v9, s15
	ds_read_b128 v[9:12], v9
	s_add_i32 s36, s36, -1
	s_addk_i32 s15, 0xfe40
	s_add_i32 s14, s14, 16
	s_cmp_eq_u32 s36, 0
	s_waitcnt vmcnt(2) lgkmcnt(0)
	v_mul_f64 v[17:18], v[11:12], v[13:14]
	v_mul_f64 v[13:14], v[9:10], v[13:14]
	s_waitcnt vmcnt(0)
	v_fma_f64 v[9:10], v[9:10], v[15:16], -v[17:18]
	v_fma_f64 v[11:12], v[11:12], v[15:16], v[13:14]
	v_add_f64 v[1:2], v[1:2], -v[9:10]
	v_add_f64 v[3:4], v[3:4], -v[11:12]
	buffer_store_dword v1, v8, s[0:3], 0 offen
	buffer_store_dword v2, v8, s[0:3], 0 offen offset:4
	buffer_store_dword v3, v8, s[0:3], 0 offen offset:8
	;; [unrolled: 1-line block ×3, first 2 shown]
	s_cbranch_scc0 .LBB229_52
; %bb.53:                               ;   in Loop: Header=BB229_50 Depth=3
	s_branch .LBB229_49
.LBB229_54:                             ;   in Loop: Header=BB229_50 Depth=3
                                        ; implicit-def: $vgpr1_vgpr2
                                        ; implicit-def: $vgpr3_vgpr4
                                        ; implicit-def: $sgpr35
	s_cbranch_execz .LBB229_49
; %bb.55:                               ;   in Loop: Header=BB229_50 Depth=3
	buffer_load_dword v1, off, s[0:3], 0
	buffer_load_dword v2, off, s[0:3], 0 offset:4
	buffer_load_dword v3, off, s[0:3], 0 offset:8
	;; [unrolled: 1-line block ×3, first 2 shown]
	s_mov_b32 s35, s19
	s_branch .LBB229_49
.LBB229_56:
	s_waitcnt lgkmcnt(0)
	; wave barrier
	s_and_saveexec_b64 s[12:13], s[4:5]
	s_cbranch_execz .LBB229_60
; %bb.57:
	s_andn2_b64 vcc, exec, s[16:17]
	s_cbranch_vccnz .LBB229_60
; %bb.58:
	s_lshl_b64 s[4:5], s[8:9], 4
	s_add_u32 s7, s10, s4
	s_addc_u32 s8, s11, s5
	s_lshl_b64 s[4:5], s[24:25], 4
	s_add_u32 s9, s7, s4
	s_addc_u32 s8, s8, s5
	s_mul_hi_i32 s5, s21, s6
	s_mul_i32 s4, s21, s6
	v_mad_i64_i32 v[1:2], s[6:7], s21, v0, 0
	s_lshl_b64 s[4:5], s[4:5], 4
	s_add_u32 s4, s9, s4
	v_lshlrev_b64 v[1:2], 4, v[1:2]
	s_addc_u32 s5, s8, s5
	v_mov_b32_e32 v3, s5
	v_add_co_u32_e32 v1, vcc, s4, v1
	v_addc_co_u32_e32 v2, vcc, v3, v2, vcc
	v_mov_b32_e32 v3, 0x3100
	v_lshl_add_u32 v0, v0, 4, v3
.LBB229_59:                             ; =>This Inner Loop Header: Depth=1
	ds_read2_b64 v[3:6], v0 offset1:1
	s_add_i32 s28, s28, -1
	v_add_u32_e32 v0, 0x1c0, v0
	s_cmp_lg_u32 s28, 0
	s_waitcnt lgkmcnt(0)
	global_store_dwordx4 v[1:2], v[3:6], off
	v_add_co_u32_e32 v1, vcc, 16, v1
	v_addc_co_u32_e32 v2, vcc, 0, v2, vcc
	s_cbranch_scc1 .LBB229_59
.LBB229_60:
	s_endpgm
	.section	.rodata,"a",@progbits
	.p2align	6, 0x0
	.amdhsa_kernel _ZL38rocblas_trsm_small_left_device_sharedBILi28ELi28ELb0E19rocblas_complex_numIdES1_PKS1_PS1_Ev13rocblas_fill_18rocblas_operation_17rocblas_diagonal_iiT3_T4_lilT5_lili
		.amdhsa_group_segment_fixed_size 25088
		.amdhsa_private_segment_fixed_size 464
		.amdhsa_kernarg_size 368
		.amdhsa_user_sgpr_count 6
		.amdhsa_user_sgpr_private_segment_buffer 1
		.amdhsa_user_sgpr_dispatch_ptr 0
		.amdhsa_user_sgpr_queue_ptr 0
		.amdhsa_user_sgpr_kernarg_segment_ptr 1
		.amdhsa_user_sgpr_dispatch_id 0
		.amdhsa_user_sgpr_flat_scratch_init 0
		.amdhsa_user_sgpr_private_segment_size 0
		.amdhsa_uses_dynamic_stack 0
		.amdhsa_system_sgpr_private_segment_wavefront_offset 1
		.amdhsa_system_sgpr_workgroup_id_x 1
		.amdhsa_system_sgpr_workgroup_id_y 0
		.amdhsa_system_sgpr_workgroup_id_z 1
		.amdhsa_system_sgpr_workgroup_info 0
		.amdhsa_system_vgpr_workitem_id 0
		.amdhsa_next_free_vgpr 129
		.amdhsa_next_free_sgpr 98
		.amdhsa_reserve_vcc 1
		.amdhsa_reserve_flat_scratch 0
		.amdhsa_float_round_mode_32 0
		.amdhsa_float_round_mode_16_64 0
		.amdhsa_float_denorm_mode_32 3
		.amdhsa_float_denorm_mode_16_64 3
		.amdhsa_dx10_clamp 1
		.amdhsa_ieee_mode 1
		.amdhsa_fp16_overflow 0
		.amdhsa_exception_fp_ieee_invalid_op 0
		.amdhsa_exception_fp_denorm_src 0
		.amdhsa_exception_fp_ieee_div_zero 0
		.amdhsa_exception_fp_ieee_overflow 0
		.amdhsa_exception_fp_ieee_underflow 0
		.amdhsa_exception_fp_ieee_inexact 0
		.amdhsa_exception_int_div_zero 0
	.end_amdhsa_kernel
	.section	.text._ZL38rocblas_trsm_small_left_device_sharedBILi28ELi28ELb0E19rocblas_complex_numIdES1_PKS1_PS1_Ev13rocblas_fill_18rocblas_operation_17rocblas_diagonal_iiT3_T4_lilT5_lili,"axG",@progbits,_ZL38rocblas_trsm_small_left_device_sharedBILi28ELi28ELb0E19rocblas_complex_numIdES1_PKS1_PS1_Ev13rocblas_fill_18rocblas_operation_17rocblas_diagonal_iiT3_T4_lilT5_lili,comdat
.Lfunc_end229:
	.size	_ZL38rocblas_trsm_small_left_device_sharedBILi28ELi28ELb0E19rocblas_complex_numIdES1_PKS1_PS1_Ev13rocblas_fill_18rocblas_operation_17rocblas_diagonal_iiT3_T4_lilT5_lili, .Lfunc_end229-_ZL38rocblas_trsm_small_left_device_sharedBILi28ELi28ELb0E19rocblas_complex_numIdES1_PKS1_PS1_Ev13rocblas_fill_18rocblas_operation_17rocblas_diagonal_iiT3_T4_lilT5_lili
                                        ; -- End function
	.set _ZL38rocblas_trsm_small_left_device_sharedBILi28ELi28ELb0E19rocblas_complex_numIdES1_PKS1_PS1_Ev13rocblas_fill_18rocblas_operation_17rocblas_diagonal_iiT3_T4_lilT5_lili.num_vgpr, 19
	.set _ZL38rocblas_trsm_small_left_device_sharedBILi28ELi28ELb0E19rocblas_complex_numIdES1_PKS1_PS1_Ev13rocblas_fill_18rocblas_operation_17rocblas_diagonal_iiT3_T4_lilT5_lili.num_agpr, 0
	.set _ZL38rocblas_trsm_small_left_device_sharedBILi28ELi28ELb0E19rocblas_complex_numIdES1_PKS1_PS1_Ev13rocblas_fill_18rocblas_operation_17rocblas_diagonal_iiT3_T4_lilT5_lili.numbered_sgpr, 37
	.set _ZL38rocblas_trsm_small_left_device_sharedBILi28ELi28ELb0E19rocblas_complex_numIdES1_PKS1_PS1_Ev13rocblas_fill_18rocblas_operation_17rocblas_diagonal_iiT3_T4_lilT5_lili.num_named_barrier, 0
	.set _ZL38rocblas_trsm_small_left_device_sharedBILi28ELi28ELb0E19rocblas_complex_numIdES1_PKS1_PS1_Ev13rocblas_fill_18rocblas_operation_17rocblas_diagonal_iiT3_T4_lilT5_lili.private_seg_size, 464
	.set _ZL38rocblas_trsm_small_left_device_sharedBILi28ELi28ELb0E19rocblas_complex_numIdES1_PKS1_PS1_Ev13rocblas_fill_18rocblas_operation_17rocblas_diagonal_iiT3_T4_lilT5_lili.uses_vcc, 1
	.set _ZL38rocblas_trsm_small_left_device_sharedBILi28ELi28ELb0E19rocblas_complex_numIdES1_PKS1_PS1_Ev13rocblas_fill_18rocblas_operation_17rocblas_diagonal_iiT3_T4_lilT5_lili.uses_flat_scratch, 0
	.set _ZL38rocblas_trsm_small_left_device_sharedBILi28ELi28ELb0E19rocblas_complex_numIdES1_PKS1_PS1_Ev13rocblas_fill_18rocblas_operation_17rocblas_diagonal_iiT3_T4_lilT5_lili.has_dyn_sized_stack, 0
	.set _ZL38rocblas_trsm_small_left_device_sharedBILi28ELi28ELb0E19rocblas_complex_numIdES1_PKS1_PS1_Ev13rocblas_fill_18rocblas_operation_17rocblas_diagonal_iiT3_T4_lilT5_lili.has_recursion, 0
	.set _ZL38rocblas_trsm_small_left_device_sharedBILi28ELi28ELb0E19rocblas_complex_numIdES1_PKS1_PS1_Ev13rocblas_fill_18rocblas_operation_17rocblas_diagonal_iiT3_T4_lilT5_lili.has_indirect_call, 0
	.section	.AMDGPU.csdata,"",@progbits
; Kernel info:
; codeLenInByte = 3116
; TotalNumSgprs: 41
; NumVgprs: 19
; ScratchSize: 464
; MemoryBound: 0
; FloatMode: 240
; IeeeMode: 1
; LDSByteSize: 25088 bytes/workgroup (compile time only)
; SGPRBlocks: 12
; VGPRBlocks: 32
; NumSGPRsForWavesPerEU: 102
; NumVGPRsForWavesPerEU: 129
; Occupancy: 1
; WaveLimiterHint : 0
; COMPUTE_PGM_RSRC2:SCRATCH_EN: 1
; COMPUTE_PGM_RSRC2:USER_SGPR: 6
; COMPUTE_PGM_RSRC2:TRAP_HANDLER: 0
; COMPUTE_PGM_RSRC2:TGID_X_EN: 1
; COMPUTE_PGM_RSRC2:TGID_Y_EN: 0
; COMPUTE_PGM_RSRC2:TGID_Z_EN: 1
; COMPUTE_PGM_RSRC2:TIDIG_COMP_CNT: 0
	.section	.text._ZL30rocblas_trsm_small_left_deviceILi28ELi28ELb0E19rocblas_complex_numIdES1_PKS1_PS1_Ev13rocblas_fill_18rocblas_operation_17rocblas_diagonal_iiT3_T4_lilT5_lili,"axG",@progbits,_ZL30rocblas_trsm_small_left_deviceILi28ELi28ELb0E19rocblas_complex_numIdES1_PKS1_PS1_Ev13rocblas_fill_18rocblas_operation_17rocblas_diagonal_iiT3_T4_lilT5_lili,comdat
	.globl	_ZL30rocblas_trsm_small_left_deviceILi28ELi28ELb0E19rocblas_complex_numIdES1_PKS1_PS1_Ev13rocblas_fill_18rocblas_operation_17rocblas_diagonal_iiT3_T4_lilT5_lili ; -- Begin function _ZL30rocblas_trsm_small_left_deviceILi28ELi28ELb0E19rocblas_complex_numIdES1_PKS1_PS1_Ev13rocblas_fill_18rocblas_operation_17rocblas_diagonal_iiT3_T4_lilT5_lili
	.p2align	8
	.type	_ZL30rocblas_trsm_small_left_deviceILi28ELi28ELb0E19rocblas_complex_numIdES1_PKS1_PS1_Ev13rocblas_fill_18rocblas_operation_17rocblas_diagonal_iiT3_T4_lilT5_lili,@function
_ZL30rocblas_trsm_small_left_deviceILi28ELi28ELb0E19rocblas_complex_numIdES1_PKS1_PS1_Ev13rocblas_fill_18rocblas_operation_17rocblas_diagonal_iiT3_T4_lilT5_lili: ; @_ZL30rocblas_trsm_small_left_deviceILi28ELi28ELb0E19rocblas_complex_numIdES1_PKS1_PS1_Ev13rocblas_fill_18rocblas_operation_17rocblas_diagonal_iiT3_T4_lilT5_lili
; %bb.0:
	s_add_u32 s0, s0, s8
	s_load_dwordx4 s[20:23], s[4:5], 0x4
	s_load_dwordx8 s[12:19], s[4:5], 0x18
	s_load_dwordx4 s[8:11], s[4:5], 0x40
	s_load_dwordx2 s[24:25], s[4:5], 0x50
	s_load_dword s29, s[4:5], 0x70
	s_addc_u32 s1, s1, 0
	s_waitcnt lgkmcnt(0)
	s_min_i32 s28, s22, 28
	v_cmp_gt_i32_e32 vcc, s28, v0
	s_and_saveexec_b64 s[26:27], vcc
	s_cbranch_execz .LBB230_11
; %bb.1:
	s_load_dword s30, s[4:5], 0x38
	s_mul_i32 s9, s9, s7
	s_mul_hi_u32 s22, s8, s7
	s_mul_i32 s8, s8, s7
	v_lshlrev_b32_e32 v3, 4, v0
	s_waitcnt lgkmcnt(0)
	s_ashr_i32 s31, s30, 31
	s_cmpk_eq_i32 s20, 0x71
	s_cselect_b64 vcc, -1, 0
	s_add_i32 s9, s22, s9
	s_lshl_b64 s[8:9], s[8:9], 4
	s_lshl_b64 s[18:19], s[18:19], 4
	s_add_u32 s8, s8, s18
	s_addc_u32 s9, s9, s19
	s_add_u32 s8, s16, s8
	s_addc_u32 s9, s17, s9
	v_mov_b32_e32 v1, s9
	v_add_co_u32_e64 v2, s[8:9], s8, v3
	v_addc_co_u32_e64 v4, s[8:9], 0, v1, s[8:9]
	v_add_co_u32_e64 v1, s[8:9], 8, v2
	s_lshl_b64 s[16:17], s[30:31], 4
	v_addc_co_u32_e64 v2, s[8:9], 0, v4, s[8:9]
	v_mov_b32_e32 v4, s17
	v_mov_b32_e32 v5, v3
	s_mov_b32 s17, s28
.LBB230_2:                              ; =>This Inner Loop Header: Depth=1
	global_load_dwordx4 v[6:9], v[1:2], off offset:-8
	s_add_i32 s17, s17, -1
	v_add_co_u32_e64 v1, s[8:9], s16, v1
	v_addc_co_u32_e64 v2, s[8:9], v2, v4, s[8:9]
	s_cmp_eq_u32 s17, 0
	s_waitcnt vmcnt(0)
	v_xor_b32_e32 v10, 0x80000000, v9
	v_cndmask_b32_e32 v9, v9, v10, vcc
	ds_write_b128 v5, v[6:9]
	v_add_u32_e32 v5, 0x1c0, v5
	s_cbranch_scc0 .LBB230_2
; %bb.3:
	v_mul_u32_u24_e32 v1, 0x1c0, v0
	s_cmpk_lg_i32 s21, 0x84
	v_add_u32_e32 v9, v3, v1
	s_cbranch_scc0 .LBB230_9
; %bb.4:
	ds_read_b128 v[1:4], v9
                                        ; implicit-def: $vgpr7_vgpr8
	s_waitcnt lgkmcnt(0)
	v_cmp_ngt_f64_e64 s[8:9], |v[1:2]|, |v[3:4]|
	s_and_saveexec_b64 s[16:17], s[8:9]
	s_xor_b64 s[8:9], exec, s[16:17]
	s_cbranch_execz .LBB230_6
; %bb.5:
	v_div_scale_f64 v[5:6], s[16:17], v[3:4], v[3:4], v[1:2]
	v_rcp_f64_e32 v[7:8], v[5:6]
	v_fma_f64 v[10:11], -v[5:6], v[7:8], 1.0
	v_fma_f64 v[7:8], v[7:8], v[10:11], v[7:8]
	v_div_scale_f64 v[10:11], vcc, v[1:2], v[3:4], v[1:2]
	v_fma_f64 v[12:13], -v[5:6], v[7:8], 1.0
	v_fma_f64 v[7:8], v[7:8], v[12:13], v[7:8]
	v_mul_f64 v[12:13], v[10:11], v[7:8]
	v_fma_f64 v[5:6], -v[5:6], v[12:13], v[10:11]
	v_div_fmas_f64 v[5:6], v[5:6], v[7:8], v[12:13]
	v_div_fixup_f64 v[5:6], v[5:6], v[3:4], v[1:2]
	v_fma_f64 v[1:2], v[1:2], v[5:6], v[3:4]
	v_div_scale_f64 v[3:4], s[16:17], v[1:2], v[1:2], 1.0
	v_rcp_f64_e32 v[7:8], v[3:4]
	v_fma_f64 v[10:11], -v[3:4], v[7:8], 1.0
	v_fma_f64 v[7:8], v[7:8], v[10:11], v[7:8]
	v_div_scale_f64 v[10:11], vcc, 1.0, v[1:2], 1.0
	v_fma_f64 v[12:13], -v[3:4], v[7:8], 1.0
	v_fma_f64 v[7:8], v[7:8], v[12:13], v[7:8]
	v_mul_f64 v[12:13], v[10:11], v[7:8]
	v_fma_f64 v[3:4], -v[3:4], v[12:13], v[10:11]
	v_div_fmas_f64 v[3:4], v[3:4], v[7:8], v[12:13]
	v_add_f64 v[7:8], v[5:6], 0
	v_div_fixup_f64 v[1:2], v[3:4], v[1:2], 1.0
	v_fma_f64 v[3:4], v[5:6], 0, -1.0
	v_mul_f64 v[5:6], v[7:8], v[1:2]
	v_mul_f64 v[7:8], v[3:4], v[1:2]
                                        ; implicit-def: $vgpr1_vgpr2
.LBB230_6:
	s_andn2_saveexec_b64 s[8:9], s[8:9]
	s_cbranch_execz .LBB230_8
; %bb.7:
	v_div_scale_f64 v[5:6], s[16:17], v[1:2], v[1:2], v[3:4]
	v_rcp_f64_e32 v[7:8], v[5:6]
	v_fma_f64 v[10:11], -v[5:6], v[7:8], 1.0
	v_fma_f64 v[7:8], v[7:8], v[10:11], v[7:8]
	v_div_scale_f64 v[10:11], vcc, v[3:4], v[1:2], v[3:4]
	v_fma_f64 v[12:13], -v[5:6], v[7:8], 1.0
	v_fma_f64 v[7:8], v[7:8], v[12:13], v[7:8]
	v_mul_f64 v[12:13], v[10:11], v[7:8]
	v_fma_f64 v[5:6], -v[5:6], v[12:13], v[10:11]
	v_div_fmas_f64 v[5:6], v[5:6], v[7:8], v[12:13]
	v_div_fixup_f64 v[5:6], v[5:6], v[1:2], v[3:4]
	v_fma_f64 v[1:2], v[3:4], v[5:6], v[1:2]
	v_div_scale_f64 v[3:4], s[16:17], v[1:2], v[1:2], 1.0
	v_rcp_f64_e32 v[7:8], v[3:4]
	v_fma_f64 v[10:11], -v[3:4], v[7:8], 1.0
	v_fma_f64 v[7:8], v[7:8], v[10:11], v[7:8]
	v_div_scale_f64 v[10:11], vcc, 1.0, v[1:2], 1.0
	v_fma_f64 v[12:13], -v[3:4], v[7:8], 1.0
	v_fma_f64 v[7:8], v[7:8], v[12:13], v[7:8]
	v_mul_f64 v[12:13], v[10:11], v[7:8]
	v_fma_f64 v[3:4], -v[3:4], v[12:13], v[10:11]
	v_div_fmas_f64 v[3:4], v[3:4], v[7:8], v[12:13]
	v_fma_f64 v[7:8], v[5:6], 0, 1.0
	v_div_fixup_f64 v[1:2], v[3:4], v[1:2], 1.0
	v_add_f64 v[3:4], -v[5:6], 0
	v_mul_f64 v[5:6], v[7:8], v[1:2]
	v_mul_f64 v[7:8], v[3:4], v[1:2]
.LBB230_8:
	s_or_b64 exec, exec, s[8:9]
	s_branch .LBB230_10
.LBB230_9:
	v_mov_b32_e32 v7, 0
	v_mov_b32_e32 v5, 0
	;; [unrolled: 1-line block ×4, first 2 shown]
.LBB230_10:
	ds_write_b128 v9, v[5:8]
.LBB230_11:
	s_or_b64 exec, exec, s[26:27]
	s_mul_i32 s8, s6, 0xffffffe4
	s_add_i32 s29, s29, -1
	s_add_i32 s8, s23, s8
	s_cmp_ge_u32 s6, s29
	s_cselect_b32 s8, s8, 28
	v_cmp_gt_i32_e32 vcc, s8, v0
	s_waitcnt lgkmcnt(0)
	; wave barrier
	s_and_saveexec_b64 s[8:9], vcc
	s_cbranch_execz .LBB230_54
; %bb.12:
	s_load_dwordx2 s[8:9], s[4:5], 0x60
	s_load_dword s16, s[4:5], 0x58
	s_waitcnt lgkmcnt(0)
	s_mul_i32 s5, s9, s7
	s_mul_hi_u32 s9, s8, s7
	s_mul_i32 s4, s8, s7
	v_mad_u64_u32 v[0:1], s[6:7], s6, 28, v[0:1]
	s_add_i32 s5, s9, s5
	s_lshl_b64 s[4:5], s[4:5], 4
	v_mad_i64_i32 v[0:1], s[6:7], s16, v0, 0
	s_add_u32 s8, s10, s4
	s_addc_u32 s9, s11, s5
	s_lshl_b64 s[6:7], s[24:25], 4
	s_add_u32 s8, s8, s6
	v_lshlrev_b64 v[4:5], 4, v[0:1]
	s_addc_u32 s9, s9, s7
	v_mov_b32_e32 v0, s9
	v_add_co_u32_e32 v8, vcc, s8, v4
	v_addc_co_u32_e32 v9, vcc, v0, v5, vcc
	s_cmpk_eq_i32 s20, 0x6f
	s_mov_b64 s[8:9], -1
	s_cbranch_scc1 .LBB230_34
; %bb.13:
	s_add_u32 s8, s10, s6
	s_addc_u32 s9, s11, s7
	s_add_u32 s8, s8, s4
	s_addc_u32 s9, s9, s5
	v_mov_b32_e32 v0, s9
	v_add_co_u32_e32 v1, vcc, s8, v4
	v_addc_co_u32_e32 v0, vcc, v0, v5, vcc
	v_add_co_u32_e32 v10, vcc, 8, v1
	s_mov_b32 s9, 0
	v_addc_co_u32_e32 v11, vcc, 0, v0, vcc
	s_mov_b32 s16, s9
	s_mov_b32 s18, s9
	s_branch .LBB230_15
.LBB230_14:                             ;   in Loop: Header=BB230_15 Depth=1
	s_cmp_ge_i32 s18, s28
	s_cselect_b64 s[20:21], -1, 0
	s_add_i32 s16, s16, 1
	s_cmp_eq_u32 s16, 3
	s_cselect_b64 s[22:23], -1, 0
	s_or_b64 s[20:21], s[20:21], s[22:23]
	s_andn2_b64 vcc, exec, s[20:21]
	s_cbranch_vccz .LBB230_33
.LBB230_15:                             ; =>This Loop Header: Depth=1
                                        ;     Child Loop BB230_18 Depth 2
                                        ;       Child Loop BB230_19 Depth 3
                                        ;       Child Loop BB230_22 Depth 3
                                        ;         Child Loop BB230_23 Depth 4
                                        ;       Child Loop BB230_27 Depth 3
                                        ;         Child Loop BB230_29 Depth 4
	s_mov_b32 s17, s9
	s_lshl_b64 s[20:21], s[16:17], 2
	s_getpc_b64 s[22:23]
	s_add_u32 s22, s22, __const._ZL30rocblas_trsm_small_left_deviceILi28ELi28ELb0E19rocblas_complex_numIdES1_PKS1_PS1_Ev13rocblas_fill_18rocblas_operation_17rocblas_diagonal_iiT3_T4_lilT5_lili.step_sizes@rel32@lo+4
	s_addc_u32 s23, s23, __const._ZL30rocblas_trsm_small_left_deviceILi28ELi28ELb0E19rocblas_complex_numIdES1_PKS1_PS1_Ev13rocblas_fill_18rocblas_operation_17rocblas_diagonal_iiT3_T4_lilT5_lili.step_sizes@rel32@hi+12
	s_add_u32 s20, s22, s20
	s_addc_u32 s21, s23, s21
	s_load_dword s20, s[20:21], 0x0
	s_waitcnt lgkmcnt(0)
	s_add_i32 s17, s20, -1
	s_add_i32 s8, s17, s18
	s_cmp_ge_i32 s8, s28
	s_cbranch_scc1 .LBB230_14
; %bb.16:                               ;   in Loop: Header=BB230_15 Depth=1
	s_ashr_i32 s19, s18, 31
	s_lshl_b64 s[22:23], s[18:19], 4
	s_ashr_i32 s21, s20, 31
	v_mov_b32_e32 v0, s23
	v_add_co_u32_e32 v6, vcc, s22, v10
	s_lshl_b64 s[22:23], s[20:21], 4
	s_max_i32 s29, s20, 1
	v_addc_co_u32_e32 v7, vcc, v11, v0, vcc
	s_mul_i32 s19, s18, 0x1c0
	s_mul_i32 s21, s20, 0x1c0
	;; [unrolled: 1-line block ×4, first 2 shown]
	v_mov_b32_e32 v12, s23
	s_branch .LBB230_18
.LBB230_17:                             ;   in Loop: Header=BB230_18 Depth=2
	s_add_i32 s18, s18, s20
	s_add_i32 s8, s17, s18
	;; [unrolled: 1-line block ×4, first 2 shown]
	v_add_co_u32_e32 v6, vcc, s22, v6
	s_cmp_ge_i32 s8, s28
	v_addc_co_u32_e32 v7, vcc, v7, v12, vcc
	s_cbranch_scc1 .LBB230_14
.LBB230_18:                             ;   Parent Loop BB230_15 Depth=1
                                        ; =>  This Loop Header: Depth=2
                                        ;       Child Loop BB230_19 Depth 3
                                        ;       Child Loop BB230_22 Depth 3
                                        ;         Child Loop BB230_23 Depth 4
                                        ;       Child Loop BB230_27 Depth 3
                                        ;         Child Loop BB230_29 Depth 4
	v_mov_b32_e32 v0, v6
	s_mov_b32 s8, 0
	v_mov_b32_e32 v1, v7
	s_mov_b32 s23, s29
.LBB230_19:                             ;   Parent Loop BB230_15 Depth=1
                                        ;     Parent Loop BB230_18 Depth=2
                                        ; =>    This Inner Loop Header: Depth=3
	global_load_dwordx4 v[13:16], v[0:1], off offset:-8
	v_mov_b32_e32 v17, s8
	s_add_i32 s23, s23, -1
	v_add_co_u32_e32 v0, vcc, 16, v0
	s_add_i32 s8, s8, 16
	v_addc_co_u32_e32 v1, vcc, 0, v1, vcc
	s_cmp_eq_u32 s23, 0
	s_waitcnt vmcnt(0)
	v_mul_f64 v[2:3], s[14:15], v[15:16]
	v_mul_f64 v[15:16], s[12:13], v[15:16]
	v_fma_f64 v[2:3], s[12:13], v[13:14], -v[2:3]
	v_fma_f64 v[13:14], s[14:15], v[13:14], v[15:16]
	buffer_store_dword v3, v17, s[0:3], 0 offen offset:4
	buffer_store_dword v2, v17, s[0:3], 0 offen
	buffer_store_dword v14, v17, s[0:3], 0 offen offset:12
	buffer_store_dword v13, v17, s[0:3], 0 offen offset:8
	s_cbranch_scc0 .LBB230_19
; %bb.20:                               ;   in Loop: Header=BB230_18 Depth=2
	s_cmp_lt_i32 s18, 1
	s_cbranch_scc1 .LBB230_25
; %bb.21:                               ;   in Loop: Header=BB230_18 Depth=2
	s_mov_b32 s8, 0
	s_mov_b32 s23, s19
.LBB230_22:                             ;   Parent Loop BB230_15 Depth=1
                                        ;     Parent Loop BB230_18 Depth=2
                                        ; =>    This Loop Header: Depth=3
                                        ;         Child Loop BB230_23 Depth 4
	s_lshl_b64 s[24:25], s[8:9], 4
	v_mov_b32_e32 v1, s25
	v_add_co_u32_e32 v0, vcc, s24, v8
	v_addc_co_u32_e32 v1, vcc, v9, v1, vcc
	global_load_dwordx4 v[0:3], v[0:1], off
	s_mov_b32 s24, 0
	s_mov_b32 s25, s23
	;; [unrolled: 1-line block ×3, first 2 shown]
.LBB230_23:                             ;   Parent Loop BB230_15 Depth=1
                                        ;     Parent Loop BB230_18 Depth=2
                                        ;       Parent Loop BB230_22 Depth=3
                                        ; =>      This Inner Loop Header: Depth=4
	v_mov_b32_e32 v23, s24
	buffer_load_dword v17, v23, s[0:3], 0 offen
	buffer_load_dword v18, v23, s[0:3], 0 offen offset:4
	buffer_load_dword v19, v23, s[0:3], 0 offen offset:8
	;; [unrolled: 1-line block ×3, first 2 shown]
	v_mov_b32_e32 v13, s25
	ds_read_b128 v[13:16], v13
	s_add_i32 s26, s26, -1
	s_addk_i32 s25, 0x1c0
	s_add_i32 s24, s24, 16
	s_cmp_eq_u32 s26, 0
	s_waitcnt vmcnt(4) lgkmcnt(0)
	v_mul_f64 v[21:22], v[2:3], v[15:16]
	v_mul_f64 v[15:16], v[0:1], v[15:16]
	v_fma_f64 v[21:22], v[0:1], v[13:14], -v[21:22]
	v_fma_f64 v[13:14], v[2:3], v[13:14], v[15:16]
	s_waitcnt vmcnt(2)
	v_add_f64 v[15:16], v[17:18], -v[21:22]
	s_waitcnt vmcnt(0)
	v_add_f64 v[13:14], v[19:20], -v[13:14]
	buffer_store_dword v15, v23, s[0:3], 0 offen
	buffer_store_dword v16, v23, s[0:3], 0 offen offset:4
	buffer_store_dword v13, v23, s[0:3], 0 offen offset:8
	;; [unrolled: 1-line block ×3, first 2 shown]
	s_cbranch_scc0 .LBB230_23
; %bb.24:                               ;   in Loop: Header=BB230_22 Depth=3
	s_add_i32 s8, s8, 1
	s_add_i32 s23, s23, 16
	s_cmp_eq_u32 s8, s18
	s_cbranch_scc0 .LBB230_22
.LBB230_25:                             ;   in Loop: Header=BB230_18 Depth=2
	s_mov_b32 s8, 0
	s_mov_b32 s23, s30
	s_branch .LBB230_27
.LBB230_26:                             ;   in Loop: Header=BB230_27 Depth=3
	s_mul_i32 s25, s24, 0x1d0
	v_mov_b32_e32 v13, s25
	ds_read_b128 v[13:16], v13
	s_ashr_i32 s25, s24, 31
	s_lshl_b64 s[24:25], s[24:25], 4
	s_lshl_b32 s26, s8, 4
	s_add_i32 s8, s8, 1
	s_waitcnt vmcnt(0) lgkmcnt(0)
	v_mul_f64 v[17:18], v[15:16], v[2:3]
	v_mul_f64 v[2:3], v[13:14], v[2:3]
	s_addk_i32 s23, 0x1c0
	v_mov_b32_e32 v19, s26
	s_cmp_eq_u32 s8, s29
	v_fma_f64 v[13:14], v[13:14], v[0:1], -v[17:18]
	v_fma_f64 v[15:16], v[15:16], v[0:1], v[2:3]
	v_mov_b32_e32 v17, s25
	v_add_co_u32_e32 v0, vcc, s24, v8
	v_addc_co_u32_e32 v1, vcc, v9, v17, vcc
	buffer_store_dword v14, v19, s[0:3], 0 offen offset:4
	buffer_store_dword v13, v19, s[0:3], 0 offen
	buffer_store_dword v16, v19, s[0:3], 0 offen offset:12
	buffer_store_dword v15, v19, s[0:3], 0 offen offset:8
	global_store_dwordx4 v[0:1], v[13:16], off
	s_cbranch_scc1 .LBB230_17
.LBB230_27:                             ;   Parent Loop BB230_15 Depth=1
                                        ;     Parent Loop BB230_18 Depth=2
                                        ; =>    This Loop Header: Depth=3
                                        ;         Child Loop BB230_29 Depth 4
	s_cmp_lg_u32 s8, 0
	s_cbranch_scc0 .LBB230_31
; %bb.28:                               ;   in Loop: Header=BB230_27 Depth=3
	s_lshl_b32 s24, s8, 4
	v_mov_b32_e32 v13, s24
	buffer_load_dword v0, v13, s[0:3], 0 offen
	buffer_load_dword v1, v13, s[0:3], 0 offen offset:4
	buffer_load_dword v2, v13, s[0:3], 0 offen offset:8
	;; [unrolled: 1-line block ×3, first 2 shown]
	s_add_i32 s24, s8, s18
	s_mov_b32 s25, 0
	s_mov_b32 s26, s23
	;; [unrolled: 1-line block ×3, first 2 shown]
.LBB230_29:                             ;   Parent Loop BB230_15 Depth=1
                                        ;     Parent Loop BB230_18 Depth=2
                                        ;       Parent Loop BB230_27 Depth=3
                                        ; =>      This Inner Loop Header: Depth=4
	v_mov_b32_e32 v14, s25
	buffer_load_dword v18, v14, s[0:3], 0 offen offset:8
	buffer_load_dword v19, v14, s[0:3], 0 offen offset:12
	buffer_load_dword v20, v14, s[0:3], 0 offen
	buffer_load_dword v21, v14, s[0:3], 0 offen offset:4
	v_mov_b32_e32 v14, s26
	ds_read_b128 v[14:17], v14
	s_add_i32 s27, s27, -1
	s_add_i32 s25, s25, 16
	s_add_i32 s26, s26, 16
	s_cmp_eq_u32 s27, 0
	s_waitcnt vmcnt(2) lgkmcnt(0)
	v_mul_f64 v[22:23], v[16:17], v[18:19]
	v_mul_f64 v[18:19], v[14:15], v[18:19]
	s_waitcnt vmcnt(0)
	v_fma_f64 v[14:15], v[14:15], v[20:21], -v[22:23]
	v_fma_f64 v[16:17], v[16:17], v[20:21], v[18:19]
	v_add_f64 v[0:1], v[0:1], -v[14:15]
	v_add_f64 v[2:3], v[2:3], -v[16:17]
	buffer_store_dword v0, v13, s[0:3], 0 offen
	buffer_store_dword v1, v13, s[0:3], 0 offen offset:4
	buffer_store_dword v2, v13, s[0:3], 0 offen offset:8
	;; [unrolled: 1-line block ×3, first 2 shown]
	s_cbranch_scc0 .LBB230_29
; %bb.30:                               ;   in Loop: Header=BB230_27 Depth=3
	s_branch .LBB230_26
.LBB230_31:                             ;   in Loop: Header=BB230_27 Depth=3
                                        ; implicit-def: $vgpr0_vgpr1
                                        ; implicit-def: $vgpr2_vgpr3
                                        ; implicit-def: $sgpr24
	s_cbranch_execz .LBB230_26
; %bb.32:                               ;   in Loop: Header=BB230_27 Depth=3
	buffer_load_dword v0, off, s[0:3], 0
	buffer_load_dword v1, off, s[0:3], 0 offset:4
	buffer_load_dword v2, off, s[0:3], 0 offset:8
	buffer_load_dword v3, off, s[0:3], 0 offset:12
	s_mov_b32 s24, s18
	s_branch .LBB230_26
.LBB230_33:
	s_mov_b64 s[8:9], 0
.LBB230_34:
	s_and_b64 vcc, exec, s[8:9]
	s_cbranch_vccz .LBB230_54
; %bb.35:
	s_add_i32 s18, s28, -1
	s_add_u32 s6, s10, s6
	s_addc_u32 s7, s11, s7
	s_add_u32 s4, s6, s4
	s_addc_u32 s5, s7, s5
	v_mov_b32_e32 v0, s5
	v_add_co_u32_e32 v1, vcc, s4, v4
	v_addc_co_u32_e32 v0, vcc, v0, v5, vcc
	v_add_co_u32_e32 v4, vcc, 8, v1
	s_mul_i32 s19, s28, 0x1c0
	s_mov_b32 s5, 0
	v_addc_co_u32_e32 v5, vcc, 0, v0, vcc
	s_addk_i32 s19, 0xfe40
	s_mov_b32 s6, s18
	s_mov_b32 s4, s5
	s_branch .LBB230_37
.LBB230_36:                             ;   in Loop: Header=BB230_37 Depth=1
	s_cmp_lt_i32 s6, 0
	s_cselect_b64 s[8:9], -1, 0
	s_add_i32 s4, s4, 1
	s_cmp_eq_u32 s4, 3
	s_cselect_b64 s[10:11], -1, 0
	s_or_b64 s[8:9], s[8:9], s[10:11]
	s_and_b64 vcc, exec, s[8:9]
	s_cbranch_vccnz .LBB230_54
.LBB230_37:                             ; =>This Loop Header: Depth=1
                                        ;     Child Loop BB230_40 Depth 2
                                        ;       Child Loop BB230_41 Depth 3
                                        ;       Child Loop BB230_43 Depth 3
                                        ;         Child Loop BB230_44 Depth 4
                                        ;       Child Loop BB230_48 Depth 3
                                        ;         Child Loop BB230_50 Depth 4
	s_lshl_b64 s[8:9], s[4:5], 2
	s_getpc_b64 s[10:11]
	s_add_u32 s10, s10, __const._ZL30rocblas_trsm_small_left_deviceILi28ELi28ELb0E19rocblas_complex_numIdES1_PKS1_PS1_Ev13rocblas_fill_18rocblas_operation_17rocblas_diagonal_iiT3_T4_lilT5_lili.step_sizes@rel32@lo+4
	s_addc_u32 s11, s11, __const._ZL30rocblas_trsm_small_left_deviceILi28ELi28ELb0E19rocblas_complex_numIdES1_PKS1_PS1_Ev13rocblas_fill_18rocblas_operation_17rocblas_diagonal_iiT3_T4_lilT5_lili.step_sizes@rel32@hi+12
	s_add_u32 s8, s10, s8
	s_addc_u32 s9, s11, s9
	s_load_dword s20, s[8:9], 0x0
	s_waitcnt lgkmcnt(0)
	s_add_i32 s21, s20, -1
	s_cmp_lt_i32 s6, s21
	s_cbranch_scc1 .LBB230_36
; %bb.38:                               ;   in Loop: Header=BB230_37 Depth=1
	s_lshl_b32 s7, s6, 4
	s_add_i32 s23, s19, s7
	s_lshl_b32 s7, s20, 4
	s_max_i32 s22, s20, 1
	s_sub_i32 s24, 0, s7
	s_mul_i32 s25, s6, 0x1d0
	s_mul_i32 s26, s20, 0xfffffe30
	s_branch .LBB230_40
.LBB230_39:                             ;   in Loop: Header=BB230_40 Depth=2
	s_sub_i32 s6, s6, s20
	s_add_i32 s23, s23, s24
	s_add_i32 s25, s25, s26
	s_cmp_lt_i32 s6, s21
	s_cbranch_scc1 .LBB230_36
.LBB230_40:                             ;   Parent Loop BB230_37 Depth=1
                                        ; =>  This Loop Header: Depth=2
                                        ;       Child Loop BB230_41 Depth 3
                                        ;       Child Loop BB230_43 Depth 3
                                        ;         Child Loop BB230_44 Depth 4
                                        ;       Child Loop BB230_48 Depth 3
                                        ;         Child Loop BB230_50 Depth 4
	s_ashr_i32 s7, s6, 31
	s_lshl_b64 s[8:9], s[6:7], 4
	v_mov_b32_e32 v1, s9
	v_add_co_u32_e32 v0, vcc, s8, v4
	v_addc_co_u32_e32 v1, vcc, v5, v1, vcc
	s_mov_b32 s8, 0
	s_mov_b32 s9, s22
.LBB230_41:                             ;   Parent Loop BB230_37 Depth=1
                                        ;     Parent Loop BB230_40 Depth=2
                                        ; =>    This Inner Loop Header: Depth=3
	global_load_dwordx4 v[10:13], v[0:1], off offset:-8
	s_add_i32 s9, s9, -1
	v_add_co_u32_e32 v0, vcc, -16, v0
	v_addc_co_u32_e32 v1, vcc, -1, v1, vcc
	s_waitcnt vmcnt(0)
	v_mul_f64 v[2:3], s[14:15], v[12:13]
	v_mul_f64 v[6:7], s[12:13], v[12:13]
	v_mov_b32_e32 v12, s8
	s_add_i32 s8, s8, 16
	s_cmp_eq_u32 s9, 0
	v_fma_f64 v[2:3], s[12:13], v[10:11], -v[2:3]
	v_fma_f64 v[6:7], s[14:15], v[10:11], v[6:7]
	buffer_store_dword v3, v12, s[0:3], 0 offen offset:4
	buffer_store_dword v2, v12, s[0:3], 0 offen
	buffer_store_dword v7, v12, s[0:3], 0 offen offset:12
	buffer_store_dword v6, v12, s[0:3], 0 offen offset:8
	s_cbranch_scc0 .LBB230_41
; %bb.42:                               ;   in Loop: Header=BB230_40 Depth=2
	s_cmp_le_i32 s18, s6
	s_mov_b32 s10, s23
	s_mov_b32 s8, s18
	s_cbranch_scc1 .LBB230_46
.LBB230_43:                             ;   Parent Loop BB230_37 Depth=1
                                        ;     Parent Loop BB230_40 Depth=2
                                        ; =>    This Loop Header: Depth=3
                                        ;         Child Loop BB230_44 Depth 4
	s_ashr_i32 s9, s8, 31
	s_lshl_b64 s[16:17], s[8:9], 4
	v_mov_b32_e32 v1, s17
	v_add_co_u32_e32 v0, vcc, s16, v8
	v_addc_co_u32_e32 v1, vcc, v9, v1, vcc
	global_load_dwordx4 v[0:3], v[0:1], off
	s_mov_b32 s9, 0
	s_mov_b32 s11, s10
	;; [unrolled: 1-line block ×3, first 2 shown]
.LBB230_44:                             ;   Parent Loop BB230_37 Depth=1
                                        ;     Parent Loop BB230_40 Depth=2
                                        ;       Parent Loop BB230_43 Depth=3
                                        ; =>      This Inner Loop Header: Depth=4
	v_mov_b32_e32 v18, s9
	buffer_load_dword v6, v18, s[0:3], 0 offen
	buffer_load_dword v7, v18, s[0:3], 0 offen offset:4
	buffer_load_dword v14, v18, s[0:3], 0 offen offset:8
	;; [unrolled: 1-line block ×3, first 2 shown]
	v_mov_b32_e32 v10, s11
	ds_read_b128 v[10:13], v10
	s_add_i32 s16, s16, -1
	s_add_i32 s11, s11, -16
	s_add_i32 s9, s9, 16
	s_cmp_eq_u32 s16, 0
	s_waitcnt vmcnt(4) lgkmcnt(0)
	v_mul_f64 v[16:17], v[2:3], v[12:13]
	v_mul_f64 v[12:13], v[0:1], v[12:13]
	v_fma_f64 v[16:17], v[0:1], v[10:11], -v[16:17]
	v_fma_f64 v[10:11], v[2:3], v[10:11], v[12:13]
	s_waitcnt vmcnt(2)
	v_add_f64 v[6:7], v[6:7], -v[16:17]
	s_waitcnt vmcnt(0)
	v_add_f64 v[10:11], v[14:15], -v[10:11]
	buffer_store_dword v6, v18, s[0:3], 0 offen
	buffer_store_dword v7, v18, s[0:3], 0 offen offset:4
	buffer_store_dword v10, v18, s[0:3], 0 offen offset:8
	;; [unrolled: 1-line block ×3, first 2 shown]
	s_cbranch_scc0 .LBB230_44
; %bb.45:                               ;   in Loop: Header=BB230_43 Depth=3
	s_add_i32 s8, s8, -1
	s_addk_i32 s10, 0xfe40
	s_cmp_le_i32 s8, s6
	s_cbranch_scc0 .LBB230_43
.LBB230_46:                             ;   in Loop: Header=BB230_40 Depth=2
	s_mov_b32 s27, 0
	s_mov_b32 s28, s25
	s_branch .LBB230_48
.LBB230_47:                             ;   in Loop: Header=BB230_48 Depth=3
	s_mulk_i32 s10, 0x1d0
	v_mov_b32_e32 v6, s10
	ds_read_b128 v[10:13], v6
	s_lshl_b64 s[8:9], s[8:9], 4
	s_lshl_b32 s10, s27, 4
	s_add_i32 s27, s27, 1
	s_add_i32 s28, s28, -16
	s_waitcnt vmcnt(0) lgkmcnt(0)
	v_mul_f64 v[6:7], v[12:13], v[2:3]
	v_mul_f64 v[2:3], v[10:11], v[2:3]
	v_mov_b32_e32 v14, s10
	s_cmp_eq_u32 s27, s22
	v_fma_f64 v[10:11], v[10:11], v[0:1], -v[6:7]
	v_fma_f64 v[12:13], v[12:13], v[0:1], v[2:3]
	v_mov_b32_e32 v6, s9
	v_add_co_u32_e32 v0, vcc, s8, v8
	v_addc_co_u32_e32 v1, vcc, v9, v6, vcc
	buffer_store_dword v11, v14, s[0:3], 0 offen offset:4
	buffer_store_dword v10, v14, s[0:3], 0 offen
	buffer_store_dword v13, v14, s[0:3], 0 offen offset:12
	buffer_store_dword v12, v14, s[0:3], 0 offen offset:8
	global_store_dwordx4 v[0:1], v[10:13], off
	s_cbranch_scc1 .LBB230_39
.LBB230_48:                             ;   Parent Loop BB230_37 Depth=1
                                        ;     Parent Loop BB230_40 Depth=2
                                        ; =>    This Loop Header: Depth=3
                                        ;         Child Loop BB230_50 Depth 4
	s_cmp_lg_u32 s27, 0
	s_cbranch_scc0 .LBB230_52
; %bb.49:                               ;   in Loop: Header=BB230_48 Depth=3
	s_lshl_b32 s8, s27, 4
	v_mov_b32_e32 v6, s8
	buffer_load_dword v0, v6, s[0:3], 0 offen
	buffer_load_dword v1, v6, s[0:3], 0 offen offset:4
	buffer_load_dword v2, v6, s[0:3], 0 offen offset:8
	;; [unrolled: 1-line block ×3, first 2 shown]
	s_mov_b32 s8, 0
	s_mov_b32 s9, s28
	;; [unrolled: 1-line block ×3, first 2 shown]
.LBB230_50:                             ;   Parent Loop BB230_37 Depth=1
                                        ;     Parent Loop BB230_40 Depth=2
                                        ;       Parent Loop BB230_48 Depth=3
                                        ; =>      This Inner Loop Header: Depth=4
	v_mov_b32_e32 v7, s8
	buffer_load_dword v14, v7, s[0:3], 0 offen offset:8
	buffer_load_dword v15, v7, s[0:3], 0 offen offset:12
	buffer_load_dword v16, v7, s[0:3], 0 offen
	buffer_load_dword v17, v7, s[0:3], 0 offen offset:4
	v_mov_b32_e32 v7, s9
	ds_read_b128 v[10:13], v7
	s_add_i32 s10, s10, -1
	s_addk_i32 s9, 0xfe40
	s_add_i32 s8, s8, 16
	s_cmp_eq_u32 s10, 0
	s_waitcnt vmcnt(2) lgkmcnt(0)
	v_mul_f64 v[18:19], v[12:13], v[14:15]
	v_mul_f64 v[14:15], v[10:11], v[14:15]
	s_waitcnt vmcnt(0)
	v_fma_f64 v[10:11], v[10:11], v[16:17], -v[18:19]
	v_fma_f64 v[12:13], v[12:13], v[16:17], v[14:15]
	v_add_f64 v[0:1], v[0:1], -v[10:11]
	v_add_f64 v[2:3], v[2:3], -v[12:13]
	buffer_store_dword v0, v6, s[0:3], 0 offen
	buffer_store_dword v1, v6, s[0:3], 0 offen offset:4
	buffer_store_dword v2, v6, s[0:3], 0 offen offset:8
	;; [unrolled: 1-line block ×3, first 2 shown]
	s_cbranch_scc0 .LBB230_50
; %bb.51:                               ;   in Loop: Header=BB230_48 Depth=3
	s_sub_i32 s10, s6, s27
	s_ashr_i32 s11, s10, 31
	s_mov_b64 s[8:9], s[10:11]
	s_branch .LBB230_47
.LBB230_52:                             ;   in Loop: Header=BB230_48 Depth=3
                                        ; implicit-def: $vgpr0_vgpr1
                                        ; implicit-def: $vgpr2_vgpr3
                                        ; implicit-def: $sgpr10
                                        ; implicit-def: $sgpr8_sgpr9
	s_cbranch_execz .LBB230_47
; %bb.53:                               ;   in Loop: Header=BB230_48 Depth=3
	buffer_load_dword v0, off, s[0:3], 0
	buffer_load_dword v1, off, s[0:3], 0 offset:4
	buffer_load_dword v2, off, s[0:3], 0 offset:8
	;; [unrolled: 1-line block ×3, first 2 shown]
	s_mov_b64 s[8:9], s[6:7]
	s_mov_b32 s10, s6
	s_branch .LBB230_47
.LBB230_54:
	s_endpgm
	.section	.rodata,"a",@progbits
	.p2align	6, 0x0
	.amdhsa_kernel _ZL30rocblas_trsm_small_left_deviceILi28ELi28ELb0E19rocblas_complex_numIdES1_PKS1_PS1_Ev13rocblas_fill_18rocblas_operation_17rocblas_diagonal_iiT3_T4_lilT5_lili
		.amdhsa_group_segment_fixed_size 12544
		.amdhsa_private_segment_fixed_size 464
		.amdhsa_kernarg_size 368
		.amdhsa_user_sgpr_count 6
		.amdhsa_user_sgpr_private_segment_buffer 1
		.amdhsa_user_sgpr_dispatch_ptr 0
		.amdhsa_user_sgpr_queue_ptr 0
		.amdhsa_user_sgpr_kernarg_segment_ptr 1
		.amdhsa_user_sgpr_dispatch_id 0
		.amdhsa_user_sgpr_flat_scratch_init 0
		.amdhsa_user_sgpr_private_segment_size 0
		.amdhsa_uses_dynamic_stack 0
		.amdhsa_system_sgpr_private_segment_wavefront_offset 1
		.amdhsa_system_sgpr_workgroup_id_x 1
		.amdhsa_system_sgpr_workgroup_id_y 0
		.amdhsa_system_sgpr_workgroup_id_z 1
		.amdhsa_system_sgpr_workgroup_info 0
		.amdhsa_system_vgpr_workitem_id 0
		.amdhsa_next_free_vgpr 85
		.amdhsa_next_free_sgpr 98
		.amdhsa_reserve_vcc 1
		.amdhsa_reserve_flat_scratch 0
		.amdhsa_float_round_mode_32 0
		.amdhsa_float_round_mode_16_64 0
		.amdhsa_float_denorm_mode_32 3
		.amdhsa_float_denorm_mode_16_64 3
		.amdhsa_dx10_clamp 1
		.amdhsa_ieee_mode 1
		.amdhsa_fp16_overflow 0
		.amdhsa_exception_fp_ieee_invalid_op 0
		.amdhsa_exception_fp_denorm_src 0
		.amdhsa_exception_fp_ieee_div_zero 0
		.amdhsa_exception_fp_ieee_overflow 0
		.amdhsa_exception_fp_ieee_underflow 0
		.amdhsa_exception_fp_ieee_inexact 0
		.amdhsa_exception_int_div_zero 0
	.end_amdhsa_kernel
	.section	.text._ZL30rocblas_trsm_small_left_deviceILi28ELi28ELb0E19rocblas_complex_numIdES1_PKS1_PS1_Ev13rocblas_fill_18rocblas_operation_17rocblas_diagonal_iiT3_T4_lilT5_lili,"axG",@progbits,_ZL30rocblas_trsm_small_left_deviceILi28ELi28ELb0E19rocblas_complex_numIdES1_PKS1_PS1_Ev13rocblas_fill_18rocblas_operation_17rocblas_diagonal_iiT3_T4_lilT5_lili,comdat
.Lfunc_end230:
	.size	_ZL30rocblas_trsm_small_left_deviceILi28ELi28ELb0E19rocblas_complex_numIdES1_PKS1_PS1_Ev13rocblas_fill_18rocblas_operation_17rocblas_diagonal_iiT3_T4_lilT5_lili, .Lfunc_end230-_ZL30rocblas_trsm_small_left_deviceILi28ELi28ELb0E19rocblas_complex_numIdES1_PKS1_PS1_Ev13rocblas_fill_18rocblas_operation_17rocblas_diagonal_iiT3_T4_lilT5_lili
                                        ; -- End function
	.set _ZL30rocblas_trsm_small_left_deviceILi28ELi28ELb0E19rocblas_complex_numIdES1_PKS1_PS1_Ev13rocblas_fill_18rocblas_operation_17rocblas_diagonal_iiT3_T4_lilT5_lili.num_vgpr, 24
	.set _ZL30rocblas_trsm_small_left_deviceILi28ELi28ELb0E19rocblas_complex_numIdES1_PKS1_PS1_Ev13rocblas_fill_18rocblas_operation_17rocblas_diagonal_iiT3_T4_lilT5_lili.num_agpr, 0
	.set _ZL30rocblas_trsm_small_left_deviceILi28ELi28ELb0E19rocblas_complex_numIdES1_PKS1_PS1_Ev13rocblas_fill_18rocblas_operation_17rocblas_diagonal_iiT3_T4_lilT5_lili.numbered_sgpr, 32
	.set _ZL30rocblas_trsm_small_left_deviceILi28ELi28ELb0E19rocblas_complex_numIdES1_PKS1_PS1_Ev13rocblas_fill_18rocblas_operation_17rocblas_diagonal_iiT3_T4_lilT5_lili.num_named_barrier, 0
	.set _ZL30rocblas_trsm_small_left_deviceILi28ELi28ELb0E19rocblas_complex_numIdES1_PKS1_PS1_Ev13rocblas_fill_18rocblas_operation_17rocblas_diagonal_iiT3_T4_lilT5_lili.private_seg_size, 464
	.set _ZL30rocblas_trsm_small_left_deviceILi28ELi28ELb0E19rocblas_complex_numIdES1_PKS1_PS1_Ev13rocblas_fill_18rocblas_operation_17rocblas_diagonal_iiT3_T4_lilT5_lili.uses_vcc, 1
	.set _ZL30rocblas_trsm_small_left_deviceILi28ELi28ELb0E19rocblas_complex_numIdES1_PKS1_PS1_Ev13rocblas_fill_18rocblas_operation_17rocblas_diagonal_iiT3_T4_lilT5_lili.uses_flat_scratch, 0
	.set _ZL30rocblas_trsm_small_left_deviceILi28ELi28ELb0E19rocblas_complex_numIdES1_PKS1_PS1_Ev13rocblas_fill_18rocblas_operation_17rocblas_diagonal_iiT3_T4_lilT5_lili.has_dyn_sized_stack, 0
	.set _ZL30rocblas_trsm_small_left_deviceILi28ELi28ELb0E19rocblas_complex_numIdES1_PKS1_PS1_Ev13rocblas_fill_18rocblas_operation_17rocblas_diagonal_iiT3_T4_lilT5_lili.has_recursion, 0
	.set _ZL30rocblas_trsm_small_left_deviceILi28ELi28ELb0E19rocblas_complex_numIdES1_PKS1_PS1_Ev13rocblas_fill_18rocblas_operation_17rocblas_diagonal_iiT3_T4_lilT5_lili.has_indirect_call, 0
	.section	.AMDGPU.csdata,"",@progbits
; Kernel info:
; codeLenInByte = 2960
; TotalNumSgprs: 36
; NumVgprs: 24
; ScratchSize: 464
; MemoryBound: 0
; FloatMode: 240
; IeeeMode: 1
; LDSByteSize: 12544 bytes/workgroup (compile time only)
; SGPRBlocks: 12
; VGPRBlocks: 21
; NumSGPRsForWavesPerEU: 102
; NumVGPRsForWavesPerEU: 85
; Occupancy: 2
; WaveLimiterHint : 0
; COMPUTE_PGM_RSRC2:SCRATCH_EN: 1
; COMPUTE_PGM_RSRC2:USER_SGPR: 6
; COMPUTE_PGM_RSRC2:TRAP_HANDLER: 0
; COMPUTE_PGM_RSRC2:TGID_X_EN: 1
; COMPUTE_PGM_RSRC2:TGID_Y_EN: 0
; COMPUTE_PGM_RSRC2:TGID_Z_EN: 1
; COMPUTE_PGM_RSRC2:TIDIG_COMP_CNT: 0
	.section	.text._ZL38rocblas_trsm_small_left_device_sharedBILi28ELi28ELb1E19rocblas_complex_numIdES1_PKS1_PS1_Ev13rocblas_fill_18rocblas_operation_17rocblas_diagonal_iiT3_T4_lilT5_lili,"axG",@progbits,_ZL38rocblas_trsm_small_left_device_sharedBILi28ELi28ELb1E19rocblas_complex_numIdES1_PKS1_PS1_Ev13rocblas_fill_18rocblas_operation_17rocblas_diagonal_iiT3_T4_lilT5_lili,comdat
	.globl	_ZL38rocblas_trsm_small_left_device_sharedBILi28ELi28ELb1E19rocblas_complex_numIdES1_PKS1_PS1_Ev13rocblas_fill_18rocblas_operation_17rocblas_diagonal_iiT3_T4_lilT5_lili ; -- Begin function _ZL38rocblas_trsm_small_left_device_sharedBILi28ELi28ELb1E19rocblas_complex_numIdES1_PKS1_PS1_Ev13rocblas_fill_18rocblas_operation_17rocblas_diagonal_iiT3_T4_lilT5_lili
	.p2align	8
	.type	_ZL38rocblas_trsm_small_left_device_sharedBILi28ELi28ELb1E19rocblas_complex_numIdES1_PKS1_PS1_Ev13rocblas_fill_18rocblas_operation_17rocblas_diagonal_iiT3_T4_lilT5_lili,@function
_ZL38rocblas_trsm_small_left_device_sharedBILi28ELi28ELb1E19rocblas_complex_numIdES1_PKS1_PS1_Ev13rocblas_fill_18rocblas_operation_17rocblas_diagonal_iiT3_T4_lilT5_lili: ; @_ZL38rocblas_trsm_small_left_device_sharedBILi28ELi28ELb1E19rocblas_complex_numIdES1_PKS1_PS1_Ev13rocblas_fill_18rocblas_operation_17rocblas_diagonal_iiT3_T4_lilT5_lili
; %bb.0:
	s_add_u32 s0, s0, s8
	s_load_dwordx4 s[20:23], s[4:5], 0x4
	s_load_dwordx8 s[12:19], s[4:5], 0x18
	s_load_dwordx4 s[8:11], s[4:5], 0x40
	s_load_dwordx2 s[24:25], s[4:5], 0x50
	s_load_dword s29, s[4:5], 0x70
	s_addc_u32 s1, s1, 0
	s_waitcnt lgkmcnt(0)
	s_min_i32 s28, s22, 28
	v_cmp_gt_i32_e32 vcc, s28, v0
	s_and_saveexec_b64 s[26:27], vcc
	s_cbranch_execz .LBB231_11
; %bb.1:
	s_load_dword s30, s[4:5], 0x38
	s_mul_i32 s9, s9, s7
	s_mul_hi_u32 s33, s8, s7
	s_mul_i32 s8, s8, s7
	v_lshlrev_b32_e32 v3, 4, v0
	s_waitcnt lgkmcnt(0)
	s_ashr_i32 s31, s30, 31
	s_cmpk_eq_i32 s20, 0x71
	s_cselect_b64 vcc, -1, 0
	s_add_i32 s9, s33, s9
	s_lshl_b64 s[8:9], s[8:9], 4
	s_lshl_b64 s[18:19], s[18:19], 4
	s_add_u32 s8, s8, s18
	s_addc_u32 s9, s9, s19
	s_add_u32 s8, s16, s8
	s_addc_u32 s9, s17, s9
	v_mov_b32_e32 v1, s9
	v_add_co_u32_e64 v2, s[8:9], s8, v3
	v_addc_co_u32_e64 v4, s[8:9], 0, v1, s[8:9]
	v_add_co_u32_e64 v1, s[8:9], 8, v2
	s_lshl_b64 s[16:17], s[30:31], 4
	v_addc_co_u32_e64 v2, s[8:9], 0, v4, s[8:9]
	v_mov_b32_e32 v4, s17
	v_mov_b32_e32 v5, v3
	s_mov_b32 s17, s28
.LBB231_2:                              ; =>This Inner Loop Header: Depth=1
	global_load_dwordx4 v[6:9], v[1:2], off offset:-8
	s_add_i32 s17, s17, -1
	v_add_co_u32_e64 v1, s[8:9], s16, v1
	v_addc_co_u32_e64 v2, s[8:9], v2, v4, s[8:9]
	s_cmp_eq_u32 s17, 0
	s_waitcnt vmcnt(0)
	v_xor_b32_e32 v10, 0x80000000, v9
	v_cndmask_b32_e32 v9, v9, v10, vcc
	ds_write_b128 v5, v[6:9]
	v_add_u32_e32 v5, 0x1c0, v5
	s_cbranch_scc0 .LBB231_2
; %bb.3:
	v_mul_u32_u24_e32 v1, 0x1c0, v0
	s_cmpk_lg_i32 s21, 0x84
	v_add_u32_e32 v9, v3, v1
	s_cbranch_scc0 .LBB231_9
; %bb.4:
	ds_read_b128 v[1:4], v9
                                        ; implicit-def: $vgpr7_vgpr8
	s_waitcnt lgkmcnt(0)
	v_cmp_ngt_f64_e64 s[8:9], |v[1:2]|, |v[3:4]|
	s_and_saveexec_b64 s[16:17], s[8:9]
	s_xor_b64 s[8:9], exec, s[16:17]
	s_cbranch_execz .LBB231_6
; %bb.5:
	v_div_scale_f64 v[5:6], s[16:17], v[3:4], v[3:4], v[1:2]
	v_rcp_f64_e32 v[7:8], v[5:6]
	v_fma_f64 v[10:11], -v[5:6], v[7:8], 1.0
	v_fma_f64 v[7:8], v[7:8], v[10:11], v[7:8]
	v_div_scale_f64 v[10:11], vcc, v[1:2], v[3:4], v[1:2]
	v_fma_f64 v[12:13], -v[5:6], v[7:8], 1.0
	v_fma_f64 v[7:8], v[7:8], v[12:13], v[7:8]
	v_mul_f64 v[12:13], v[10:11], v[7:8]
	v_fma_f64 v[5:6], -v[5:6], v[12:13], v[10:11]
	v_div_fmas_f64 v[5:6], v[5:6], v[7:8], v[12:13]
	v_div_fixup_f64 v[5:6], v[5:6], v[3:4], v[1:2]
	v_fma_f64 v[1:2], v[1:2], v[5:6], v[3:4]
	v_div_scale_f64 v[3:4], s[16:17], v[1:2], v[1:2], 1.0
	v_rcp_f64_e32 v[7:8], v[3:4]
	v_fma_f64 v[10:11], -v[3:4], v[7:8], 1.0
	v_fma_f64 v[7:8], v[7:8], v[10:11], v[7:8]
	v_div_scale_f64 v[10:11], vcc, 1.0, v[1:2], 1.0
	v_fma_f64 v[12:13], -v[3:4], v[7:8], 1.0
	v_fma_f64 v[7:8], v[7:8], v[12:13], v[7:8]
	v_mul_f64 v[12:13], v[10:11], v[7:8]
	v_fma_f64 v[3:4], -v[3:4], v[12:13], v[10:11]
	v_div_fmas_f64 v[3:4], v[3:4], v[7:8], v[12:13]
	v_add_f64 v[7:8], v[5:6], 0
	v_div_fixup_f64 v[1:2], v[3:4], v[1:2], 1.0
	v_fma_f64 v[3:4], v[5:6], 0, -1.0
	v_mul_f64 v[5:6], v[7:8], v[1:2]
	v_mul_f64 v[7:8], v[3:4], v[1:2]
                                        ; implicit-def: $vgpr1_vgpr2
.LBB231_6:
	s_andn2_saveexec_b64 s[8:9], s[8:9]
	s_cbranch_execz .LBB231_8
; %bb.7:
	v_div_scale_f64 v[5:6], s[16:17], v[1:2], v[1:2], v[3:4]
	v_rcp_f64_e32 v[7:8], v[5:6]
	v_fma_f64 v[10:11], -v[5:6], v[7:8], 1.0
	v_fma_f64 v[7:8], v[7:8], v[10:11], v[7:8]
	v_div_scale_f64 v[10:11], vcc, v[3:4], v[1:2], v[3:4]
	v_fma_f64 v[12:13], -v[5:6], v[7:8], 1.0
	v_fma_f64 v[7:8], v[7:8], v[12:13], v[7:8]
	v_mul_f64 v[12:13], v[10:11], v[7:8]
	v_fma_f64 v[5:6], -v[5:6], v[12:13], v[10:11]
	v_div_fmas_f64 v[5:6], v[5:6], v[7:8], v[12:13]
	v_div_fixup_f64 v[5:6], v[5:6], v[1:2], v[3:4]
	v_fma_f64 v[1:2], v[3:4], v[5:6], v[1:2]
	v_div_scale_f64 v[3:4], s[16:17], v[1:2], v[1:2], 1.0
	v_rcp_f64_e32 v[7:8], v[3:4]
	v_fma_f64 v[10:11], -v[3:4], v[7:8], 1.0
	v_fma_f64 v[7:8], v[7:8], v[10:11], v[7:8]
	v_div_scale_f64 v[10:11], vcc, 1.0, v[1:2], 1.0
	v_fma_f64 v[12:13], -v[3:4], v[7:8], 1.0
	v_fma_f64 v[7:8], v[7:8], v[12:13], v[7:8]
	v_mul_f64 v[12:13], v[10:11], v[7:8]
	v_fma_f64 v[3:4], -v[3:4], v[12:13], v[10:11]
	v_div_fmas_f64 v[3:4], v[3:4], v[7:8], v[12:13]
	v_fma_f64 v[7:8], v[5:6], 0, 1.0
	v_div_fixup_f64 v[1:2], v[3:4], v[1:2], 1.0
	v_add_f64 v[3:4], -v[5:6], 0
	v_mul_f64 v[5:6], v[7:8], v[1:2]
	v_mul_f64 v[7:8], v[3:4], v[1:2]
.LBB231_8:
	s_or_b64 exec, exec, s[8:9]
	s_branch .LBB231_10
.LBB231_9:
	v_mov_b32_e32 v7, 0
	v_mov_b32_e32 v5, 0
	;; [unrolled: 1-line block ×4, first 2 shown]
.LBB231_10:
	ds_write_b128 v9, v[5:8]
.LBB231_11:
	s_or_b64 exec, exec, s[26:27]
	s_load_dword s21, s[4:5], 0x58
	s_load_dwordx2 s[8:9], s[4:5], 0x60
	s_add_i32 s29, s29, -1
	s_waitcnt lgkmcnt(0)
	s_ashr_i32 s26, s21, 31
	s_mul_i32 s4, s9, s7
	s_mul_hi_u32 s5, s8, s7
	s_add_i32 s9, s5, s4
	s_mul_i32 s4, s6, 0xffffffe4
	s_add_i32 s4, s23, s4
	s_cmp_ge_u32 s6, s29
	s_mul_i32 s6, s6, 28
	s_mul_i32 s8, s8, s7
	s_cselect_b32 s4, s4, 28
	s_ashr_i32 s7, s6, 31
	s_cmp_gt_i32 s22, 0
	v_cmp_gt_i32_e64 s[4:5], s4, v0
	s_cselect_b64 s[16:17], -1, 0
	s_and_b64 s[22:23], s[4:5], s[16:17]
	s_and_saveexec_b64 s[18:19], s[22:23]
	s_cbranch_execz .LBB231_14
; %bb.12:
	v_lshlrev_b32_e32 v3, 4, v0
	s_lshl_b64 s[30:31], s[6:7], 4
	s_lshl_b64 s[22:23], s[8:9], 4
	v_mov_b32_e32 v1, s31
	v_add_co_u32_e32 v4, vcc, s30, v3
	s_lshl_b64 s[30:31], s[24:25], 4
	s_add_u32 s7, s10, s30
	s_addc_u32 s27, s11, s31
	s_add_u32 s22, s7, s22
	v_addc_co_u32_e32 v5, vcc, 0, v1, vcc
	s_addc_u32 s23, s27, s23
	v_mov_b32_e32 v1, s22
	v_mov_b32_e32 v2, s23
	v_mad_u64_u32 v[1:2], s[22:23], v4, s21, v[1:2]
	v_mul_lo_u32 v4, v4, s26
	v_mul_lo_u32 v5, v5, s21
	v_add_co_u32_e32 v1, vcc, 8, v1
	v_add_u32_e32 v3, 0x3100, v3
	v_add3_u32 v2, v5, v2, v4
	v_addc_co_u32_e32 v2, vcc, 0, v2, vcc
	s_mov_b32 s7, s28
.LBB231_13:                             ; =>This Inner Loop Header: Depth=1
	global_load_dwordx4 v[4:7], v[1:2], off offset:-8
	s_add_i32 s7, s7, -1
	v_add_co_u32_e32 v1, vcc, 16, v1
	v_addc_co_u32_e32 v2, vcc, 0, v2, vcc
	s_cmp_lg_u32 s7, 0
	s_waitcnt vmcnt(0)
	v_mul_f64 v[8:9], s[14:15], v[6:7]
	v_mul_f64 v[10:11], s[12:13], v[6:7]
	v_fma_f64 v[6:7], s[12:13], v[4:5], -v[8:9]
	v_fma_f64 v[8:9], s[14:15], v[4:5], v[10:11]
	ds_write_b128 v3, v[6:9]
	v_add_u32_e32 v3, 0x1c0, v3
	s_cbranch_scc1 .LBB231_13
.LBB231_14:
	s_or_b64 exec, exec, s[18:19]
	v_mov_b32_e32 v1, 0x3100
	s_cmpk_eq_i32 s20, 0x6f
	v_lshl_add_u32 v5, v0, 4, v1
	s_mov_b64 s[12:13], -1
	s_waitcnt lgkmcnt(0)
	; wave barrier
	s_cbranch_scc1 .LBB231_35
; %bb.15:
	s_add_i32 s7, s28, -1
	s_lshl_b32 s18, s28, 4
	s_mov_b32 s13, 0
	s_add_i32 s18, s18, -16
	s_mov_b32 s12, s13
	s_mov_b32 s19, s7
	s_branch .LBB231_17
.LBB231_16:                             ;   in Loop: Header=BB231_17 Depth=1
	s_cmp_lt_i32 s19, 0
	s_cselect_b64 s[14:15], -1, 0
	s_add_i32 s12, s12, 1
	s_cmp_eq_u32 s12, 3
	s_cselect_b64 s[22:23], -1, 0
	s_or_b64 s[14:15], s[14:15], s[22:23]
	s_andn2_b64 vcc, exec, s[14:15]
	s_cbranch_vccz .LBB231_34
.LBB231_17:                             ; =>This Loop Header: Depth=1
                                        ;     Child Loop BB231_20 Depth 2
                                        ;       Child Loop BB231_21 Depth 3
                                        ;       Child Loop BB231_23 Depth 3
                                        ;         Child Loop BB231_24 Depth 4
                                        ;       Child Loop BB231_28 Depth 3
                                        ;         Child Loop BB231_30 Depth 4
	s_lshl_b64 s[14:15], s[12:13], 2
	s_getpc_b64 s[22:23]
	s_add_u32 s22, s22, __const._ZL38rocblas_trsm_small_left_device_sharedBILi28ELi28ELb1E19rocblas_complex_numIdES1_PKS1_PS1_Ev13rocblas_fill_18rocblas_operation_17rocblas_diagonal_iiT3_T4_lilT5_lili.step_sizes@rel32@lo+4
	s_addc_u32 s23, s23, __const._ZL38rocblas_trsm_small_left_device_sharedBILi28ELi28ELb1E19rocblas_complex_numIdES1_PKS1_PS1_Ev13rocblas_fill_18rocblas_operation_17rocblas_diagonal_iiT3_T4_lilT5_lili.step_sizes@rel32@hi+12
	s_add_u32 s14, s22, s14
	s_addc_u32 s15, s23, s15
	s_load_dword s20, s[14:15], 0x0
	s_waitcnt lgkmcnt(0)
	s_add_i32 s22, s20, -1
	s_cmp_lt_i32 s19, s22
	s_cbranch_scc1 .LBB231_16
; %bb.18:                               ;   in Loop: Header=BB231_17 Depth=1
	s_mul_i32 s14, s19, 0x1c0
	s_max_i32 s23, s20, 1
	v_add_u32_e32 v6, s14, v5
	s_mul_i32 s26, s20, 0xfffffe40
	s_add_i32 s27, s18, s14
	s_mul_i32 s29, s19, 0x1d0
	s_mul_i32 s30, s20, 0xfffffe30
	s_branch .LBB231_20
.LBB231_19:                             ;   in Loop: Header=BB231_20 Depth=2
	s_sub_i32 s19, s19, s20
	s_add_i32 s27, s27, s26
	s_add_i32 s29, s29, s30
	s_cmp_lt_i32 s19, s22
	v_add_u32_e32 v6, s26, v6
	s_cbranch_scc1 .LBB231_16
.LBB231_20:                             ;   Parent Loop BB231_17 Depth=1
                                        ; =>  This Loop Header: Depth=2
                                        ;       Child Loop BB231_21 Depth 3
                                        ;       Child Loop BB231_23 Depth 3
                                        ;         Child Loop BB231_24 Depth 4
                                        ;       Child Loop BB231_28 Depth 3
                                        ;         Child Loop BB231_30 Depth 4
	s_mov_b32 s14, 0
	v_mov_b32_e32 v1, v6
	s_mov_b32 s15, s23
.LBB231_21:                             ;   Parent Loop BB231_17 Depth=1
                                        ;     Parent Loop BB231_20 Depth=2
                                        ; =>    This Inner Loop Header: Depth=3
	ds_read_b128 v[7:10], v1
	v_mov_b32_e32 v2, s14
	s_add_i32 s15, s15, -1
	s_add_i32 s14, s14, 16
	v_add_u32_e32 v1, 0xfffffe40, v1
	s_cmp_eq_u32 s15, 0
	s_waitcnt lgkmcnt(0)
	buffer_store_dword v10, v2, s[0:3], 0 offen offset:12
	buffer_store_dword v9, v2, s[0:3], 0 offen offset:8
	;; [unrolled: 1-line block ×3, first 2 shown]
	buffer_store_dword v7, v2, s[0:3], 0 offen
	s_cbranch_scc0 .LBB231_21
; %bb.22:                               ;   in Loop: Header=BB231_20 Depth=2
	s_cmp_le_i32 s7, s19
	s_mov_b32 s14, s27
	s_mov_b32 s15, s7
	s_cbranch_scc1 .LBB231_26
.LBB231_23:                             ;   Parent Loop BB231_17 Depth=1
                                        ;     Parent Loop BB231_20 Depth=2
                                        ; =>    This Loop Header: Depth=3
                                        ;         Child Loop BB231_24 Depth 4
	s_mul_i32 s31, s15, 0x1c0
	v_add_u32_e32 v1, s31, v5
	ds_read_b128 v[1:4], v1
	s_mov_b32 s31, 0
	s_mov_b32 s33, s14
	;; [unrolled: 1-line block ×3, first 2 shown]
.LBB231_24:                             ;   Parent Loop BB231_17 Depth=1
                                        ;     Parent Loop BB231_20 Depth=2
                                        ;       Parent Loop BB231_23 Depth=3
                                        ; =>      This Inner Loop Header: Depth=4
	v_mov_b32_e32 v17, s31
	buffer_load_dword v11, v17, s[0:3], 0 offen
	buffer_load_dword v12, v17, s[0:3], 0 offen offset:4
	buffer_load_dword v13, v17, s[0:3], 0 offen offset:8
	;; [unrolled: 1-line block ×3, first 2 shown]
	v_mov_b32_e32 v7, s33
	ds_read_b128 v[7:10], v7
	s_add_i32 s34, s34, -1
	s_addk_i32 s33, 0xfe40
	s_add_i32 s31, s31, 16
	s_cmp_eq_u32 s34, 0
	s_waitcnt lgkmcnt(0)
	v_mul_f64 v[15:16], v[3:4], v[9:10]
	v_mul_f64 v[9:10], v[1:2], v[9:10]
	v_fma_f64 v[15:16], v[1:2], v[7:8], -v[15:16]
	v_fma_f64 v[7:8], v[3:4], v[7:8], v[9:10]
	s_waitcnt vmcnt(2)
	v_add_f64 v[9:10], v[11:12], -v[15:16]
	s_waitcnt vmcnt(0)
	v_add_f64 v[7:8], v[13:14], -v[7:8]
	buffer_store_dword v9, v17, s[0:3], 0 offen
	buffer_store_dword v10, v17, s[0:3], 0 offen offset:4
	buffer_store_dword v7, v17, s[0:3], 0 offen offset:8
	buffer_store_dword v8, v17, s[0:3], 0 offen offset:12
	s_cbranch_scc0 .LBB231_24
; %bb.25:                               ;   in Loop: Header=BB231_23 Depth=3
	s_add_i32 s15, s15, -1
	s_add_i32 s14, s14, -16
	s_cmp_le_i32 s15, s19
	s_cbranch_scc0 .LBB231_23
.LBB231_26:                             ;   in Loop: Header=BB231_20 Depth=2
	s_mul_i32 s31, s19, 0x1c0
	s_mov_b32 s33, 0
	s_mov_b32 s34, s29
	s_branch .LBB231_28
.LBB231_27:                             ;   in Loop: Header=BB231_28 Depth=3
	s_mul_i32 s14, s36, 0x1d0
	v_mov_b32_e32 v7, s14
	ds_read_b128 v[7:10], v7
	s_lshl_b32 s14, s33, 4
	s_add_i32 s33, s33, 1
	s_addk_i32 s34, 0xfe40
	s_cmp_eq_u32 s33, s23
	s_waitcnt vmcnt(0) lgkmcnt(0)
	v_mul_f64 v[11:12], v[9:10], v[3:4]
	v_mul_f64 v[3:4], v[7:8], v[3:4]
	v_fma_f64 v[7:8], v[7:8], v[1:2], -v[11:12]
	v_fma_f64 v[9:10], v[9:10], v[1:2], v[3:4]
	v_add_u32_e32 v1, s35, v5
	v_mov_b32_e32 v2, s14
	buffer_store_dword v8, v2, s[0:3], 0 offen offset:4
	buffer_store_dword v7, v2, s[0:3], 0 offen
	buffer_store_dword v10, v2, s[0:3], 0 offen offset:12
	buffer_store_dword v9, v2, s[0:3], 0 offen offset:8
	ds_write_b128 v1, v[7:10]
	s_cbranch_scc1 .LBB231_19
.LBB231_28:                             ;   Parent Loop BB231_17 Depth=1
                                        ;     Parent Loop BB231_20 Depth=2
                                        ; =>    This Loop Header: Depth=3
                                        ;         Child Loop BB231_30 Depth 4
	s_cmp_lg_u32 s33, 0
	s_cbranch_scc0 .LBB231_32
; %bb.29:                               ;   in Loop: Header=BB231_28 Depth=3
	s_lshl_b32 s14, s33, 4
	v_mov_b32_e32 v7, s14
	buffer_load_dword v1, v7, s[0:3], 0 offen
	buffer_load_dword v2, v7, s[0:3], 0 offen offset:4
	buffer_load_dword v3, v7, s[0:3], 0 offen offset:8
	;; [unrolled: 1-line block ×3, first 2 shown]
	s_sub_i32 s36, s19, s33
	s_mul_i32 s35, s36, 0x1c0
	s_mov_b32 s14, 0
	s_mov_b32 s15, s34
	;; [unrolled: 1-line block ×3, first 2 shown]
.LBB231_30:                             ;   Parent Loop BB231_17 Depth=1
                                        ;     Parent Loop BB231_20 Depth=2
                                        ;       Parent Loop BB231_28 Depth=3
                                        ; =>      This Inner Loop Header: Depth=4
	v_mov_b32_e32 v8, s14
	buffer_load_dword v12, v8, s[0:3], 0 offen offset:8
	buffer_load_dword v13, v8, s[0:3], 0 offen offset:12
	buffer_load_dword v14, v8, s[0:3], 0 offen
	buffer_load_dword v15, v8, s[0:3], 0 offen offset:4
	v_mov_b32_e32 v8, s15
	ds_read_b128 v[8:11], v8
	s_add_i32 s37, s37, -1
	s_add_i32 s15, s15, -16
	s_add_i32 s14, s14, 16
	s_cmp_eq_u32 s37, 0
	s_waitcnt vmcnt(2) lgkmcnt(0)
	v_mul_f64 v[16:17], v[10:11], v[12:13]
	v_mul_f64 v[12:13], v[8:9], v[12:13]
	s_waitcnt vmcnt(0)
	v_fma_f64 v[8:9], v[8:9], v[14:15], -v[16:17]
	v_fma_f64 v[10:11], v[10:11], v[14:15], v[12:13]
	v_add_f64 v[1:2], v[1:2], -v[8:9]
	v_add_f64 v[3:4], v[3:4], -v[10:11]
	buffer_store_dword v1, v7, s[0:3], 0 offen
	buffer_store_dword v2, v7, s[0:3], 0 offen offset:4
	buffer_store_dword v3, v7, s[0:3], 0 offen offset:8
	;; [unrolled: 1-line block ×3, first 2 shown]
	s_cbranch_scc0 .LBB231_30
; %bb.31:                               ;   in Loop: Header=BB231_28 Depth=3
	s_branch .LBB231_27
.LBB231_32:                             ;   in Loop: Header=BB231_28 Depth=3
                                        ; implicit-def: $vgpr1_vgpr2
                                        ; implicit-def: $vgpr3_vgpr4
                                        ; implicit-def: $sgpr36
                                        ; implicit-def: $sgpr35
	s_cbranch_execz .LBB231_27
; %bb.33:                               ;   in Loop: Header=BB231_28 Depth=3
	buffer_load_dword v1, off, s[0:3], 0
	buffer_load_dword v2, off, s[0:3], 0 offset:4
	buffer_load_dword v3, off, s[0:3], 0 offset:8
	;; [unrolled: 1-line block ×3, first 2 shown]
	s_mov_b32 s35, s31
	s_mov_b32 s36, s19
	s_branch .LBB231_27
.LBB231_34:
	s_mov_b64 s[12:13], 0
.LBB231_35:
	s_and_b64 vcc, exec, s[12:13]
	s_cbranch_vccz .LBB231_56
; %bb.36:
	v_mov_b32_e32 v1, 0x3100
	s_mov_b32 s13, 0
	v_lshl_add_u32 v6, v0, 4, v1
	s_mov_b32 s12, s13
	s_mov_b32 s7, s13
	s_branch .LBB231_38
.LBB231_37:                             ;   in Loop: Header=BB231_38 Depth=1
	s_cmp_ge_i32 s7, s28
	s_cselect_b64 s[14:15], -1, 0
	s_add_i32 s12, s12, 1
	s_cmp_eq_u32 s12, 3
	s_cselect_b64 s[18:19], -1, 0
	s_or_b64 s[14:15], s[14:15], s[18:19]
	s_and_b64 vcc, exec, s[14:15]
	s_cbranch_vccnz .LBB231_56
.LBB231_38:                             ; =>This Loop Header: Depth=1
                                        ;     Child Loop BB231_41 Depth 2
                                        ;       Child Loop BB231_42 Depth 3
                                        ;       Child Loop BB231_45 Depth 3
                                        ;         Child Loop BB231_46 Depth 4
                                        ;       Child Loop BB231_50 Depth 3
                                        ;         Child Loop BB231_52 Depth 4
	s_lshl_b64 s[14:15], s[12:13], 2
	s_getpc_b64 s[18:19]
	s_add_u32 s18, s18, __const._ZL38rocblas_trsm_small_left_device_sharedBILi28ELi28ELb1E19rocblas_complex_numIdES1_PKS1_PS1_Ev13rocblas_fill_18rocblas_operation_17rocblas_diagonal_iiT3_T4_lilT5_lili.step_sizes@rel32@lo+4
	s_addc_u32 s19, s19, __const._ZL38rocblas_trsm_small_left_device_sharedBILi28ELi28ELb1E19rocblas_complex_numIdES1_PKS1_PS1_Ev13rocblas_fill_18rocblas_operation_17rocblas_diagonal_iiT3_T4_lilT5_lili.step_sizes@rel32@hi+12
	s_add_u32 s14, s18, s14
	s_addc_u32 s15, s19, s15
	s_load_dword s18, s[14:15], 0x0
	s_waitcnt lgkmcnt(0)
	s_add_i32 s19, s18, -1
	s_add_i32 s14, s19, s7
	s_cmp_ge_i32 s14, s28
	s_cbranch_scc1 .LBB231_37
; %bb.39:                               ;   in Loop: Header=BB231_38 Depth=1
	s_mul_i32 s14, s7, 0x1c0
	s_max_i32 s20, s18, 1
	v_add_u32_e32 v7, s14, v6
	s_mul_i32 s22, s18, 0x1c0
	s_lshl_b32 s23, s7, 4
	s_lshl_b32 s26, s18, 4
	s_mul_i32 s27, s7, 0x1d0
	s_mul_i32 s29, s18, 0x1d0
	s_branch .LBB231_41
.LBB231_40:                             ;   in Loop: Header=BB231_41 Depth=2
	s_add_i32 s7, s7, s18
	s_add_i32 s14, s19, s7
	s_add_i32 s23, s23, s26
	s_add_i32 s27, s27, s29
	s_cmp_ge_i32 s14, s28
	v_add_u32_e32 v7, s22, v7
	s_cbranch_scc1 .LBB231_37
.LBB231_41:                             ;   Parent Loop BB231_38 Depth=1
                                        ; =>  This Loop Header: Depth=2
                                        ;       Child Loop BB231_42 Depth 3
                                        ;       Child Loop BB231_45 Depth 3
                                        ;         Child Loop BB231_46 Depth 4
                                        ;       Child Loop BB231_50 Depth 3
                                        ;         Child Loop BB231_52 Depth 4
	s_mov_b32 s14, 0
	v_mov_b32_e32 v1, v7
	s_mov_b32 s15, s20
.LBB231_42:                             ;   Parent Loop BB231_38 Depth=1
                                        ;     Parent Loop BB231_41 Depth=2
                                        ; =>    This Inner Loop Header: Depth=3
	ds_read_b128 v[8:11], v1
	v_mov_b32_e32 v2, s14
	s_add_i32 s15, s15, -1
	s_add_i32 s14, s14, 16
	v_add_u32_e32 v1, 0x1c0, v1
	s_cmp_eq_u32 s15, 0
	s_waitcnt lgkmcnt(0)
	buffer_store_dword v11, v2, s[0:3], 0 offen offset:12
	buffer_store_dword v10, v2, s[0:3], 0 offen offset:8
	;; [unrolled: 1-line block ×3, first 2 shown]
	buffer_store_dword v8, v2, s[0:3], 0 offen
	s_cbranch_scc0 .LBB231_42
; %bb.43:                               ;   in Loop: Header=BB231_41 Depth=2
	s_cmp_lt_i32 s7, 1
	s_cbranch_scc1 .LBB231_48
; %bb.44:                               ;   in Loop: Header=BB231_41 Depth=2
	s_mov_b32 s14, 0
	s_mov_b32 s15, s23
.LBB231_45:                             ;   Parent Loop BB231_38 Depth=1
                                        ;     Parent Loop BB231_41 Depth=2
                                        ; =>    This Loop Header: Depth=3
                                        ;         Child Loop BB231_46 Depth 4
	s_mul_i32 s30, s14, 0x1c0
	v_add_u32_e32 v1, s30, v5
	ds_read_b128 v[1:4], v1
	s_mov_b32 s30, 0
	s_mov_b32 s31, s15
	;; [unrolled: 1-line block ×3, first 2 shown]
.LBB231_46:                             ;   Parent Loop BB231_38 Depth=1
                                        ;     Parent Loop BB231_41 Depth=2
                                        ;       Parent Loop BB231_45 Depth=3
                                        ; =>      This Inner Loop Header: Depth=4
	v_mov_b32_e32 v18, s30
	buffer_load_dword v12, v18, s[0:3], 0 offen
	buffer_load_dword v13, v18, s[0:3], 0 offen offset:4
	buffer_load_dword v14, v18, s[0:3], 0 offen offset:8
	;; [unrolled: 1-line block ×3, first 2 shown]
	v_mov_b32_e32 v8, s31
	ds_read_b128 v[8:11], v8
	s_add_i32 s33, s33, -1
	s_add_i32 s31, s31, 16
	s_add_i32 s30, s30, 16
	s_cmp_eq_u32 s33, 0
	s_waitcnt lgkmcnt(0)
	v_mul_f64 v[16:17], v[3:4], v[10:11]
	v_mul_f64 v[10:11], v[1:2], v[10:11]
	v_fma_f64 v[16:17], v[1:2], v[8:9], -v[16:17]
	v_fma_f64 v[8:9], v[3:4], v[8:9], v[10:11]
	s_waitcnt vmcnt(2)
	v_add_f64 v[10:11], v[12:13], -v[16:17]
	s_waitcnt vmcnt(0)
	v_add_f64 v[8:9], v[14:15], -v[8:9]
	buffer_store_dword v10, v18, s[0:3], 0 offen
	buffer_store_dword v11, v18, s[0:3], 0 offen offset:4
	buffer_store_dword v8, v18, s[0:3], 0 offen offset:8
	;; [unrolled: 1-line block ×3, first 2 shown]
	s_cbranch_scc0 .LBB231_46
; %bb.47:                               ;   in Loop: Header=BB231_45 Depth=3
	s_add_i32 s14, s14, 1
	s_addk_i32 s15, 0x1c0
	s_cmp_eq_u32 s14, s7
	s_cbranch_scc0 .LBB231_45
.LBB231_48:                             ;   in Loop: Header=BB231_41 Depth=2
	s_mov_b32 s30, 0
	s_mov_b32 s31, s27
	s_branch .LBB231_50
.LBB231_49:                             ;   in Loop: Header=BB231_50 Depth=3
	s_add_i32 s14, s30, s7
	s_mul_i32 s15, s14, 0x1d0
	v_mov_b32_e32 v8, s15
	ds_read_b128 v[8:11], v8
	s_lshl_b32 s15, s30, 4
	s_add_i32 s30, s30, 1
	s_add_i32 s31, s31, 16
	s_mulk_i32 s14, 0x1c0
	s_waitcnt vmcnt(0) lgkmcnt(0)
	v_mul_f64 v[12:13], v[10:11], v[3:4]
	v_mul_f64 v[3:4], v[8:9], v[3:4]
	s_cmp_eq_u32 s30, s20
	v_fma_f64 v[8:9], v[8:9], v[1:2], -v[12:13]
	v_fma_f64 v[10:11], v[10:11], v[1:2], v[3:4]
	v_mov_b32_e32 v1, s15
	v_add_u32_e32 v2, s14, v5
	buffer_store_dword v9, v1, s[0:3], 0 offen offset:4
	buffer_store_dword v8, v1, s[0:3], 0 offen
	buffer_store_dword v11, v1, s[0:3], 0 offen offset:12
	buffer_store_dword v10, v1, s[0:3], 0 offen offset:8
	ds_write_b128 v2, v[8:11]
	s_cbranch_scc1 .LBB231_40
.LBB231_50:                             ;   Parent Loop BB231_38 Depth=1
                                        ;     Parent Loop BB231_41 Depth=2
                                        ; =>    This Loop Header: Depth=3
                                        ;         Child Loop BB231_52 Depth 4
	s_cmp_lg_u32 s30, 0
	s_cbranch_scc0 .LBB231_54
; %bb.51:                               ;   in Loop: Header=BB231_50 Depth=3
	s_lshl_b32 s14, s30, 4
	v_mov_b32_e32 v8, s14
	buffer_load_dword v1, v8, s[0:3], 0 offen
	buffer_load_dword v2, v8, s[0:3], 0 offen offset:4
	buffer_load_dword v3, v8, s[0:3], 0 offen offset:8
	;; [unrolled: 1-line block ×3, first 2 shown]
	s_mov_b32 s14, 0
	s_mov_b32 s15, s31
	;; [unrolled: 1-line block ×3, first 2 shown]
.LBB231_52:                             ;   Parent Loop BB231_38 Depth=1
                                        ;     Parent Loop BB231_41 Depth=2
                                        ;       Parent Loop BB231_50 Depth=3
                                        ; =>      This Inner Loop Header: Depth=4
	v_mov_b32_e32 v9, s14
	buffer_load_dword v13, v9, s[0:3], 0 offen offset:8
	buffer_load_dword v14, v9, s[0:3], 0 offen offset:12
	buffer_load_dword v15, v9, s[0:3], 0 offen
	buffer_load_dword v16, v9, s[0:3], 0 offen offset:4
	v_mov_b32_e32 v9, s15
	ds_read_b128 v[9:12], v9
	s_add_i32 s33, s33, -1
	s_addk_i32 s15, 0x1c0
	s_add_i32 s14, s14, 16
	s_cmp_eq_u32 s33, 0
	s_waitcnt vmcnt(2) lgkmcnt(0)
	v_mul_f64 v[17:18], v[11:12], v[13:14]
	v_mul_f64 v[13:14], v[9:10], v[13:14]
	s_waitcnt vmcnt(0)
	v_fma_f64 v[9:10], v[9:10], v[15:16], -v[17:18]
	v_fma_f64 v[11:12], v[11:12], v[15:16], v[13:14]
	v_add_f64 v[1:2], v[1:2], -v[9:10]
	v_add_f64 v[3:4], v[3:4], -v[11:12]
	buffer_store_dword v1, v8, s[0:3], 0 offen
	buffer_store_dword v2, v8, s[0:3], 0 offen offset:4
	buffer_store_dword v3, v8, s[0:3], 0 offen offset:8
	buffer_store_dword v4, v8, s[0:3], 0 offen offset:12
	s_cbranch_scc0 .LBB231_52
; %bb.53:                               ;   in Loop: Header=BB231_50 Depth=3
	s_branch .LBB231_49
.LBB231_54:                             ;   in Loop: Header=BB231_50 Depth=3
                                        ; implicit-def: $vgpr1_vgpr2
                                        ; implicit-def: $vgpr3_vgpr4
	s_cbranch_execz .LBB231_49
; %bb.55:                               ;   in Loop: Header=BB231_50 Depth=3
	buffer_load_dword v1, off, s[0:3], 0
	buffer_load_dword v2, off, s[0:3], 0 offset:4
	buffer_load_dword v3, off, s[0:3], 0 offset:8
	;; [unrolled: 1-line block ×3, first 2 shown]
	s_branch .LBB231_49
.LBB231_56:
	s_waitcnt lgkmcnt(0)
	; wave barrier
	s_and_saveexec_b64 s[12:13], s[4:5]
	s_cbranch_execz .LBB231_60
; %bb.57:
	s_andn2_b64 vcc, exec, s[16:17]
	s_cbranch_vccnz .LBB231_60
; %bb.58:
	s_lshl_b64 s[4:5], s[8:9], 4
	s_add_u32 s7, s10, s4
	s_addc_u32 s8, s11, s5
	s_lshl_b64 s[4:5], s[24:25], 4
	s_add_u32 s9, s7, s4
	s_addc_u32 s8, s8, s5
	s_mul_hi_i32 s5, s21, s6
	s_mul_i32 s4, s21, s6
	v_mad_i64_i32 v[1:2], s[6:7], s21, v0, 0
	s_lshl_b64 s[4:5], s[4:5], 4
	s_add_u32 s4, s9, s4
	v_lshlrev_b64 v[1:2], 4, v[1:2]
	s_addc_u32 s5, s8, s5
	v_mov_b32_e32 v3, s5
	v_add_co_u32_e32 v1, vcc, s4, v1
	v_addc_co_u32_e32 v2, vcc, v3, v2, vcc
	v_mov_b32_e32 v3, 0x3100
	v_lshl_add_u32 v0, v0, 4, v3
.LBB231_59:                             ; =>This Inner Loop Header: Depth=1
	ds_read2_b64 v[3:6], v0 offset1:1
	s_add_i32 s28, s28, -1
	v_add_u32_e32 v0, 0x1c0, v0
	s_cmp_lg_u32 s28, 0
	s_waitcnt lgkmcnt(0)
	global_store_dwordx4 v[1:2], v[3:6], off
	v_add_co_u32_e32 v1, vcc, 16, v1
	v_addc_co_u32_e32 v2, vcc, 0, v2, vcc
	s_cbranch_scc1 .LBB231_59
.LBB231_60:
	s_endpgm
	.section	.rodata,"a",@progbits
	.p2align	6, 0x0
	.amdhsa_kernel _ZL38rocblas_trsm_small_left_device_sharedBILi28ELi28ELb1E19rocblas_complex_numIdES1_PKS1_PS1_Ev13rocblas_fill_18rocblas_operation_17rocblas_diagonal_iiT3_T4_lilT5_lili
		.amdhsa_group_segment_fixed_size 25088
		.amdhsa_private_segment_fixed_size 464
		.amdhsa_kernarg_size 368
		.amdhsa_user_sgpr_count 6
		.amdhsa_user_sgpr_private_segment_buffer 1
		.amdhsa_user_sgpr_dispatch_ptr 0
		.amdhsa_user_sgpr_queue_ptr 0
		.amdhsa_user_sgpr_kernarg_segment_ptr 1
		.amdhsa_user_sgpr_dispatch_id 0
		.amdhsa_user_sgpr_flat_scratch_init 0
		.amdhsa_user_sgpr_private_segment_size 0
		.amdhsa_uses_dynamic_stack 0
		.amdhsa_system_sgpr_private_segment_wavefront_offset 1
		.amdhsa_system_sgpr_workgroup_id_x 1
		.amdhsa_system_sgpr_workgroup_id_y 0
		.amdhsa_system_sgpr_workgroup_id_z 1
		.amdhsa_system_sgpr_workgroup_info 0
		.amdhsa_system_vgpr_workitem_id 0
		.amdhsa_next_free_vgpr 129
		.amdhsa_next_free_sgpr 98
		.amdhsa_reserve_vcc 1
		.amdhsa_reserve_flat_scratch 0
		.amdhsa_float_round_mode_32 0
		.amdhsa_float_round_mode_16_64 0
		.amdhsa_float_denorm_mode_32 3
		.amdhsa_float_denorm_mode_16_64 3
		.amdhsa_dx10_clamp 1
		.amdhsa_ieee_mode 1
		.amdhsa_fp16_overflow 0
		.amdhsa_exception_fp_ieee_invalid_op 0
		.amdhsa_exception_fp_denorm_src 0
		.amdhsa_exception_fp_ieee_div_zero 0
		.amdhsa_exception_fp_ieee_overflow 0
		.amdhsa_exception_fp_ieee_underflow 0
		.amdhsa_exception_fp_ieee_inexact 0
		.amdhsa_exception_int_div_zero 0
	.end_amdhsa_kernel
	.section	.text._ZL38rocblas_trsm_small_left_device_sharedBILi28ELi28ELb1E19rocblas_complex_numIdES1_PKS1_PS1_Ev13rocblas_fill_18rocblas_operation_17rocblas_diagonal_iiT3_T4_lilT5_lili,"axG",@progbits,_ZL38rocblas_trsm_small_left_device_sharedBILi28ELi28ELb1E19rocblas_complex_numIdES1_PKS1_PS1_Ev13rocblas_fill_18rocblas_operation_17rocblas_diagonal_iiT3_T4_lilT5_lili,comdat
.Lfunc_end231:
	.size	_ZL38rocblas_trsm_small_left_device_sharedBILi28ELi28ELb1E19rocblas_complex_numIdES1_PKS1_PS1_Ev13rocblas_fill_18rocblas_operation_17rocblas_diagonal_iiT3_T4_lilT5_lili, .Lfunc_end231-_ZL38rocblas_trsm_small_left_device_sharedBILi28ELi28ELb1E19rocblas_complex_numIdES1_PKS1_PS1_Ev13rocblas_fill_18rocblas_operation_17rocblas_diagonal_iiT3_T4_lilT5_lili
                                        ; -- End function
	.set _ZL38rocblas_trsm_small_left_device_sharedBILi28ELi28ELb1E19rocblas_complex_numIdES1_PKS1_PS1_Ev13rocblas_fill_18rocblas_operation_17rocblas_diagonal_iiT3_T4_lilT5_lili.num_vgpr, 19
	.set _ZL38rocblas_trsm_small_left_device_sharedBILi28ELi28ELb1E19rocblas_complex_numIdES1_PKS1_PS1_Ev13rocblas_fill_18rocblas_operation_17rocblas_diagonal_iiT3_T4_lilT5_lili.num_agpr, 0
	.set _ZL38rocblas_trsm_small_left_device_sharedBILi28ELi28ELb1E19rocblas_complex_numIdES1_PKS1_PS1_Ev13rocblas_fill_18rocblas_operation_17rocblas_diagonal_iiT3_T4_lilT5_lili.numbered_sgpr, 38
	.set _ZL38rocblas_trsm_small_left_device_sharedBILi28ELi28ELb1E19rocblas_complex_numIdES1_PKS1_PS1_Ev13rocblas_fill_18rocblas_operation_17rocblas_diagonal_iiT3_T4_lilT5_lili.num_named_barrier, 0
	.set _ZL38rocblas_trsm_small_left_device_sharedBILi28ELi28ELb1E19rocblas_complex_numIdES1_PKS1_PS1_Ev13rocblas_fill_18rocblas_operation_17rocblas_diagonal_iiT3_T4_lilT5_lili.private_seg_size, 464
	.set _ZL38rocblas_trsm_small_left_device_sharedBILi28ELi28ELb1E19rocblas_complex_numIdES1_PKS1_PS1_Ev13rocblas_fill_18rocblas_operation_17rocblas_diagonal_iiT3_T4_lilT5_lili.uses_vcc, 1
	.set _ZL38rocblas_trsm_small_left_device_sharedBILi28ELi28ELb1E19rocblas_complex_numIdES1_PKS1_PS1_Ev13rocblas_fill_18rocblas_operation_17rocblas_diagonal_iiT3_T4_lilT5_lili.uses_flat_scratch, 0
	.set _ZL38rocblas_trsm_small_left_device_sharedBILi28ELi28ELb1E19rocblas_complex_numIdES1_PKS1_PS1_Ev13rocblas_fill_18rocblas_operation_17rocblas_diagonal_iiT3_T4_lilT5_lili.has_dyn_sized_stack, 0
	.set _ZL38rocblas_trsm_small_left_device_sharedBILi28ELi28ELb1E19rocblas_complex_numIdES1_PKS1_PS1_Ev13rocblas_fill_18rocblas_operation_17rocblas_diagonal_iiT3_T4_lilT5_lili.has_recursion, 0
	.set _ZL38rocblas_trsm_small_left_device_sharedBILi28ELi28ELb1E19rocblas_complex_numIdES1_PKS1_PS1_Ev13rocblas_fill_18rocblas_operation_17rocblas_diagonal_iiT3_T4_lilT5_lili.has_indirect_call, 0
	.section	.AMDGPU.csdata,"",@progbits
; Kernel info:
; codeLenInByte = 3100
; TotalNumSgprs: 42
; NumVgprs: 19
; ScratchSize: 464
; MemoryBound: 0
; FloatMode: 240
; IeeeMode: 1
; LDSByteSize: 25088 bytes/workgroup (compile time only)
; SGPRBlocks: 12
; VGPRBlocks: 32
; NumSGPRsForWavesPerEU: 102
; NumVGPRsForWavesPerEU: 129
; Occupancy: 1
; WaveLimiterHint : 0
; COMPUTE_PGM_RSRC2:SCRATCH_EN: 1
; COMPUTE_PGM_RSRC2:USER_SGPR: 6
; COMPUTE_PGM_RSRC2:TRAP_HANDLER: 0
; COMPUTE_PGM_RSRC2:TGID_X_EN: 1
; COMPUTE_PGM_RSRC2:TGID_Y_EN: 0
; COMPUTE_PGM_RSRC2:TGID_Z_EN: 1
; COMPUTE_PGM_RSRC2:TIDIG_COMP_CNT: 0
	.section	.text._ZL30rocblas_trsm_small_left_deviceILi28ELi28ELb1E19rocblas_complex_numIdES1_PKS1_PS1_Ev13rocblas_fill_18rocblas_operation_17rocblas_diagonal_iiT3_T4_lilT5_lili,"axG",@progbits,_ZL30rocblas_trsm_small_left_deviceILi28ELi28ELb1E19rocblas_complex_numIdES1_PKS1_PS1_Ev13rocblas_fill_18rocblas_operation_17rocblas_diagonal_iiT3_T4_lilT5_lili,comdat
	.globl	_ZL30rocblas_trsm_small_left_deviceILi28ELi28ELb1E19rocblas_complex_numIdES1_PKS1_PS1_Ev13rocblas_fill_18rocblas_operation_17rocblas_diagonal_iiT3_T4_lilT5_lili ; -- Begin function _ZL30rocblas_trsm_small_left_deviceILi28ELi28ELb1E19rocblas_complex_numIdES1_PKS1_PS1_Ev13rocblas_fill_18rocblas_operation_17rocblas_diagonal_iiT3_T4_lilT5_lili
	.p2align	8
	.type	_ZL30rocblas_trsm_small_left_deviceILi28ELi28ELb1E19rocblas_complex_numIdES1_PKS1_PS1_Ev13rocblas_fill_18rocblas_operation_17rocblas_diagonal_iiT3_T4_lilT5_lili,@function
_ZL30rocblas_trsm_small_left_deviceILi28ELi28ELb1E19rocblas_complex_numIdES1_PKS1_PS1_Ev13rocblas_fill_18rocblas_operation_17rocblas_diagonal_iiT3_T4_lilT5_lili: ; @_ZL30rocblas_trsm_small_left_deviceILi28ELi28ELb1E19rocblas_complex_numIdES1_PKS1_PS1_Ev13rocblas_fill_18rocblas_operation_17rocblas_diagonal_iiT3_T4_lilT5_lili
; %bb.0:
	s_add_u32 s0, s0, s8
	s_load_dwordx4 s[20:23], s[4:5], 0x4
	s_load_dwordx8 s[12:19], s[4:5], 0x18
	s_load_dwordx4 s[8:11], s[4:5], 0x40
	s_load_dwordx2 s[24:25], s[4:5], 0x50
	s_load_dword s29, s[4:5], 0x70
	s_addc_u32 s1, s1, 0
	s_waitcnt lgkmcnt(0)
	s_min_i32 s28, s22, 28
	v_cmp_gt_i32_e32 vcc, s28, v0
	s_and_saveexec_b64 s[26:27], vcc
	s_cbranch_execz .LBB232_11
; %bb.1:
	s_load_dword s30, s[4:5], 0x38
	s_mul_i32 s9, s9, s7
	s_mul_hi_u32 s22, s8, s7
	s_mul_i32 s8, s8, s7
	v_lshlrev_b32_e32 v3, 4, v0
	s_waitcnt lgkmcnt(0)
	s_ashr_i32 s31, s30, 31
	s_cmpk_eq_i32 s20, 0x71
	s_cselect_b64 vcc, -1, 0
	s_add_i32 s9, s22, s9
	s_lshl_b64 s[8:9], s[8:9], 4
	s_lshl_b64 s[18:19], s[18:19], 4
	s_add_u32 s8, s8, s18
	s_addc_u32 s9, s9, s19
	s_add_u32 s8, s16, s8
	s_addc_u32 s9, s17, s9
	v_mov_b32_e32 v1, s9
	v_add_co_u32_e64 v2, s[8:9], s8, v3
	v_addc_co_u32_e64 v4, s[8:9], 0, v1, s[8:9]
	v_add_co_u32_e64 v1, s[8:9], 8, v2
	s_lshl_b64 s[16:17], s[30:31], 4
	v_addc_co_u32_e64 v2, s[8:9], 0, v4, s[8:9]
	v_mov_b32_e32 v4, s17
	v_mov_b32_e32 v5, v3
	s_mov_b32 s17, s28
.LBB232_2:                              ; =>This Inner Loop Header: Depth=1
	global_load_dwordx4 v[6:9], v[1:2], off offset:-8
	s_add_i32 s17, s17, -1
	v_add_co_u32_e64 v1, s[8:9], s16, v1
	v_addc_co_u32_e64 v2, s[8:9], v2, v4, s[8:9]
	s_cmp_eq_u32 s17, 0
	s_waitcnt vmcnt(0)
	v_xor_b32_e32 v10, 0x80000000, v9
	v_cndmask_b32_e32 v9, v9, v10, vcc
	ds_write_b128 v5, v[6:9]
	v_add_u32_e32 v5, 0x1c0, v5
	s_cbranch_scc0 .LBB232_2
; %bb.3:
	v_mul_u32_u24_e32 v1, 0x1c0, v0
	s_cmpk_lg_i32 s21, 0x84
	v_add_u32_e32 v9, v3, v1
	s_cbranch_scc0 .LBB232_9
; %bb.4:
	ds_read_b128 v[1:4], v9
                                        ; implicit-def: $vgpr7_vgpr8
	s_waitcnt lgkmcnt(0)
	v_cmp_ngt_f64_e64 s[8:9], |v[1:2]|, |v[3:4]|
	s_and_saveexec_b64 s[16:17], s[8:9]
	s_xor_b64 s[8:9], exec, s[16:17]
	s_cbranch_execz .LBB232_6
; %bb.5:
	v_div_scale_f64 v[5:6], s[16:17], v[3:4], v[3:4], v[1:2]
	v_rcp_f64_e32 v[7:8], v[5:6]
	v_fma_f64 v[10:11], -v[5:6], v[7:8], 1.0
	v_fma_f64 v[7:8], v[7:8], v[10:11], v[7:8]
	v_div_scale_f64 v[10:11], vcc, v[1:2], v[3:4], v[1:2]
	v_fma_f64 v[12:13], -v[5:6], v[7:8], 1.0
	v_fma_f64 v[7:8], v[7:8], v[12:13], v[7:8]
	v_mul_f64 v[12:13], v[10:11], v[7:8]
	v_fma_f64 v[5:6], -v[5:6], v[12:13], v[10:11]
	v_div_fmas_f64 v[5:6], v[5:6], v[7:8], v[12:13]
	v_div_fixup_f64 v[5:6], v[5:6], v[3:4], v[1:2]
	v_fma_f64 v[1:2], v[1:2], v[5:6], v[3:4]
	v_div_scale_f64 v[3:4], s[16:17], v[1:2], v[1:2], 1.0
	v_rcp_f64_e32 v[7:8], v[3:4]
	v_fma_f64 v[10:11], -v[3:4], v[7:8], 1.0
	v_fma_f64 v[7:8], v[7:8], v[10:11], v[7:8]
	v_div_scale_f64 v[10:11], vcc, 1.0, v[1:2], 1.0
	v_fma_f64 v[12:13], -v[3:4], v[7:8], 1.0
	v_fma_f64 v[7:8], v[7:8], v[12:13], v[7:8]
	v_mul_f64 v[12:13], v[10:11], v[7:8]
	v_fma_f64 v[3:4], -v[3:4], v[12:13], v[10:11]
	v_div_fmas_f64 v[3:4], v[3:4], v[7:8], v[12:13]
	v_add_f64 v[7:8], v[5:6], 0
	v_div_fixup_f64 v[1:2], v[3:4], v[1:2], 1.0
	v_fma_f64 v[3:4], v[5:6], 0, -1.0
	v_mul_f64 v[5:6], v[7:8], v[1:2]
	v_mul_f64 v[7:8], v[3:4], v[1:2]
                                        ; implicit-def: $vgpr1_vgpr2
.LBB232_6:
	s_andn2_saveexec_b64 s[8:9], s[8:9]
	s_cbranch_execz .LBB232_8
; %bb.7:
	v_div_scale_f64 v[5:6], s[16:17], v[1:2], v[1:2], v[3:4]
	v_rcp_f64_e32 v[7:8], v[5:6]
	v_fma_f64 v[10:11], -v[5:6], v[7:8], 1.0
	v_fma_f64 v[7:8], v[7:8], v[10:11], v[7:8]
	v_div_scale_f64 v[10:11], vcc, v[3:4], v[1:2], v[3:4]
	v_fma_f64 v[12:13], -v[5:6], v[7:8], 1.0
	v_fma_f64 v[7:8], v[7:8], v[12:13], v[7:8]
	v_mul_f64 v[12:13], v[10:11], v[7:8]
	v_fma_f64 v[5:6], -v[5:6], v[12:13], v[10:11]
	v_div_fmas_f64 v[5:6], v[5:6], v[7:8], v[12:13]
	v_div_fixup_f64 v[5:6], v[5:6], v[1:2], v[3:4]
	v_fma_f64 v[1:2], v[3:4], v[5:6], v[1:2]
	v_div_scale_f64 v[3:4], s[16:17], v[1:2], v[1:2], 1.0
	v_rcp_f64_e32 v[7:8], v[3:4]
	v_fma_f64 v[10:11], -v[3:4], v[7:8], 1.0
	v_fma_f64 v[7:8], v[7:8], v[10:11], v[7:8]
	v_div_scale_f64 v[10:11], vcc, 1.0, v[1:2], 1.0
	v_fma_f64 v[12:13], -v[3:4], v[7:8], 1.0
	v_fma_f64 v[7:8], v[7:8], v[12:13], v[7:8]
	v_mul_f64 v[12:13], v[10:11], v[7:8]
	v_fma_f64 v[3:4], -v[3:4], v[12:13], v[10:11]
	v_div_fmas_f64 v[3:4], v[3:4], v[7:8], v[12:13]
	v_fma_f64 v[7:8], v[5:6], 0, 1.0
	v_div_fixup_f64 v[1:2], v[3:4], v[1:2], 1.0
	v_add_f64 v[3:4], -v[5:6], 0
	v_mul_f64 v[5:6], v[7:8], v[1:2]
	v_mul_f64 v[7:8], v[3:4], v[1:2]
.LBB232_8:
	s_or_b64 exec, exec, s[8:9]
	s_branch .LBB232_10
.LBB232_9:
	v_mov_b32_e32 v7, 0
	v_mov_b32_e32 v5, 0
	;; [unrolled: 1-line block ×4, first 2 shown]
.LBB232_10:
	ds_write_b128 v9, v[5:8]
.LBB232_11:
	s_or_b64 exec, exec, s[26:27]
	s_mul_i32 s8, s6, 0xffffffe4
	s_add_i32 s29, s29, -1
	s_add_i32 s8, s23, s8
	s_cmp_ge_u32 s6, s29
	s_cselect_b32 s8, s8, 28
	v_cmp_gt_i32_e32 vcc, s8, v0
	s_waitcnt lgkmcnt(0)
	; wave barrier
	s_and_saveexec_b64 s[8:9], vcc
	s_cbranch_execz .LBB232_54
; %bb.12:
	s_load_dwordx2 s[8:9], s[4:5], 0x60
	s_load_dword s16, s[4:5], 0x58
	s_waitcnt lgkmcnt(0)
	s_mul_i32 s5, s9, s7
	s_mul_hi_u32 s9, s8, s7
	s_mul_i32 s4, s8, s7
	v_mad_u64_u32 v[0:1], s[6:7], s6, 28, v[0:1]
	s_add_i32 s5, s9, s5
	s_lshl_b64 s[4:5], s[4:5], 4
	v_mad_i64_i32 v[0:1], s[6:7], s16, v0, 0
	s_add_u32 s8, s10, s4
	s_addc_u32 s9, s11, s5
	s_lshl_b64 s[6:7], s[24:25], 4
	s_add_u32 s8, s8, s6
	v_lshlrev_b64 v[4:5], 4, v[0:1]
	s_addc_u32 s9, s9, s7
	v_mov_b32_e32 v0, s9
	v_add_co_u32_e32 v6, vcc, s8, v4
	v_addc_co_u32_e32 v7, vcc, v0, v5, vcc
	s_cmpk_eq_i32 s20, 0x6f
	s_mov_b64 s[8:9], -1
	s_cbranch_scc1 .LBB232_33
; %bb.13:
	s_add_i32 s24, s28, -1
	s_add_u32 s8, s10, s6
	s_addc_u32 s9, s11, s7
	s_add_u32 s8, s8, s4
	s_addc_u32 s9, s9, s5
	v_mov_b32_e32 v0, s9
	v_add_co_u32_e32 v1, vcc, s8, v4
	v_addc_co_u32_e32 v0, vcc, v0, v5, vcc
	v_add_co_u32_e32 v8, vcc, 8, v1
	s_lshl_b32 s25, s28, 4
	s_mov_b32 s9, 0
	v_addc_co_u32_e32 v9, vcc, 0, v0, vcc
	s_add_i32 s25, s25, -16
	s_mov_b32 s8, s9
	s_mov_b32 s16, s24
	s_branch .LBB232_15
.LBB232_14:                             ;   in Loop: Header=BB232_15 Depth=1
	s_cmp_lt_i32 s16, 0
	s_cselect_b64 s[18:19], -1, 0
	s_add_i32 s8, s8, 1
	s_cmp_eq_u32 s8, 3
	s_cselect_b64 s[20:21], -1, 0
	s_or_b64 s[18:19], s[18:19], s[20:21]
	s_andn2_b64 vcc, exec, s[18:19]
	s_cbranch_vccz .LBB232_32
.LBB232_15:                             ; =>This Loop Header: Depth=1
                                        ;     Child Loop BB232_18 Depth 2
                                        ;       Child Loop BB232_19 Depth 3
                                        ;       Child Loop BB232_21 Depth 3
                                        ;         Child Loop BB232_22 Depth 4
                                        ;       Child Loop BB232_26 Depth 3
                                        ;         Child Loop BB232_28 Depth 4
	s_lshl_b64 s[18:19], s[8:9], 2
	s_getpc_b64 s[20:21]
	s_add_u32 s20, s20, __const._ZL30rocblas_trsm_small_left_deviceILi28ELi28ELb1E19rocblas_complex_numIdES1_PKS1_PS1_Ev13rocblas_fill_18rocblas_operation_17rocblas_diagonal_iiT3_T4_lilT5_lili.step_sizes@rel32@lo+4
	s_addc_u32 s21, s21, __const._ZL30rocblas_trsm_small_left_deviceILi28ELi28ELb1E19rocblas_complex_numIdES1_PKS1_PS1_Ev13rocblas_fill_18rocblas_operation_17rocblas_diagonal_iiT3_T4_lilT5_lili.step_sizes@rel32@hi+12
	s_add_u32 s18, s20, s18
	s_addc_u32 s19, s21, s19
	s_load_dword s26, s[18:19], 0x0
	s_waitcnt lgkmcnt(0)
	s_add_i32 s27, s26, -1
	s_cmp_lt_i32 s16, s27
	s_cbranch_scc1 .LBB232_14
; %bb.16:                               ;   in Loop: Header=BB232_15 Depth=1
	s_mul_i32 s17, s16, 0x1c0
	s_max_i32 s29, s26, 1
	s_add_i32 s30, s25, s17
	s_mul_i32 s31, s26, 0xfffffe40
	s_mul_i32 s33, s16, 0x1d0
	s_mul_i32 s34, s26, 0xfffffe30
	s_branch .LBB232_18
.LBB232_17:                             ;   in Loop: Header=BB232_18 Depth=2
	s_sub_i32 s16, s16, s26
	s_add_i32 s30, s30, s31
	s_add_i32 s33, s33, s34
	s_cmp_lt_i32 s16, s27
	s_cbranch_scc1 .LBB232_14
.LBB232_18:                             ;   Parent Loop BB232_15 Depth=1
                                        ; =>  This Loop Header: Depth=2
                                        ;       Child Loop BB232_19 Depth 3
                                        ;       Child Loop BB232_21 Depth 3
                                        ;         Child Loop BB232_22 Depth 4
                                        ;       Child Loop BB232_26 Depth 3
                                        ;         Child Loop BB232_28 Depth 4
	s_ashr_i32 s17, s16, 31
	s_lshl_b64 s[18:19], s[16:17], 4
	v_mov_b32_e32 v1, s19
	v_add_co_u32_e32 v0, vcc, s18, v8
	v_addc_co_u32_e32 v1, vcc, v9, v1, vcc
	s_mov_b32 s18, 0
	s_mov_b32 s19, s29
.LBB232_19:                             ;   Parent Loop BB232_15 Depth=1
                                        ;     Parent Loop BB232_18 Depth=2
                                        ; =>    This Inner Loop Header: Depth=3
	global_load_dwordx4 v[10:13], v[0:1], off offset:-8
	v_mov_b32_e32 v14, s18
	s_add_i32 s19, s19, -1
	v_add_co_u32_e32 v0, vcc, -16, v0
	s_add_i32 s18, s18, 16
	v_addc_co_u32_e32 v1, vcc, -1, v1, vcc
	s_cmp_eq_u32 s19, 0
	s_waitcnt vmcnt(0)
	v_mul_f64 v[2:3], s[14:15], v[12:13]
	v_mul_f64 v[12:13], s[12:13], v[12:13]
	v_fma_f64 v[2:3], s[12:13], v[10:11], -v[2:3]
	v_fma_f64 v[10:11], s[14:15], v[10:11], v[12:13]
	buffer_store_dword v3, v14, s[0:3], 0 offen offset:4
	buffer_store_dword v2, v14, s[0:3], 0 offen
	buffer_store_dword v11, v14, s[0:3], 0 offen offset:12
	buffer_store_dword v10, v14, s[0:3], 0 offen offset:8
	s_cbranch_scc0 .LBB232_19
; %bb.20:                               ;   in Loop: Header=BB232_18 Depth=2
	s_cmp_le_i32 s24, s16
	s_mov_b32 s20, s30
	s_mov_b32 s18, s24
	s_cbranch_scc1 .LBB232_24
.LBB232_21:                             ;   Parent Loop BB232_15 Depth=1
                                        ;     Parent Loop BB232_18 Depth=2
                                        ; =>    This Loop Header: Depth=3
                                        ;         Child Loop BB232_22 Depth 4
	s_ashr_i32 s19, s18, 31
	s_lshl_b64 s[22:23], s[18:19], 4
	v_mov_b32_e32 v1, s23
	v_add_co_u32_e32 v0, vcc, s22, v6
	v_addc_co_u32_e32 v1, vcc, v7, v1, vcc
	global_load_dwordx4 v[0:3], v[0:1], off
	s_mov_b32 s19, 0
	s_mov_b32 s21, s20
	;; [unrolled: 1-line block ×3, first 2 shown]
.LBB232_22:                             ;   Parent Loop BB232_15 Depth=1
                                        ;     Parent Loop BB232_18 Depth=2
                                        ;       Parent Loop BB232_21 Depth=3
                                        ; =>      This Inner Loop Header: Depth=4
	v_mov_b32_e32 v20, s19
	buffer_load_dword v14, v20, s[0:3], 0 offen
	buffer_load_dword v15, v20, s[0:3], 0 offen offset:4
	buffer_load_dword v16, v20, s[0:3], 0 offen offset:8
	;; [unrolled: 1-line block ×3, first 2 shown]
	v_mov_b32_e32 v10, s21
	ds_read_b128 v[10:13], v10
	s_add_i32 s22, s22, -1
	s_addk_i32 s21, 0xfe40
	s_add_i32 s19, s19, 16
	s_cmp_eq_u32 s22, 0
	s_waitcnt vmcnt(4) lgkmcnt(0)
	v_mul_f64 v[18:19], v[2:3], v[12:13]
	v_mul_f64 v[12:13], v[0:1], v[12:13]
	v_fma_f64 v[18:19], v[0:1], v[10:11], -v[18:19]
	v_fma_f64 v[10:11], v[2:3], v[10:11], v[12:13]
	s_waitcnt vmcnt(2)
	v_add_f64 v[12:13], v[14:15], -v[18:19]
	s_waitcnt vmcnt(0)
	v_add_f64 v[10:11], v[16:17], -v[10:11]
	buffer_store_dword v12, v20, s[0:3], 0 offen
	buffer_store_dword v13, v20, s[0:3], 0 offen offset:4
	buffer_store_dword v10, v20, s[0:3], 0 offen offset:8
	;; [unrolled: 1-line block ×3, first 2 shown]
	s_cbranch_scc0 .LBB232_22
; %bb.23:                               ;   in Loop: Header=BB232_21 Depth=3
	s_add_i32 s18, s18, -1
	s_add_i32 s20, s20, -16
	s_cmp_le_i32 s18, s16
	s_cbranch_scc0 .LBB232_21
.LBB232_24:                             ;   in Loop: Header=BB232_18 Depth=2
	s_mov_b32 s35, 0
	s_mov_b32 s36, s33
	s_branch .LBB232_26
.LBB232_25:                             ;   in Loop: Header=BB232_26 Depth=3
	s_mulk_i32 s20, 0x1d0
	v_mov_b32_e32 v10, s20
	ds_read_b128 v[10:13], v10
	s_lshl_b64 s[18:19], s[18:19], 4
	s_lshl_b32 s20, s35, 4
	s_add_i32 s35, s35, 1
	s_addk_i32 s36, 0xfe40
	s_waitcnt vmcnt(0) lgkmcnt(0)
	v_mul_f64 v[14:15], v[12:13], v[2:3]
	v_mul_f64 v[2:3], v[10:11], v[2:3]
	v_mov_b32_e32 v16, s20
	s_cmp_eq_u32 s35, s29
	v_fma_f64 v[10:11], v[10:11], v[0:1], -v[14:15]
	v_fma_f64 v[12:13], v[12:13], v[0:1], v[2:3]
	v_mov_b32_e32 v14, s19
	v_add_co_u32_e32 v0, vcc, s18, v6
	v_addc_co_u32_e32 v1, vcc, v7, v14, vcc
	buffer_store_dword v11, v16, s[0:3], 0 offen offset:4
	buffer_store_dword v10, v16, s[0:3], 0 offen
	buffer_store_dword v13, v16, s[0:3], 0 offen offset:12
	buffer_store_dword v12, v16, s[0:3], 0 offen offset:8
	global_store_dwordx4 v[0:1], v[10:13], off
	s_cbranch_scc1 .LBB232_17
.LBB232_26:                             ;   Parent Loop BB232_15 Depth=1
                                        ;     Parent Loop BB232_18 Depth=2
                                        ; =>    This Loop Header: Depth=3
                                        ;         Child Loop BB232_28 Depth 4
	s_cmp_lg_u32 s35, 0
	s_cbranch_scc0 .LBB232_30
; %bb.27:                               ;   in Loop: Header=BB232_26 Depth=3
	s_lshl_b32 s18, s35, 4
	v_mov_b32_e32 v10, s18
	buffer_load_dword v0, v10, s[0:3], 0 offen
	buffer_load_dword v1, v10, s[0:3], 0 offen offset:4
	buffer_load_dword v2, v10, s[0:3], 0 offen offset:8
	;; [unrolled: 1-line block ×3, first 2 shown]
	s_mov_b32 s18, 0
	s_mov_b32 s19, s36
	;; [unrolled: 1-line block ×3, first 2 shown]
.LBB232_28:                             ;   Parent Loop BB232_15 Depth=1
                                        ;     Parent Loop BB232_18 Depth=2
                                        ;       Parent Loop BB232_26 Depth=3
                                        ; =>      This Inner Loop Header: Depth=4
	v_mov_b32_e32 v11, s18
	buffer_load_dword v15, v11, s[0:3], 0 offen offset:8
	buffer_load_dword v16, v11, s[0:3], 0 offen offset:12
	buffer_load_dword v17, v11, s[0:3], 0 offen
	buffer_load_dword v18, v11, s[0:3], 0 offen offset:4
	v_mov_b32_e32 v11, s19
	ds_read_b128 v[11:14], v11
	s_add_i32 s20, s20, -1
	s_add_i32 s19, s19, -16
	s_add_i32 s18, s18, 16
	s_cmp_eq_u32 s20, 0
	s_waitcnt vmcnt(2) lgkmcnt(0)
	v_mul_f64 v[19:20], v[13:14], v[15:16]
	v_mul_f64 v[15:16], v[11:12], v[15:16]
	s_waitcnt vmcnt(0)
	v_fma_f64 v[11:12], v[11:12], v[17:18], -v[19:20]
	v_fma_f64 v[13:14], v[13:14], v[17:18], v[15:16]
	v_add_f64 v[0:1], v[0:1], -v[11:12]
	v_add_f64 v[2:3], v[2:3], -v[13:14]
	buffer_store_dword v0, v10, s[0:3], 0 offen
	buffer_store_dword v1, v10, s[0:3], 0 offen offset:4
	buffer_store_dword v2, v10, s[0:3], 0 offen offset:8
	;; [unrolled: 1-line block ×3, first 2 shown]
	s_cbranch_scc0 .LBB232_28
; %bb.29:                               ;   in Loop: Header=BB232_26 Depth=3
	s_sub_i32 s20, s16, s35
	s_ashr_i32 s21, s20, 31
	s_mov_b64 s[18:19], s[20:21]
	s_branch .LBB232_25
.LBB232_30:                             ;   in Loop: Header=BB232_26 Depth=3
                                        ; implicit-def: $vgpr0_vgpr1
                                        ; implicit-def: $vgpr2_vgpr3
                                        ; implicit-def: $sgpr20
                                        ; implicit-def: $sgpr18_sgpr19
	s_cbranch_execz .LBB232_25
; %bb.31:                               ;   in Loop: Header=BB232_26 Depth=3
	buffer_load_dword v0, off, s[0:3], 0
	buffer_load_dword v1, off, s[0:3], 0 offset:4
	buffer_load_dword v2, off, s[0:3], 0 offset:8
	;; [unrolled: 1-line block ×3, first 2 shown]
	s_mov_b64 s[18:19], s[16:17]
	s_mov_b32 s20, s16
	s_branch .LBB232_25
.LBB232_32:
	s_mov_b64 s[8:9], 0
.LBB232_33:
	s_and_b64 vcc, exec, s[8:9]
	s_cbranch_vccz .LBB232_54
; %bb.34:
	s_add_u32 s6, s10, s6
	s_addc_u32 s7, s11, s7
	s_add_u32 s4, s6, s4
	s_addc_u32 s5, s7, s5
	v_mov_b32_e32 v0, s5
	v_add_co_u32_e32 v1, vcc, s4, v4
	v_addc_co_u32_e32 v0, vcc, v0, v5, vcc
	v_add_co_u32_e32 v8, vcc, 8, v1
	s_mov_b32 s5, 0
	v_addc_co_u32_e32 v9, vcc, 0, v0, vcc
	s_mov_b32 s6, s5
	s_mov_b32 s8, s5
	s_branch .LBB232_36
.LBB232_35:                             ;   in Loop: Header=BB232_36 Depth=1
	s_cmp_ge_i32 s6, s28
	s_cselect_b64 s[10:11], -1, 0
	s_add_i32 s8, s8, 1
	s_cmp_eq_u32 s8, 3
	s_cselect_b64 s[16:17], -1, 0
	s_or_b64 s[10:11], s[10:11], s[16:17]
	s_and_b64 vcc, exec, s[10:11]
	s_cbranch_vccnz .LBB232_54
.LBB232_36:                             ; =>This Loop Header: Depth=1
                                        ;     Child Loop BB232_39 Depth 2
                                        ;       Child Loop BB232_40 Depth 3
                                        ;       Child Loop BB232_43 Depth 3
                                        ;         Child Loop BB232_44 Depth 4
                                        ;       Child Loop BB232_48 Depth 3
                                        ;         Child Loop BB232_50 Depth 4
	s_mov_b32 s9, s5
	s_lshl_b64 s[10:11], s[8:9], 2
	s_getpc_b64 s[16:17]
	s_add_u32 s16, s16, __const._ZL30rocblas_trsm_small_left_deviceILi28ELi28ELb1E19rocblas_complex_numIdES1_PKS1_PS1_Ev13rocblas_fill_18rocblas_operation_17rocblas_diagonal_iiT3_T4_lilT5_lili.step_sizes@rel32@lo+4
	s_addc_u32 s17, s17, __const._ZL30rocblas_trsm_small_left_deviceILi28ELi28ELb1E19rocblas_complex_numIdES1_PKS1_PS1_Ev13rocblas_fill_18rocblas_operation_17rocblas_diagonal_iiT3_T4_lilT5_lili.step_sizes@rel32@hi+12
	s_add_u32 s10, s16, s10
	s_addc_u32 s11, s17, s11
	s_load_dword s10, s[10:11], 0x0
	s_waitcnt lgkmcnt(0)
	s_add_i32 s9, s10, -1
	s_add_i32 s4, s9, s6
	s_cmp_ge_i32 s4, s28
	s_cbranch_scc1 .LBB232_35
; %bb.37:                               ;   in Loop: Header=BB232_36 Depth=1
	s_ashr_i32 s7, s6, 31
	s_lshl_b64 s[16:17], s[6:7], 4
	s_ashr_i32 s11, s10, 31
	v_mov_b32_e32 v0, s17
	v_add_co_u32_e32 v4, vcc, s16, v8
	s_lshl_b64 s[16:17], s[10:11], 4
	s_max_i32 s20, s10, 1
	v_addc_co_u32_e32 v5, vcc, v9, v0, vcc
	s_lshl_b32 s7, s6, 4
	s_lshl_b32 s11, s10, 4
	s_mul_i32 s21, s6, 0x1d0
	s_mul_i32 s22, s10, 0x1d0
	v_mov_b32_e32 v10, s17
	s_branch .LBB232_39
.LBB232_38:                             ;   in Loop: Header=BB232_39 Depth=2
	s_add_i32 s6, s6, s10
	s_add_i32 s4, s9, s6
	;; [unrolled: 1-line block ×4, first 2 shown]
	v_add_co_u32_e32 v4, vcc, s16, v4
	s_cmp_ge_i32 s4, s28
	v_addc_co_u32_e32 v5, vcc, v5, v10, vcc
	s_cbranch_scc1 .LBB232_35
.LBB232_39:                             ;   Parent Loop BB232_36 Depth=1
                                        ; =>  This Loop Header: Depth=2
                                        ;       Child Loop BB232_40 Depth 3
                                        ;       Child Loop BB232_43 Depth 3
                                        ;         Child Loop BB232_44 Depth 4
                                        ;       Child Loop BB232_48 Depth 3
                                        ;         Child Loop BB232_50 Depth 4
	v_mov_b32_e32 v0, v4
	s_mov_b32 s4, 0
	v_mov_b32_e32 v1, v5
	s_mov_b32 s17, s20
.LBB232_40:                             ;   Parent Loop BB232_36 Depth=1
                                        ;     Parent Loop BB232_39 Depth=2
                                        ; =>    This Inner Loop Header: Depth=3
	global_load_dwordx4 v[11:14], v[0:1], off offset:-8
	v_mov_b32_e32 v15, s4
	s_add_i32 s17, s17, -1
	v_add_co_u32_e32 v0, vcc, 16, v0
	s_add_i32 s4, s4, 16
	v_addc_co_u32_e32 v1, vcc, 0, v1, vcc
	s_cmp_eq_u32 s17, 0
	s_waitcnt vmcnt(0)
	v_mul_f64 v[2:3], s[14:15], v[13:14]
	v_mul_f64 v[13:14], s[12:13], v[13:14]
	v_fma_f64 v[2:3], s[12:13], v[11:12], -v[2:3]
	v_fma_f64 v[11:12], s[14:15], v[11:12], v[13:14]
	buffer_store_dword v3, v15, s[0:3], 0 offen offset:4
	buffer_store_dword v2, v15, s[0:3], 0 offen
	buffer_store_dword v12, v15, s[0:3], 0 offen offset:12
	buffer_store_dword v11, v15, s[0:3], 0 offen offset:8
	s_cbranch_scc0 .LBB232_40
; %bb.41:                               ;   in Loop: Header=BB232_39 Depth=2
	s_cmp_lt_i32 s6, 1
	s_cbranch_scc1 .LBB232_46
; %bb.42:                               ;   in Loop: Header=BB232_39 Depth=2
	s_mov_b32 s4, 0
	s_mov_b32 s17, s7
.LBB232_43:                             ;   Parent Loop BB232_36 Depth=1
                                        ;     Parent Loop BB232_39 Depth=2
                                        ; =>    This Loop Header: Depth=3
                                        ;         Child Loop BB232_44 Depth 4
	s_lshl_b64 s[18:19], s[4:5], 4
	v_mov_b32_e32 v1, s19
	v_add_co_u32_e32 v0, vcc, s18, v6
	v_addc_co_u32_e32 v1, vcc, v7, v1, vcc
	global_load_dwordx4 v[0:3], v[0:1], off
	s_mov_b32 s18, 0
	s_mov_b32 s19, s17
	;; [unrolled: 1-line block ×3, first 2 shown]
.LBB232_44:                             ;   Parent Loop BB232_36 Depth=1
                                        ;     Parent Loop BB232_39 Depth=2
                                        ;       Parent Loop BB232_43 Depth=3
                                        ; =>      This Inner Loop Header: Depth=4
	v_mov_b32_e32 v21, s18
	buffer_load_dword v15, v21, s[0:3], 0 offen
	buffer_load_dword v16, v21, s[0:3], 0 offen offset:4
	buffer_load_dword v17, v21, s[0:3], 0 offen offset:8
	;; [unrolled: 1-line block ×3, first 2 shown]
	v_mov_b32_e32 v11, s19
	ds_read_b128 v[11:14], v11
	s_add_i32 s23, s23, -1
	s_add_i32 s19, s19, 16
	s_add_i32 s18, s18, 16
	s_cmp_eq_u32 s23, 0
	s_waitcnt vmcnt(4) lgkmcnt(0)
	v_mul_f64 v[19:20], v[2:3], v[13:14]
	v_mul_f64 v[13:14], v[0:1], v[13:14]
	v_fma_f64 v[19:20], v[0:1], v[11:12], -v[19:20]
	v_fma_f64 v[11:12], v[2:3], v[11:12], v[13:14]
	s_waitcnt vmcnt(2)
	v_add_f64 v[13:14], v[15:16], -v[19:20]
	s_waitcnt vmcnt(0)
	v_add_f64 v[11:12], v[17:18], -v[11:12]
	buffer_store_dword v13, v21, s[0:3], 0 offen
	buffer_store_dword v14, v21, s[0:3], 0 offen offset:4
	buffer_store_dword v11, v21, s[0:3], 0 offen offset:8
	;; [unrolled: 1-line block ×3, first 2 shown]
	s_cbranch_scc0 .LBB232_44
; %bb.45:                               ;   in Loop: Header=BB232_43 Depth=3
	s_add_i32 s4, s4, 1
	s_addk_i32 s17, 0x1c0
	s_cmp_eq_u32 s4, s6
	s_cbranch_scc0 .LBB232_43
.LBB232_46:                             ;   in Loop: Header=BB232_39 Depth=2
	s_mov_b32 s4, 0
	s_mov_b32 s17, s21
	s_branch .LBB232_48
.LBB232_47:                             ;   in Loop: Header=BB232_48 Depth=3
	s_add_i32 s18, s4, s6
	s_mul_i32 s19, s18, 0x1d0
	v_mov_b32_e32 v11, s19
	ds_read_b128 v[11:14], v11
	s_lshl_b32 s19, s4, 4
	v_mov_b32_e32 v17, s19
	s_ashr_i32 s19, s18, 31
	s_lshl_b64 s[18:19], s[18:19], 4
	s_waitcnt vmcnt(0) lgkmcnt(0)
	v_mul_f64 v[15:16], v[13:14], v[2:3]
	v_mul_f64 v[2:3], v[11:12], v[2:3]
	s_add_i32 s4, s4, 1
	s_add_i32 s17, s17, 16
	s_cmp_eq_u32 s4, s20
	v_fma_f64 v[11:12], v[11:12], v[0:1], -v[15:16]
	v_fma_f64 v[13:14], v[13:14], v[0:1], v[2:3]
	v_mov_b32_e32 v15, s19
	v_add_co_u32_e32 v0, vcc, s18, v6
	v_addc_co_u32_e32 v1, vcc, v7, v15, vcc
	buffer_store_dword v12, v17, s[0:3], 0 offen offset:4
	buffer_store_dword v11, v17, s[0:3], 0 offen
	buffer_store_dword v14, v17, s[0:3], 0 offen offset:12
	buffer_store_dword v13, v17, s[0:3], 0 offen offset:8
	global_store_dwordx4 v[0:1], v[11:14], off
	s_cbranch_scc1 .LBB232_38
.LBB232_48:                             ;   Parent Loop BB232_36 Depth=1
                                        ;     Parent Loop BB232_39 Depth=2
                                        ; =>    This Loop Header: Depth=3
                                        ;         Child Loop BB232_50 Depth 4
	s_cmp_lg_u32 s4, 0
	s_cbranch_scc0 .LBB232_52
; %bb.49:                               ;   in Loop: Header=BB232_48 Depth=3
	s_lshl_b32 s18, s4, 4
	v_mov_b32_e32 v11, s18
	buffer_load_dword v0, v11, s[0:3], 0 offen
	buffer_load_dword v1, v11, s[0:3], 0 offen offset:4
	buffer_load_dword v2, v11, s[0:3], 0 offen offset:8
	;; [unrolled: 1-line block ×3, first 2 shown]
	s_mov_b32 s18, 0
	s_mov_b32 s19, s17
	;; [unrolled: 1-line block ×3, first 2 shown]
.LBB232_50:                             ;   Parent Loop BB232_36 Depth=1
                                        ;     Parent Loop BB232_39 Depth=2
                                        ;       Parent Loop BB232_48 Depth=3
                                        ; =>      This Inner Loop Header: Depth=4
	v_mov_b32_e32 v12, s18
	buffer_load_dword v16, v12, s[0:3], 0 offen offset:8
	buffer_load_dword v17, v12, s[0:3], 0 offen offset:12
	buffer_load_dword v18, v12, s[0:3], 0 offen
	buffer_load_dword v19, v12, s[0:3], 0 offen offset:4
	v_mov_b32_e32 v12, s19
	ds_read_b128 v[12:15], v12
	s_add_i32 s23, s23, -1
	s_addk_i32 s19, 0x1c0
	s_add_i32 s18, s18, 16
	s_cmp_eq_u32 s23, 0
	s_waitcnt vmcnt(2) lgkmcnt(0)
	v_mul_f64 v[20:21], v[14:15], v[16:17]
	v_mul_f64 v[16:17], v[12:13], v[16:17]
	s_waitcnt vmcnt(0)
	v_fma_f64 v[12:13], v[12:13], v[18:19], -v[20:21]
	v_fma_f64 v[14:15], v[14:15], v[18:19], v[16:17]
	v_add_f64 v[0:1], v[0:1], -v[12:13]
	v_add_f64 v[2:3], v[2:3], -v[14:15]
	buffer_store_dword v0, v11, s[0:3], 0 offen
	buffer_store_dword v1, v11, s[0:3], 0 offen offset:4
	buffer_store_dword v2, v11, s[0:3], 0 offen offset:8
	;; [unrolled: 1-line block ×3, first 2 shown]
	s_cbranch_scc0 .LBB232_50
; %bb.51:                               ;   in Loop: Header=BB232_48 Depth=3
	s_branch .LBB232_47
.LBB232_52:                             ;   in Loop: Header=BB232_48 Depth=3
                                        ; implicit-def: $vgpr0_vgpr1
                                        ; implicit-def: $vgpr2_vgpr3
	s_cbranch_execz .LBB232_47
; %bb.53:                               ;   in Loop: Header=BB232_48 Depth=3
	buffer_load_dword v0, off, s[0:3], 0
	buffer_load_dword v1, off, s[0:3], 0 offset:4
	buffer_load_dword v2, off, s[0:3], 0 offset:8
	;; [unrolled: 1-line block ×3, first 2 shown]
	s_branch .LBB232_47
.LBB232_54:
	s_endpgm
	.section	.rodata,"a",@progbits
	.p2align	6, 0x0
	.amdhsa_kernel _ZL30rocblas_trsm_small_left_deviceILi28ELi28ELb1E19rocblas_complex_numIdES1_PKS1_PS1_Ev13rocblas_fill_18rocblas_operation_17rocblas_diagonal_iiT3_T4_lilT5_lili
		.amdhsa_group_segment_fixed_size 12544
		.amdhsa_private_segment_fixed_size 464
		.amdhsa_kernarg_size 368
		.amdhsa_user_sgpr_count 6
		.amdhsa_user_sgpr_private_segment_buffer 1
		.amdhsa_user_sgpr_dispatch_ptr 0
		.amdhsa_user_sgpr_queue_ptr 0
		.amdhsa_user_sgpr_kernarg_segment_ptr 1
		.amdhsa_user_sgpr_dispatch_id 0
		.amdhsa_user_sgpr_flat_scratch_init 0
		.amdhsa_user_sgpr_private_segment_size 0
		.amdhsa_uses_dynamic_stack 0
		.amdhsa_system_sgpr_private_segment_wavefront_offset 1
		.amdhsa_system_sgpr_workgroup_id_x 1
		.amdhsa_system_sgpr_workgroup_id_y 0
		.amdhsa_system_sgpr_workgroup_id_z 1
		.amdhsa_system_sgpr_workgroup_info 0
		.amdhsa_system_vgpr_workitem_id 0
		.amdhsa_next_free_vgpr 85
		.amdhsa_next_free_sgpr 98
		.amdhsa_reserve_vcc 1
		.amdhsa_reserve_flat_scratch 0
		.amdhsa_float_round_mode_32 0
		.amdhsa_float_round_mode_16_64 0
		.amdhsa_float_denorm_mode_32 3
		.amdhsa_float_denorm_mode_16_64 3
		.amdhsa_dx10_clamp 1
		.amdhsa_ieee_mode 1
		.amdhsa_fp16_overflow 0
		.amdhsa_exception_fp_ieee_invalid_op 0
		.amdhsa_exception_fp_denorm_src 0
		.amdhsa_exception_fp_ieee_div_zero 0
		.amdhsa_exception_fp_ieee_overflow 0
		.amdhsa_exception_fp_ieee_underflow 0
		.amdhsa_exception_fp_ieee_inexact 0
		.amdhsa_exception_int_div_zero 0
	.end_amdhsa_kernel
	.section	.text._ZL30rocblas_trsm_small_left_deviceILi28ELi28ELb1E19rocblas_complex_numIdES1_PKS1_PS1_Ev13rocblas_fill_18rocblas_operation_17rocblas_diagonal_iiT3_T4_lilT5_lili,"axG",@progbits,_ZL30rocblas_trsm_small_left_deviceILi28ELi28ELb1E19rocblas_complex_numIdES1_PKS1_PS1_Ev13rocblas_fill_18rocblas_operation_17rocblas_diagonal_iiT3_T4_lilT5_lili,comdat
.Lfunc_end232:
	.size	_ZL30rocblas_trsm_small_left_deviceILi28ELi28ELb1E19rocblas_complex_numIdES1_PKS1_PS1_Ev13rocblas_fill_18rocblas_operation_17rocblas_diagonal_iiT3_T4_lilT5_lili, .Lfunc_end232-_ZL30rocblas_trsm_small_left_deviceILi28ELi28ELb1E19rocblas_complex_numIdES1_PKS1_PS1_Ev13rocblas_fill_18rocblas_operation_17rocblas_diagonal_iiT3_T4_lilT5_lili
                                        ; -- End function
	.set _ZL30rocblas_trsm_small_left_deviceILi28ELi28ELb1E19rocblas_complex_numIdES1_PKS1_PS1_Ev13rocblas_fill_18rocblas_operation_17rocblas_diagonal_iiT3_T4_lilT5_lili.num_vgpr, 22
	.set _ZL30rocblas_trsm_small_left_deviceILi28ELi28ELb1E19rocblas_complex_numIdES1_PKS1_PS1_Ev13rocblas_fill_18rocblas_operation_17rocblas_diagonal_iiT3_T4_lilT5_lili.num_agpr, 0
	.set _ZL30rocblas_trsm_small_left_deviceILi28ELi28ELb1E19rocblas_complex_numIdES1_PKS1_PS1_Ev13rocblas_fill_18rocblas_operation_17rocblas_diagonal_iiT3_T4_lilT5_lili.numbered_sgpr, 37
	.set _ZL30rocblas_trsm_small_left_deviceILi28ELi28ELb1E19rocblas_complex_numIdES1_PKS1_PS1_Ev13rocblas_fill_18rocblas_operation_17rocblas_diagonal_iiT3_T4_lilT5_lili.num_named_barrier, 0
	.set _ZL30rocblas_trsm_small_left_deviceILi28ELi28ELb1E19rocblas_complex_numIdES1_PKS1_PS1_Ev13rocblas_fill_18rocblas_operation_17rocblas_diagonal_iiT3_T4_lilT5_lili.private_seg_size, 464
	.set _ZL30rocblas_trsm_small_left_deviceILi28ELi28ELb1E19rocblas_complex_numIdES1_PKS1_PS1_Ev13rocblas_fill_18rocblas_operation_17rocblas_diagonal_iiT3_T4_lilT5_lili.uses_vcc, 1
	.set _ZL30rocblas_trsm_small_left_deviceILi28ELi28ELb1E19rocblas_complex_numIdES1_PKS1_PS1_Ev13rocblas_fill_18rocblas_operation_17rocblas_diagonal_iiT3_T4_lilT5_lili.uses_flat_scratch, 0
	.set _ZL30rocblas_trsm_small_left_deviceILi28ELi28ELb1E19rocblas_complex_numIdES1_PKS1_PS1_Ev13rocblas_fill_18rocblas_operation_17rocblas_diagonal_iiT3_T4_lilT5_lili.has_dyn_sized_stack, 0
	.set _ZL30rocblas_trsm_small_left_deviceILi28ELi28ELb1E19rocblas_complex_numIdES1_PKS1_PS1_Ev13rocblas_fill_18rocblas_operation_17rocblas_diagonal_iiT3_T4_lilT5_lili.has_recursion, 0
	.set _ZL30rocblas_trsm_small_left_deviceILi28ELi28ELb1E19rocblas_complex_numIdES1_PKS1_PS1_Ev13rocblas_fill_18rocblas_operation_17rocblas_diagonal_iiT3_T4_lilT5_lili.has_indirect_call, 0
	.section	.AMDGPU.csdata,"",@progbits
; Kernel info:
; codeLenInByte = 2948
; TotalNumSgprs: 41
; NumVgprs: 22
; ScratchSize: 464
; MemoryBound: 0
; FloatMode: 240
; IeeeMode: 1
; LDSByteSize: 12544 bytes/workgroup (compile time only)
; SGPRBlocks: 12
; VGPRBlocks: 21
; NumSGPRsForWavesPerEU: 102
; NumVGPRsForWavesPerEU: 85
; Occupancy: 2
; WaveLimiterHint : 0
; COMPUTE_PGM_RSRC2:SCRATCH_EN: 1
; COMPUTE_PGM_RSRC2:USER_SGPR: 6
; COMPUTE_PGM_RSRC2:TRAP_HANDLER: 0
; COMPUTE_PGM_RSRC2:TGID_X_EN: 1
; COMPUTE_PGM_RSRC2:TGID_Y_EN: 0
; COMPUTE_PGM_RSRC2:TGID_Z_EN: 1
; COMPUTE_PGM_RSRC2:TIDIG_COMP_CNT: 0
	.section	.text._ZL31rocblas_trsm_small_right_deviceI19rocblas_complex_numIdES1_PKS1_PS1_Li28EEv13rocblas_fill_18rocblas_operation_17rocblas_diagonal_iiT0_T1_lilT2_lili,"axG",@progbits,_ZL31rocblas_trsm_small_right_deviceI19rocblas_complex_numIdES1_PKS1_PS1_Li28EEv13rocblas_fill_18rocblas_operation_17rocblas_diagonal_iiT0_T1_lilT2_lili,comdat
	.globl	_ZL31rocblas_trsm_small_right_deviceI19rocblas_complex_numIdES1_PKS1_PS1_Li28EEv13rocblas_fill_18rocblas_operation_17rocblas_diagonal_iiT0_T1_lilT2_lili ; -- Begin function _ZL31rocblas_trsm_small_right_deviceI19rocblas_complex_numIdES1_PKS1_PS1_Li28EEv13rocblas_fill_18rocblas_operation_17rocblas_diagonal_iiT0_T1_lilT2_lili
	.p2align	8
	.type	_ZL31rocblas_trsm_small_right_deviceI19rocblas_complex_numIdES1_PKS1_PS1_Li28EEv13rocblas_fill_18rocblas_operation_17rocblas_diagonal_iiT0_T1_lilT2_lili,@function
_ZL31rocblas_trsm_small_right_deviceI19rocblas_complex_numIdES1_PKS1_PS1_Li28EEv13rocblas_fill_18rocblas_operation_17rocblas_diagonal_iiT0_T1_lilT2_lili: ; @_ZL31rocblas_trsm_small_right_deviceI19rocblas_complex_numIdES1_PKS1_PS1_Li28EEv13rocblas_fill_18rocblas_operation_17rocblas_diagonal_iiT0_T1_lilT2_lili
; %bb.0:
	s_load_dwordx4 s[16:19], s[4:5], 0x0
	s_load_dword s24, s[4:5], 0x10
	s_load_dwordx8 s[8:15], s[4:5], 0x18
	s_load_dwordx2 s[20:21], s[4:5], 0x50
	s_load_dwordx4 s[0:3], s[4:5], 0x40
	s_waitcnt lgkmcnt(0)
	s_min_i32 s25, s24, 28
	v_cmp_gt_i32_e32 vcc, s25, v0
	s_and_saveexec_b64 s[22:23], vcc
	s_cbranch_execz .LBB233_5
; %bb.1:
	s_load_dword s26, s[4:5], 0x38
	s_mul_i32 s1, s1, s7
	s_mul_hi_u32 s28, s0, s7
	s_mul_i32 s0, s0, s7
	v_lshlrev_b32_e32 v3, 4, v0
	s_waitcnt lgkmcnt(0)
	s_ashr_i32 s27, s26, 31
	s_cmpk_eq_i32 s17, 0x71
	s_cselect_b64 vcc, -1, 0
	s_add_i32 s1, s28, s1
	s_lshl_b64 s[0:1], s[0:1], 4
	s_lshl_b64 s[14:15], s[14:15], 4
	s_add_u32 s0, s0, s14
	s_addc_u32 s1, s1, s15
	s_add_u32 s0, s12, s0
	s_addc_u32 s1, s13, s1
	v_mov_b32_e32 v1, s1
	v_add_co_u32_e64 v2, s[0:1], s0, v3
	v_addc_co_u32_e64 v4, s[0:1], 0, v1, s[0:1]
	v_add_co_u32_e64 v1, s[0:1], 8, v2
	s_lshl_b64 s[12:13], s[26:27], 4
	v_addc_co_u32_e64 v2, s[0:1], 0, v4, s[0:1]
	v_mov_b32_e32 v4, s13
	v_mov_b32_e32 v5, v3
	s_mov_b32 s13, s25
.LBB233_2:                              ; =>This Inner Loop Header: Depth=1
	global_load_dwordx4 v[6:9], v[1:2], off offset:-8
	s_add_i32 s13, s13, -1
	v_add_co_u32_e64 v1, s[0:1], s12, v1
	v_addc_co_u32_e64 v2, s[0:1], v2, v4, s[0:1]
	s_cmp_eq_u32 s13, 0
	s_waitcnt vmcnt(0)
	v_xor_b32_e32 v10, 0x80000000, v9
	v_cndmask_b32_e32 v9, v9, v10, vcc
	ds_write_b128 v5, v[6:9]
	v_add_u32_e32 v5, 0x1c0, v5
	s_cbranch_scc0 .LBB233_2
; %bb.3:
	s_cmpk_eq_i32 s18, 0x84
	s_cbranch_scc0 .LBB233_5
; %bb.4:
	s_movk_i32 s0, 0x1c0
	v_mov_b32_e32 v1, 0
	v_mad_u32_u24 v5, v0, s0, v3
	v_mov_b32_e32 v2, 0x3ff00000
	v_mov_b32_e32 v3, v1
	;; [unrolled: 1-line block ×3, first 2 shown]
	ds_write_b128 v5, v[1:4]
.LBB233_5:
	s_or_b64 exec, exec, s[22:23]
	s_load_dword s0, s[4:5], 0x70
	s_load_dwordx2 s[14:15], s[4:5], 0x60
	s_load_dword s12, s[4:5], 0x58
	s_mul_hi_i32 s18, s6, 0x1c0
	s_waitcnt lgkmcnt(0)
	s_add_i32 s0, s0, -1
	s_mul_i32 s1, s15, s7
	s_mul_hi_u32 s5, s14, s7
	s_add_i32 s5, s5, s1
	s_mul_i32 s1, s6, 0xffffffe4
	s_add_i32 s1, s19, s1
	s_cmp_ge_u32 s6, s0
	s_cselect_b32 s0, s1, 28
	s_mul_i32 s4, s14, s7
	s_mul_i32 s19, s6, 0x1c0
	v_cmp_gt_i32_e64 s[0:1], s0, v0
	s_and_saveexec_b64 s[6:7], s[0:1]
	s_cbranch_execz .LBB233_9
; %bb.6:
	s_cmp_lt_i32 s24, 1
	s_cbranch_scc1 .LBB233_9
; %bb.7:
	s_ashr_i32 s13, s12, 31
	s_lshl_b64 s[14:15], s[4:5], 4
	s_add_u32 s22, s14, s19
	s_addc_u32 s23, s15, s18
	s_lshl_b64 s[14:15], s[20:21], 4
	s_add_u32 s14, s22, s14
	s_addc_u32 s15, s23, s15
	s_add_u32 s14, s2, s14
	v_lshlrev_b32_e32 v3, 4, v0
	s_addc_u32 s15, s3, s15
	v_mov_b32_e32 v1, s15
	v_add_co_u32_e32 v2, vcc, s14, v3
	v_addc_co_u32_e32 v4, vcc, 0, v1, vcc
	v_add_co_u32_e32 v1, vcc, 8, v2
	s_lshl_b64 s[14:15], s[12:13], 4
	v_addc_co_u32_e32 v2, vcc, 0, v4, vcc
	v_add_u32_e32 v3, 0x3100, v3
	v_mov_b32_e32 v4, s15
	s_mov_b32 s13, s24
.LBB233_8:                              ; =>This Inner Loop Header: Depth=1
	global_load_dwordx4 v[5:8], v[1:2], off offset:-8
	s_add_i32 s13, s13, -1
	v_add_co_u32_e32 v1, vcc, s14, v1
	v_addc_co_u32_e32 v2, vcc, v2, v4, vcc
	s_cmp_lg_u32 s13, 0
	s_waitcnt vmcnt(0)
	v_mul_f64 v[9:10], s[10:11], v[7:8]
	v_mul_f64 v[11:12], s[8:9], v[7:8]
	v_fma_f64 v[7:8], s[8:9], v[5:6], -v[9:10]
	v_fma_f64 v[9:10], s[10:11], v[5:6], v[11:12]
	ds_write_b128 v3, v[7:10]
	v_add_u32_e32 v3, 0x1c0, v3
	s_cbranch_scc1 .LBB233_8
.LBB233_9:
	s_or_b64 exec, exec, s[6:7]
	s_cmpk_eq_i32 s17, 0x6f
	s_cselect_b64 s[6:7], -1, 0
	s_cmpk_lg_i32 s16, 0x79
	s_cselect_b64 s[8:9], -1, 0
	s_cmpk_eq_i32 s16, 0x79
	s_cselect_b64 s[10:11], -1, 0
	s_and_b64 s[10:11], s[10:11], s[6:7]
	s_andn2_b64 vcc, exec, s[10:11]
	s_mov_b64 s[10:11], -1
	s_waitcnt lgkmcnt(0)
	; wave barrier
	s_cbranch_vccz .LBB233_110
; %bb.10:
	s_cmpk_lg_i32 s16, 0x7a
	s_cselect_b64 s[14:15], -1, 0
	s_xor_b64 s[6:7], s[6:7], -1
	s_add_i32 s13, s25, -1
	s_or_b64 s[14:15], s[14:15], s[6:7]
	v_mov_b32_e32 v1, 0x3100
	s_cmp_gt_i32 s24, 3
	v_lshl_add_u32 v25, v0, 4, v1
	s_cselect_b64 s[6:7], -1, 0
	s_and_b64 vcc, exec, s[14:15]
	s_cbranch_vccz .LBB233_77
; %bb.11:
	s_andn2_b64 vcc, exec, s[8:9]
	s_mov_b64 s[8:9], -1
	s_cbranch_vccnz .LBB233_44
; %bb.12:
	s_andn2_b64 vcc, exec, s[6:7]
	s_mov_b32 s14, 0
	s_cbranch_vccnz .LBB233_34
; %bb.13:
	v_mov_b32_e32 v1, 0x3100
	v_lshl_add_u32 v26, v0, 4, v1
	s_mov_b32 s10, 0
	s_mov_b32 s11, 0
.LBB233_14:                             ; =>This Loop Header: Depth=1
                                        ;     Child Loop BB233_15 Depth 2
	s_or_b32 s9, s11, 3
	s_mul_i32 s8, s11, 0x1c0
	v_add_u32_e32 v28, s8, v25
	s_mulk_i32 s9, 0x1c0
	ds_read_b128 v[17:20], v28
	ds_read_b128 v[13:16], v28 offset:448
	v_add_u32_e32 v27, s9, v25
	ds_read_b128 v[5:8], v28 offset:896
	ds_read_b128 v[1:4], v27
	s_cmp_eq_u32 s11, 0
	v_mov_b32_e32 v9, v26
	s_mov_b32 s9, s10
	s_mov_b32 s14, s11
	s_cbranch_scc1 .LBB233_16
.LBB233_15:                             ;   Parent Loop BB233_14 Depth=1
                                        ; =>  This Inner Loop Header: Depth=2
	v_mov_b32_e32 v10, s9
	ds_read_b128 v[21:24], v9
	ds_read_b128 v[29:32], v10
	ds_read_b128 v[33:36], v10 offset:16
	ds_read_b128 v[37:40], v10 offset:32
	;; [unrolled: 1-line block ×3, first 2 shown]
	s_add_i32 s14, s14, -1
	s_addk_i32 s9, 0x1c0
	s_cmp_eq_u32 s14, 0
	s_waitcnt lgkmcnt(3)
	v_mul_f64 v[10:11], v[23:24], v[31:32]
	v_mul_f64 v[31:32], v[21:22], v[31:32]
	s_waitcnt lgkmcnt(2)
	v_mul_f64 v[45:46], v[23:24], v[35:36]
	v_mul_f64 v[35:36], v[21:22], v[35:36]
	;; [unrolled: 3-line block ×4, first 2 shown]
	v_fma_f64 v[10:11], v[21:22], v[29:30], -v[10:11]
	v_fma_f64 v[29:30], v[23:24], v[29:30], v[31:32]
	v_fma_f64 v[31:32], v[21:22], v[33:34], -v[45:46]
	v_fma_f64 v[33:34], v[23:24], v[33:34], v[35:36]
	;; [unrolled: 2-line block ×4, first 2 shown]
	v_add_f64 v[17:18], v[17:18], -v[10:11]
	v_add_f64 v[19:20], v[19:20], -v[29:30]
	;; [unrolled: 1-line block ×8, first 2 shown]
	v_add_u32_e32 v9, 0x1c0, v9
	s_cbranch_scc0 .LBB233_15
.LBB233_16:                             ;   in Loop: Header=BB233_14 Depth=1
	s_lshl_b32 s14, s11, 4
	s_add_i32 s15, s14, s8
	v_mov_b32_e32 v9, s15
	ds_read_b128 v[21:24], v9
	s_mov_b64 s[8:9], -1
                                        ; implicit-def: $vgpr11_vgpr12
	s_waitcnt lgkmcnt(0)
	v_cmp_ngt_f64_e64 s[16:17], |v[21:22]|, |v[23:24]|
	s_and_b64 vcc, exec, s[16:17]
	s_cbranch_vccz .LBB233_18
; %bb.17:                               ;   in Loop: Header=BB233_14 Depth=1
	v_div_scale_f64 v[9:10], s[8:9], v[23:24], v[23:24], v[21:22]
	v_rcp_f64_e32 v[11:12], v[9:10]
	v_fma_f64 v[29:30], -v[9:10], v[11:12], 1.0
	v_fma_f64 v[11:12], v[11:12], v[29:30], v[11:12]
	v_div_scale_f64 v[29:30], vcc, v[21:22], v[23:24], v[21:22]
	v_fma_f64 v[31:32], -v[9:10], v[11:12], 1.0
	v_fma_f64 v[11:12], v[11:12], v[31:32], v[11:12]
	v_mul_f64 v[31:32], v[29:30], v[11:12]
	v_fma_f64 v[9:10], -v[9:10], v[31:32], v[29:30]
	v_div_fmas_f64 v[9:10], v[9:10], v[11:12], v[31:32]
	v_div_fixup_f64 v[9:10], v[9:10], v[23:24], v[21:22]
	v_fma_f64 v[11:12], v[21:22], v[9:10], v[23:24]
	v_div_scale_f64 v[29:30], s[8:9], v[11:12], v[11:12], 1.0
	s_mov_b64 s[8:9], 0
	v_rcp_f64_e32 v[31:32], v[29:30]
	v_fma_f64 v[33:34], -v[29:30], v[31:32], 1.0
	v_fma_f64 v[31:32], v[31:32], v[33:34], v[31:32]
	v_div_scale_f64 v[33:34], vcc, 1.0, v[11:12], 1.0
	v_fma_f64 v[35:36], -v[29:30], v[31:32], 1.0
	v_fma_f64 v[31:32], v[31:32], v[35:36], v[31:32]
	v_mul_f64 v[35:36], v[33:34], v[31:32]
	v_fma_f64 v[29:30], -v[29:30], v[35:36], v[33:34]
	v_div_fmas_f64 v[29:30], v[29:30], v[31:32], v[35:36]
	v_fma_f64 v[31:32], v[17:18], v[9:10], v[19:20]
	v_div_fixup_f64 v[11:12], v[29:30], v[11:12], 1.0
	v_fma_f64 v[29:30], v[19:20], v[9:10], -v[17:18]
	v_mul_f64 v[9:10], v[31:32], v[11:12]
	v_mul_f64 v[11:12], v[29:30], v[11:12]
.LBB233_18:                             ;   in Loop: Header=BB233_14 Depth=1
	s_andn2_b64 vcc, exec, s[8:9]
	s_cbranch_vccnz .LBB233_20
; %bb.19:                               ;   in Loop: Header=BB233_14 Depth=1
	v_div_scale_f64 v[9:10], s[8:9], v[21:22], v[21:22], v[23:24]
	v_rcp_f64_e32 v[11:12], v[9:10]
	v_fma_f64 v[29:30], -v[9:10], v[11:12], 1.0
	v_fma_f64 v[11:12], v[11:12], v[29:30], v[11:12]
	v_div_scale_f64 v[29:30], vcc, v[23:24], v[21:22], v[23:24]
	v_fma_f64 v[31:32], -v[9:10], v[11:12], 1.0
	v_fma_f64 v[11:12], v[11:12], v[31:32], v[11:12]
	v_mul_f64 v[31:32], v[29:30], v[11:12]
	v_fma_f64 v[9:10], -v[9:10], v[31:32], v[29:30]
	v_div_fmas_f64 v[9:10], v[9:10], v[11:12], v[31:32]
	v_div_fixup_f64 v[9:10], v[9:10], v[21:22], v[23:24]
	v_fma_f64 v[11:12], v[23:24], v[9:10], v[21:22]
	v_div_scale_f64 v[21:22], s[8:9], v[11:12], v[11:12], 1.0
	v_rcp_f64_e32 v[23:24], v[21:22]
	v_fma_f64 v[29:30], -v[21:22], v[23:24], 1.0
	v_fma_f64 v[23:24], v[23:24], v[29:30], v[23:24]
	v_div_scale_f64 v[29:30], vcc, 1.0, v[11:12], 1.0
	v_fma_f64 v[31:32], -v[21:22], v[23:24], 1.0
	v_fma_f64 v[23:24], v[23:24], v[31:32], v[23:24]
	v_mul_f64 v[31:32], v[29:30], v[23:24]
	v_fma_f64 v[21:22], -v[21:22], v[31:32], v[29:30]
	v_div_fmas_f64 v[21:22], v[21:22], v[23:24], v[31:32]
	v_fma_f64 v[23:24], v[19:20], v[9:10], v[17:18]
	v_fma_f64 v[17:18], -v[17:18], v[9:10], v[19:20]
	v_div_fixup_f64 v[11:12], v[21:22], v[11:12], 1.0
	v_mul_f64 v[9:10], v[23:24], v[11:12]
	v_mul_f64 v[11:12], v[17:18], v[11:12]
.LBB233_20:                             ;   in Loop: Header=BB233_14 Depth=1
	v_mov_b32_e32 v17, s15
	ds_read_b128 v[21:24], v17 offset:16
	ds_read_b128 v[17:20], v17 offset:464
	s_mov_b64 s[8:9], -1
	ds_write_b128 v28, v[9:12]
	s_waitcnt lgkmcnt(2)
	v_mul_f64 v[29:30], v[11:12], v[23:24]
	v_mul_f64 v[23:24], v[9:10], v[23:24]
	s_waitcnt lgkmcnt(1)
	v_cmp_ngt_f64_e64 s[16:17], |v[17:18]|, |v[19:20]|
	v_fma_f64 v[29:30], v[9:10], v[21:22], -v[29:30]
	v_fma_f64 v[23:24], v[11:12], v[21:22], v[23:24]
	s_and_b64 vcc, exec, s[16:17]
	v_add_f64 v[21:22], v[13:14], -v[29:30]
	v_add_f64 v[23:24], v[15:16], -v[23:24]
                                        ; implicit-def: $vgpr15_vgpr16
	s_cbranch_vccz .LBB233_22
; %bb.21:                               ;   in Loop: Header=BB233_14 Depth=1
	v_div_scale_f64 v[13:14], s[8:9], v[19:20], v[19:20], v[17:18]
	v_rcp_f64_e32 v[15:16], v[13:14]
	v_fma_f64 v[29:30], -v[13:14], v[15:16], 1.0
	v_fma_f64 v[15:16], v[15:16], v[29:30], v[15:16]
	v_div_scale_f64 v[29:30], vcc, v[17:18], v[19:20], v[17:18]
	v_fma_f64 v[31:32], -v[13:14], v[15:16], 1.0
	v_fma_f64 v[15:16], v[15:16], v[31:32], v[15:16]
	v_mul_f64 v[31:32], v[29:30], v[15:16]
	v_fma_f64 v[13:14], -v[13:14], v[31:32], v[29:30]
	v_div_fmas_f64 v[13:14], v[13:14], v[15:16], v[31:32]
	v_div_fixup_f64 v[13:14], v[13:14], v[19:20], v[17:18]
	v_fma_f64 v[15:16], v[17:18], v[13:14], v[19:20]
	v_div_scale_f64 v[29:30], s[8:9], v[15:16], v[15:16], 1.0
	s_mov_b64 s[8:9], 0
	v_rcp_f64_e32 v[31:32], v[29:30]
	v_fma_f64 v[33:34], -v[29:30], v[31:32], 1.0
	v_fma_f64 v[31:32], v[31:32], v[33:34], v[31:32]
	v_div_scale_f64 v[33:34], vcc, 1.0, v[15:16], 1.0
	v_fma_f64 v[35:36], -v[29:30], v[31:32], 1.0
	v_fma_f64 v[31:32], v[31:32], v[35:36], v[31:32]
	v_mul_f64 v[35:36], v[33:34], v[31:32]
	v_fma_f64 v[29:30], -v[29:30], v[35:36], v[33:34]
	v_div_fmas_f64 v[29:30], v[29:30], v[31:32], v[35:36]
	v_fma_f64 v[31:32], v[13:14], v[21:22], v[23:24]
	v_div_fixup_f64 v[15:16], v[29:30], v[15:16], 1.0
	v_fma_f64 v[29:30], v[13:14], v[23:24], -v[21:22]
	v_mul_f64 v[13:14], v[31:32], v[15:16]
	v_mul_f64 v[15:16], v[29:30], v[15:16]
.LBB233_22:                             ;   in Loop: Header=BB233_14 Depth=1
	s_andn2_b64 vcc, exec, s[8:9]
	s_cbranch_vccnz .LBB233_24
; %bb.23:                               ;   in Loop: Header=BB233_14 Depth=1
	v_div_scale_f64 v[13:14], s[8:9], v[17:18], v[17:18], v[19:20]
	v_rcp_f64_e32 v[15:16], v[13:14]
	v_fma_f64 v[29:30], -v[13:14], v[15:16], 1.0
	v_fma_f64 v[15:16], v[15:16], v[29:30], v[15:16]
	v_div_scale_f64 v[29:30], vcc, v[19:20], v[17:18], v[19:20]
	v_fma_f64 v[31:32], -v[13:14], v[15:16], 1.0
	v_fma_f64 v[15:16], v[15:16], v[31:32], v[15:16]
	v_mul_f64 v[31:32], v[29:30], v[15:16]
	v_fma_f64 v[13:14], -v[13:14], v[31:32], v[29:30]
	v_div_fmas_f64 v[13:14], v[13:14], v[15:16], v[31:32]
	v_div_fixup_f64 v[13:14], v[13:14], v[17:18], v[19:20]
	v_fma_f64 v[15:16], v[19:20], v[13:14], v[17:18]
	v_div_scale_f64 v[17:18], s[8:9], v[15:16], v[15:16], 1.0
	v_rcp_f64_e32 v[19:20], v[17:18]
	v_fma_f64 v[29:30], -v[17:18], v[19:20], 1.0
	v_fma_f64 v[19:20], v[19:20], v[29:30], v[19:20]
	v_div_scale_f64 v[29:30], vcc, 1.0, v[15:16], 1.0
	v_fma_f64 v[31:32], -v[17:18], v[19:20], 1.0
	v_fma_f64 v[19:20], v[19:20], v[31:32], v[19:20]
	v_mul_f64 v[31:32], v[29:30], v[19:20]
	v_fma_f64 v[17:18], -v[17:18], v[31:32], v[29:30]
	v_div_fmas_f64 v[17:18], v[17:18], v[19:20], v[31:32]
	v_fma_f64 v[19:20], v[13:14], v[23:24], v[21:22]
	v_div_fixup_f64 v[15:16], v[17:18], v[15:16], 1.0
	v_fma_f64 v[17:18], -v[13:14], v[21:22], v[23:24]
	v_mul_f64 v[13:14], v[19:20], v[15:16]
	v_mul_f64 v[15:16], v[17:18], v[15:16]
.LBB233_24:                             ;   in Loop: Header=BB233_14 Depth=1
	v_mov_b32_e32 v21, s15
	ds_read_b128 v[17:20], v21 offset:32
	s_add_i32 s16, s15, 0x1d0
	s_or_b32 s8, s14, 16
	s_sub_i32 s17, s16, s8
	s_add_i32 s17, s17, s14
	v_mov_b32_e32 v29, s17
	ds_read_b128 v[29:32], v29 offset:32
	s_waitcnt lgkmcnt(1)
	v_mul_f64 v[33:34], v[11:12], v[19:20]
	v_mul_f64 v[19:20], v[9:10], v[19:20]
	ds_read_b128 v[21:24], v21 offset:928
	s_mov_b64 s[8:9], -1
	s_waitcnt lgkmcnt(1)
	v_mul_f64 v[35:36], v[15:16], v[31:32]
	v_mul_f64 v[31:32], v[13:14], v[31:32]
	ds_write_b128 v28, v[13:16] offset:448
	s_waitcnt lgkmcnt(1)
	v_cmp_ngt_f64_e64 s[22:23], |v[21:22]|, |v[23:24]|
	v_fma_f64 v[33:34], v[9:10], v[17:18], -v[33:34]
	v_fma_f64 v[17:18], v[11:12], v[17:18], v[19:20]
	v_fma_f64 v[19:20], v[13:14], v[29:30], -v[35:36]
	v_fma_f64 v[29:30], v[15:16], v[29:30], v[31:32]
	s_and_b64 vcc, exec, s[22:23]
	v_add_f64 v[5:6], v[5:6], -v[33:34]
	v_add_f64 v[7:8], v[7:8], -v[17:18]
	;; [unrolled: 1-line block ×4, first 2 shown]
                                        ; implicit-def: $vgpr19_vgpr20
	s_cbranch_vccz .LBB233_26
; %bb.25:                               ;   in Loop: Header=BB233_14 Depth=1
	v_div_scale_f64 v[17:18], s[8:9], v[23:24], v[23:24], v[21:22]
	v_rcp_f64_e32 v[19:20], v[17:18]
	v_fma_f64 v[29:30], -v[17:18], v[19:20], 1.0
	v_fma_f64 v[19:20], v[19:20], v[29:30], v[19:20]
	v_div_scale_f64 v[29:30], vcc, v[21:22], v[23:24], v[21:22]
	v_fma_f64 v[31:32], -v[17:18], v[19:20], 1.0
	v_fma_f64 v[19:20], v[19:20], v[31:32], v[19:20]
	v_mul_f64 v[31:32], v[29:30], v[19:20]
	v_fma_f64 v[17:18], -v[17:18], v[31:32], v[29:30]
	v_div_fmas_f64 v[17:18], v[17:18], v[19:20], v[31:32]
	v_div_fixup_f64 v[17:18], v[17:18], v[23:24], v[21:22]
	v_fma_f64 v[19:20], v[21:22], v[17:18], v[23:24]
	v_div_scale_f64 v[29:30], s[8:9], v[19:20], v[19:20], 1.0
	s_mov_b64 s[8:9], 0
	v_rcp_f64_e32 v[31:32], v[29:30]
	v_fma_f64 v[33:34], -v[29:30], v[31:32], 1.0
	v_fma_f64 v[31:32], v[31:32], v[33:34], v[31:32]
	v_div_scale_f64 v[33:34], vcc, 1.0, v[19:20], 1.0
	v_fma_f64 v[35:36], -v[29:30], v[31:32], 1.0
	v_fma_f64 v[31:32], v[31:32], v[35:36], v[31:32]
	v_mul_f64 v[35:36], v[33:34], v[31:32]
	v_fma_f64 v[29:30], -v[29:30], v[35:36], v[33:34]
	v_div_fmas_f64 v[29:30], v[29:30], v[31:32], v[35:36]
	v_fma_f64 v[31:32], v[17:18], v[5:6], v[7:8]
	v_div_fixup_f64 v[19:20], v[29:30], v[19:20], 1.0
	v_fma_f64 v[29:30], v[17:18], v[7:8], -v[5:6]
	v_mul_f64 v[17:18], v[31:32], v[19:20]
	v_mul_f64 v[19:20], v[29:30], v[19:20]
.LBB233_26:                             ;   in Loop: Header=BB233_14 Depth=1
	s_andn2_b64 vcc, exec, s[8:9]
	s_cbranch_vccnz .LBB233_28
; %bb.27:                               ;   in Loop: Header=BB233_14 Depth=1
	v_div_scale_f64 v[17:18], s[8:9], v[21:22], v[21:22], v[23:24]
	v_rcp_f64_e32 v[19:20], v[17:18]
	v_fma_f64 v[29:30], -v[17:18], v[19:20], 1.0
	v_fma_f64 v[19:20], v[19:20], v[29:30], v[19:20]
	v_div_scale_f64 v[29:30], vcc, v[23:24], v[21:22], v[23:24]
	v_fma_f64 v[31:32], -v[17:18], v[19:20], 1.0
	v_fma_f64 v[19:20], v[19:20], v[31:32], v[19:20]
	v_mul_f64 v[31:32], v[29:30], v[19:20]
	v_fma_f64 v[17:18], -v[17:18], v[31:32], v[29:30]
	v_div_fmas_f64 v[17:18], v[17:18], v[19:20], v[31:32]
	v_div_fixup_f64 v[17:18], v[17:18], v[21:22], v[23:24]
	v_fma_f64 v[19:20], v[23:24], v[17:18], v[21:22]
	v_div_scale_f64 v[21:22], s[8:9], v[19:20], v[19:20], 1.0
	v_rcp_f64_e32 v[23:24], v[21:22]
	v_fma_f64 v[29:30], -v[21:22], v[23:24], 1.0
	v_fma_f64 v[23:24], v[23:24], v[29:30], v[23:24]
	v_div_scale_f64 v[29:30], vcc, 1.0, v[19:20], 1.0
	v_fma_f64 v[31:32], -v[21:22], v[23:24], 1.0
	v_fma_f64 v[23:24], v[23:24], v[31:32], v[23:24]
	v_mul_f64 v[31:32], v[29:30], v[23:24]
	v_fma_f64 v[21:22], -v[21:22], v[31:32], v[29:30]
	v_div_fmas_f64 v[21:22], v[21:22], v[23:24], v[31:32]
	v_fma_f64 v[23:24], v[17:18], v[7:8], v[5:6]
	v_fma_f64 v[5:6], -v[17:18], v[5:6], v[7:8]
	v_div_fixup_f64 v[19:20], v[21:22], v[19:20], 1.0
	v_mul_f64 v[17:18], v[23:24], v[19:20]
	v_mul_f64 v[19:20], v[5:6], v[19:20]
.LBB233_28:                             ;   in Loop: Header=BB233_14 Depth=1
	v_mov_b32_e32 v5, s15
	ds_read_b128 v[21:24], v5 offset:48
	v_mov_b32_e32 v6, s17
	ds_read_b128 v[29:32], v6 offset:48
	ds_read_b128 v[5:8], v5 offset:1392
	s_or_b32 s8, s14, 32
	s_sub_i32 s8, s16, s8
	s_waitcnt lgkmcnt(2)
	v_mul_f64 v[37:38], v[11:12], v[23:24]
	v_mul_f64 v[23:24], v[9:10], v[23:24]
	s_waitcnt lgkmcnt(1)
	v_mul_f64 v[39:40], v[15:16], v[31:32]
	v_mul_f64 v[31:32], v[13:14], v[31:32]
	s_add_i32 s8, s8, s14
	v_mov_b32_e32 v33, s8
	ds_read_b128 v[33:36], v33 offset:512
	s_waitcnt lgkmcnt(1)
	v_cmp_ngt_f64_e64 s[14:15], |v[5:6]|, |v[7:8]|
	v_fma_f64 v[9:10], v[9:10], v[21:22], -v[37:38]
	v_fma_f64 v[11:12], v[11:12], v[21:22], v[23:24]
	v_fma_f64 v[13:14], v[13:14], v[29:30], -v[39:40]
	s_waitcnt lgkmcnt(0)
	v_mul_f64 v[21:22], v[19:20], v[35:36]
	v_mul_f64 v[23:24], v[17:18], v[35:36]
	v_fma_f64 v[15:16], v[15:16], v[29:30], v[31:32]
	s_mov_b64 s[8:9], -1
	s_and_b64 vcc, exec, s[14:15]
	v_add_f64 v[1:2], v[1:2], -v[9:10]
	v_add_f64 v[3:4], v[3:4], -v[11:12]
	ds_write_b128 v28, v[17:20] offset:896
	v_fma_f64 v[9:10], v[17:18], v[33:34], -v[21:22]
	v_fma_f64 v[11:12], v[19:20], v[33:34], v[23:24]
	v_add_f64 v[1:2], v[1:2], -v[13:14]
	v_add_f64 v[3:4], v[3:4], -v[15:16]
	;; [unrolled: 1-line block ×4, first 2 shown]
                                        ; implicit-def: $vgpr3_vgpr4
	s_cbranch_vccz .LBB233_30
; %bb.29:                               ;   in Loop: Header=BB233_14 Depth=1
	v_div_scale_f64 v[1:2], s[8:9], v[7:8], v[7:8], v[5:6]
	v_rcp_f64_e32 v[3:4], v[1:2]
	v_fma_f64 v[13:14], -v[1:2], v[3:4], 1.0
	v_fma_f64 v[3:4], v[3:4], v[13:14], v[3:4]
	v_div_scale_f64 v[13:14], vcc, v[5:6], v[7:8], v[5:6]
	v_fma_f64 v[15:16], -v[1:2], v[3:4], 1.0
	v_fma_f64 v[3:4], v[3:4], v[15:16], v[3:4]
	v_mul_f64 v[15:16], v[13:14], v[3:4]
	v_fma_f64 v[1:2], -v[1:2], v[15:16], v[13:14]
	v_div_fmas_f64 v[1:2], v[1:2], v[3:4], v[15:16]
	v_div_fixup_f64 v[1:2], v[1:2], v[7:8], v[5:6]
	v_fma_f64 v[3:4], v[5:6], v[1:2], v[7:8]
	v_div_scale_f64 v[13:14], s[8:9], v[3:4], v[3:4], 1.0
	s_mov_b64 s[8:9], 0
	v_rcp_f64_e32 v[15:16], v[13:14]
	v_fma_f64 v[17:18], -v[13:14], v[15:16], 1.0
	v_fma_f64 v[15:16], v[15:16], v[17:18], v[15:16]
	v_div_scale_f64 v[17:18], vcc, 1.0, v[3:4], 1.0
	v_fma_f64 v[19:20], -v[13:14], v[15:16], 1.0
	v_fma_f64 v[15:16], v[15:16], v[19:20], v[15:16]
	v_mul_f64 v[19:20], v[17:18], v[15:16]
	v_fma_f64 v[13:14], -v[13:14], v[19:20], v[17:18]
	v_div_fmas_f64 v[13:14], v[13:14], v[15:16], v[19:20]
	v_fma_f64 v[15:16], v[1:2], v[9:10], v[11:12]
	v_div_fixup_f64 v[3:4], v[13:14], v[3:4], 1.0
	v_fma_f64 v[13:14], v[1:2], v[11:12], -v[9:10]
	v_mul_f64 v[1:2], v[15:16], v[3:4]
	v_mul_f64 v[3:4], v[13:14], v[3:4]
.LBB233_30:                             ;   in Loop: Header=BB233_14 Depth=1
	s_andn2_b64 vcc, exec, s[8:9]
	s_cbranch_vccnz .LBB233_32
; %bb.31:                               ;   in Loop: Header=BB233_14 Depth=1
	v_div_scale_f64 v[1:2], s[8:9], v[5:6], v[5:6], v[7:8]
	v_rcp_f64_e32 v[3:4], v[1:2]
	v_fma_f64 v[13:14], -v[1:2], v[3:4], 1.0
	v_fma_f64 v[3:4], v[3:4], v[13:14], v[3:4]
	v_div_scale_f64 v[13:14], vcc, v[7:8], v[5:6], v[7:8]
	v_fma_f64 v[15:16], -v[1:2], v[3:4], 1.0
	v_fma_f64 v[3:4], v[3:4], v[15:16], v[3:4]
	v_mul_f64 v[15:16], v[13:14], v[3:4]
	v_fma_f64 v[1:2], -v[1:2], v[15:16], v[13:14]
	v_div_fmas_f64 v[1:2], v[1:2], v[3:4], v[15:16]
	v_div_fixup_f64 v[1:2], v[1:2], v[5:6], v[7:8]
	v_fma_f64 v[3:4], v[7:8], v[1:2], v[5:6]
	v_div_scale_f64 v[5:6], s[8:9], v[3:4], v[3:4], 1.0
	v_rcp_f64_e32 v[7:8], v[5:6]
	v_fma_f64 v[13:14], -v[5:6], v[7:8], 1.0
	v_fma_f64 v[7:8], v[7:8], v[13:14], v[7:8]
	v_div_scale_f64 v[13:14], vcc, 1.0, v[3:4], 1.0
	v_fma_f64 v[15:16], -v[5:6], v[7:8], 1.0
	v_fma_f64 v[7:8], v[7:8], v[15:16], v[7:8]
	v_mul_f64 v[15:16], v[13:14], v[7:8]
	v_fma_f64 v[5:6], -v[5:6], v[15:16], v[13:14]
	v_div_fmas_f64 v[5:6], v[5:6], v[7:8], v[15:16]
	v_fma_f64 v[7:8], v[1:2], v[11:12], v[9:10]
	v_div_fixup_f64 v[3:4], v[5:6], v[3:4], 1.0
	v_fma_f64 v[5:6], -v[1:2], v[9:10], v[11:12]
	v_mul_f64 v[1:2], v[7:8], v[3:4]
	v_mul_f64 v[3:4], v[5:6], v[3:4]
.LBB233_32:                             ;   in Loop: Header=BB233_14 Depth=1
	s_add_i32 s14, s11, 4
	s_add_i32 s8, s11, 7
	;; [unrolled: 1-line block ×3, first 2 shown]
	s_cmp_ge_i32 s8, s25
	ds_write_b128 v27, v[1:4]
	s_cbranch_scc1 .LBB233_34
; %bb.33:                               ;   in Loop: Header=BB233_14 Depth=1
	s_mov_b32 s11, s14
	s_branch .LBB233_14
.LBB233_34:
	s_cmp_ge_i32 s14, s25
	s_cbranch_scc1 .LBB233_43
; %bb.35:
	v_mov_b32_e32 v1, 0x3100
	s_lshl_b32 s10, s14, 4
	v_lshl_add_u32 v13, v0, 4, v1
	s_branch .LBB233_37
.LBB233_36:                             ;   in Loop: Header=BB233_37 Depth=1
	s_add_i32 s14, s14, 1
	s_add_i32 s10, s10, 16
	s_cmp_ge_i32 s14, s25
	ds_write_b128 v14, v[9:12]
	s_cbranch_scc1 .LBB233_43
.LBB233_37:                             ; =>This Loop Header: Depth=1
                                        ;     Child Loop BB233_38 Depth 2
	s_mul_i32 s8, s14, 0x1c0
	v_add_u32_e32 v14, s8, v25
	ds_read_b128 v[1:4], v14
	s_cmp_eq_u32 s14, 0
	v_mov_b32_e32 v5, v13
	s_mov_b32 s9, s10
	s_mov_b32 s11, s14
	s_cbranch_scc1 .LBB233_39
.LBB233_38:                             ;   Parent Loop BB233_37 Depth=1
                                        ; =>  This Inner Loop Header: Depth=2
	v_mov_b32_e32 v10, s9
	ds_read_b128 v[6:9], v5
	ds_read_b128 v[15:18], v10
	s_add_i32 s11, s11, -1
	s_addk_i32 s9, 0x1c0
	s_cmp_eq_u32 s11, 0
	v_add_u32_e32 v5, 0x1c0, v5
	s_waitcnt lgkmcnt(0)
	v_mul_f64 v[10:11], v[17:18], v[8:9]
	v_mul_f64 v[8:9], v[15:16], v[8:9]
	v_fma_f64 v[10:11], v[15:16], v[6:7], -v[10:11]
	v_fma_f64 v[6:7], v[17:18], v[6:7], v[8:9]
	v_add_f64 v[1:2], v[1:2], -v[10:11]
	v_add_f64 v[3:4], v[3:4], -v[6:7]
	s_cbranch_scc0 .LBB233_38
.LBB233_39:                             ;   in Loop: Header=BB233_37 Depth=1
	s_lshl_b32 s9, s14, 4
	s_add_i32 s8, s9, s8
	v_mov_b32_e32 v5, s8
	ds_read_b128 v[5:8], v5
	s_mov_b64 s[8:9], -1
                                        ; implicit-def: $vgpr9_vgpr10
	s_waitcnt lgkmcnt(0)
	v_cmp_ngt_f64_e64 s[16:17], |v[5:6]|, |v[7:8]|
	s_and_b64 vcc, exec, s[16:17]
	s_cbranch_vccz .LBB233_41
; %bb.40:                               ;   in Loop: Header=BB233_37 Depth=1
	v_div_scale_f64 v[9:10], s[8:9], v[7:8], v[7:8], v[5:6]
	v_rcp_f64_e32 v[11:12], v[9:10]
	v_fma_f64 v[15:16], -v[9:10], v[11:12], 1.0
	v_fma_f64 v[11:12], v[11:12], v[15:16], v[11:12]
	v_div_scale_f64 v[15:16], vcc, v[5:6], v[7:8], v[5:6]
	v_fma_f64 v[17:18], -v[9:10], v[11:12], 1.0
	v_fma_f64 v[11:12], v[11:12], v[17:18], v[11:12]
	v_mul_f64 v[17:18], v[15:16], v[11:12]
	v_fma_f64 v[9:10], -v[9:10], v[17:18], v[15:16]
	v_div_fmas_f64 v[9:10], v[9:10], v[11:12], v[17:18]
	v_div_fixup_f64 v[9:10], v[9:10], v[7:8], v[5:6]
	v_fma_f64 v[11:12], v[5:6], v[9:10], v[7:8]
	v_div_scale_f64 v[15:16], s[8:9], v[11:12], v[11:12], 1.0
	s_mov_b64 s[8:9], 0
	v_rcp_f64_e32 v[17:18], v[15:16]
	v_fma_f64 v[19:20], -v[15:16], v[17:18], 1.0
	v_fma_f64 v[17:18], v[17:18], v[19:20], v[17:18]
	v_div_scale_f64 v[19:20], vcc, 1.0, v[11:12], 1.0
	v_fma_f64 v[21:22], -v[15:16], v[17:18], 1.0
	v_fma_f64 v[17:18], v[17:18], v[21:22], v[17:18]
	v_mul_f64 v[21:22], v[19:20], v[17:18]
	v_fma_f64 v[15:16], -v[15:16], v[21:22], v[19:20]
	v_div_fmas_f64 v[15:16], v[15:16], v[17:18], v[21:22]
	v_fma_f64 v[17:18], v[1:2], v[9:10], v[3:4]
	v_div_fixup_f64 v[11:12], v[15:16], v[11:12], 1.0
	v_fma_f64 v[15:16], v[3:4], v[9:10], -v[1:2]
	v_mul_f64 v[9:10], v[17:18], v[11:12]
	v_mul_f64 v[11:12], v[15:16], v[11:12]
.LBB233_41:                             ;   in Loop: Header=BB233_37 Depth=1
	s_andn2_b64 vcc, exec, s[8:9]
	s_cbranch_vccnz .LBB233_36
; %bb.42:                               ;   in Loop: Header=BB233_37 Depth=1
	v_div_scale_f64 v[9:10], s[8:9], v[5:6], v[5:6], v[7:8]
	v_rcp_f64_e32 v[11:12], v[9:10]
	v_fma_f64 v[15:16], -v[9:10], v[11:12], 1.0
	v_fma_f64 v[11:12], v[11:12], v[15:16], v[11:12]
	v_div_scale_f64 v[15:16], vcc, v[7:8], v[5:6], v[7:8]
	v_fma_f64 v[17:18], -v[9:10], v[11:12], 1.0
	v_fma_f64 v[11:12], v[11:12], v[17:18], v[11:12]
	v_mul_f64 v[17:18], v[15:16], v[11:12]
	v_fma_f64 v[9:10], -v[9:10], v[17:18], v[15:16]
	v_div_fmas_f64 v[9:10], v[9:10], v[11:12], v[17:18]
	v_div_fixup_f64 v[9:10], v[9:10], v[5:6], v[7:8]
	v_fma_f64 v[5:6], v[7:8], v[9:10], v[5:6]
	v_div_scale_f64 v[7:8], s[8:9], v[5:6], v[5:6], 1.0
	v_rcp_f64_e32 v[11:12], v[7:8]
	v_fma_f64 v[15:16], -v[7:8], v[11:12], 1.0
	v_fma_f64 v[11:12], v[11:12], v[15:16], v[11:12]
	v_div_scale_f64 v[15:16], vcc, 1.0, v[5:6], 1.0
	v_fma_f64 v[17:18], -v[7:8], v[11:12], 1.0
	v_fma_f64 v[11:12], v[11:12], v[17:18], v[11:12]
	v_mul_f64 v[17:18], v[15:16], v[11:12]
	v_fma_f64 v[7:8], -v[7:8], v[17:18], v[15:16]
	v_div_fmas_f64 v[7:8], v[7:8], v[11:12], v[17:18]
	v_fma_f64 v[11:12], v[3:4], v[9:10], v[1:2]
	v_fma_f64 v[1:2], -v[1:2], v[9:10], v[3:4]
	v_div_fixup_f64 v[5:6], v[7:8], v[5:6], 1.0
	v_mul_f64 v[9:10], v[11:12], v[5:6]
	v_mul_f64 v[11:12], v[1:2], v[5:6]
	s_branch .LBB233_36
.LBB233_43:
	s_mov_b64 s[8:9], 0
.LBB233_44:
	s_and_b64 vcc, exec, s[8:9]
	s_cbranch_vccz .LBB233_76
; %bb.45:
	s_andn2_b64 vcc, exec, s[6:7]
	s_mov_b32 s14, s13
	s_cbranch_vccnz .LBB233_67
; %bb.46:
	s_mul_i32 s8, s25, 0x1d0
	s_add_i32 s10, s8, 0xfffffe00
	s_mul_i32 s8, s25, 0x1c0
	v_lshl_add_u32 v1, v0, 4, s8
	v_add_u32_e32 v26, 0x2f40, v1
	s_mov_b32 s11, s13
.LBB233_47:                             ; =>This Loop Header: Depth=1
                                        ;     Child Loop BB233_48 Depth 2
	s_mul_i32 s8, s11, 0x1c0
	v_add_u32_e32 v30, s8, v25
	v_add_u32_e32 v28, 0xfffffc80, v30
	s_add_i32 s9, s8, 0xfffffac0
	v_add_u32_e32 v29, 0xfffffe40, v30
	ds_read_b128 v[17:20], v30
	ds_read_b128 v[13:16], v29
	v_add_u32_e32 v27, s9, v25
	ds_read_b128 v[5:8], v28
	ds_read_b128 v[1:4], v27
	s_cmp_le_i32 s13, s11
	v_mov_b32_e32 v9, v26
	s_mov_b32 s9, s10
	s_mov_b32 s14, s13
	s_cbranch_scc1 .LBB233_49
.LBB233_48:                             ;   Parent Loop BB233_47 Depth=1
                                        ; =>  This Inner Loop Header: Depth=2
	v_mov_b32_e32 v10, s9
	ds_read_b128 v[21:24], v9
	ds_read_b128 v[31:34], v10 offset:48
	ds_read_b128 v[35:38], v10 offset:32
	ds_read_b128 v[39:42], v10
	ds_read_b128 v[43:46], v10 offset:16
	s_add_i32 s14, s14, -1
	s_addk_i32 s9, 0xfe40
	s_cmp_le_i32 s14, s11
	s_waitcnt lgkmcnt(3)
	v_mul_f64 v[10:11], v[23:24], v[33:34]
	v_mul_f64 v[33:34], v[21:22], v[33:34]
	s_waitcnt lgkmcnt(2)
	v_mul_f64 v[47:48], v[23:24], v[37:38]
	v_mul_f64 v[37:38], v[21:22], v[37:38]
	;; [unrolled: 3-line block ×3, first 2 shown]
	v_mul_f64 v[51:52], v[23:24], v[41:42]
	v_mul_f64 v[41:42], v[21:22], v[41:42]
	v_fma_f64 v[10:11], v[21:22], v[31:32], -v[10:11]
	v_fma_f64 v[31:32], v[23:24], v[31:32], v[33:34]
	v_fma_f64 v[33:34], v[21:22], v[35:36], -v[47:48]
	v_fma_f64 v[35:36], v[23:24], v[35:36], v[37:38]
	;; [unrolled: 2-line block ×4, first 2 shown]
	v_add_f64 v[17:18], v[17:18], -v[10:11]
	v_add_f64 v[19:20], v[19:20], -v[31:32]
	;; [unrolled: 1-line block ×8, first 2 shown]
	v_add_u32_e32 v9, 0xfffffe40, v9
	s_cbranch_scc0 .LBB233_48
.LBB233_49:                             ;   in Loop: Header=BB233_47 Depth=1
	s_lshl_b32 s15, s11, 4
	s_add_i32 s15, s15, s8
	v_mov_b32_e32 v9, s15
	ds_read_b128 v[21:24], v9
	s_add_i32 s14, s11, -3
	s_mov_b64 s[8:9], -1
                                        ; implicit-def: $vgpr11_vgpr12
	s_waitcnt lgkmcnt(0)
	v_cmp_ngt_f64_e64 s[16:17], |v[21:22]|, |v[23:24]|
	s_and_b64 vcc, exec, s[16:17]
	s_cbranch_vccz .LBB233_51
; %bb.50:                               ;   in Loop: Header=BB233_47 Depth=1
	v_div_scale_f64 v[9:10], s[8:9], v[23:24], v[23:24], v[21:22]
	v_rcp_f64_e32 v[11:12], v[9:10]
	v_fma_f64 v[31:32], -v[9:10], v[11:12], 1.0
	v_fma_f64 v[11:12], v[11:12], v[31:32], v[11:12]
	v_div_scale_f64 v[31:32], vcc, v[21:22], v[23:24], v[21:22]
	v_fma_f64 v[33:34], -v[9:10], v[11:12], 1.0
	v_fma_f64 v[11:12], v[11:12], v[33:34], v[11:12]
	v_mul_f64 v[33:34], v[31:32], v[11:12]
	v_fma_f64 v[9:10], -v[9:10], v[33:34], v[31:32]
	v_div_fmas_f64 v[9:10], v[9:10], v[11:12], v[33:34]
	v_div_fixup_f64 v[9:10], v[9:10], v[23:24], v[21:22]
	v_fma_f64 v[11:12], v[21:22], v[9:10], v[23:24]
	v_div_scale_f64 v[31:32], s[8:9], v[11:12], v[11:12], 1.0
	s_mov_b64 s[8:9], 0
	v_rcp_f64_e32 v[33:34], v[31:32]
	v_fma_f64 v[35:36], -v[31:32], v[33:34], 1.0
	v_fma_f64 v[33:34], v[33:34], v[35:36], v[33:34]
	v_div_scale_f64 v[35:36], vcc, 1.0, v[11:12], 1.0
	v_fma_f64 v[37:38], -v[31:32], v[33:34], 1.0
	v_fma_f64 v[33:34], v[33:34], v[37:38], v[33:34]
	v_mul_f64 v[37:38], v[35:36], v[33:34]
	v_fma_f64 v[31:32], -v[31:32], v[37:38], v[35:36]
	v_div_fmas_f64 v[31:32], v[31:32], v[33:34], v[37:38]
	v_fma_f64 v[33:34], v[17:18], v[9:10], v[19:20]
	v_div_fixup_f64 v[11:12], v[31:32], v[11:12], 1.0
	v_fma_f64 v[31:32], v[19:20], v[9:10], -v[17:18]
	v_mul_f64 v[9:10], v[33:34], v[11:12]
	v_mul_f64 v[11:12], v[31:32], v[11:12]
.LBB233_51:                             ;   in Loop: Header=BB233_47 Depth=1
	s_andn2_b64 vcc, exec, s[8:9]
	s_cbranch_vccnz .LBB233_53
; %bb.52:                               ;   in Loop: Header=BB233_47 Depth=1
	v_div_scale_f64 v[9:10], s[8:9], v[21:22], v[21:22], v[23:24]
	v_rcp_f64_e32 v[11:12], v[9:10]
	v_fma_f64 v[31:32], -v[9:10], v[11:12], 1.0
	v_fma_f64 v[11:12], v[11:12], v[31:32], v[11:12]
	v_div_scale_f64 v[31:32], vcc, v[23:24], v[21:22], v[23:24]
	v_fma_f64 v[33:34], -v[9:10], v[11:12], 1.0
	v_fma_f64 v[11:12], v[11:12], v[33:34], v[11:12]
	v_mul_f64 v[33:34], v[31:32], v[11:12]
	v_fma_f64 v[9:10], -v[9:10], v[33:34], v[31:32]
	v_div_fmas_f64 v[9:10], v[9:10], v[11:12], v[33:34]
	v_div_fixup_f64 v[9:10], v[9:10], v[21:22], v[23:24]
	v_fma_f64 v[11:12], v[23:24], v[9:10], v[21:22]
	v_div_scale_f64 v[21:22], s[8:9], v[11:12], v[11:12], 1.0
	v_rcp_f64_e32 v[23:24], v[21:22]
	v_fma_f64 v[31:32], -v[21:22], v[23:24], 1.0
	v_fma_f64 v[23:24], v[23:24], v[31:32], v[23:24]
	v_div_scale_f64 v[31:32], vcc, 1.0, v[11:12], 1.0
	v_fma_f64 v[33:34], -v[21:22], v[23:24], 1.0
	v_fma_f64 v[23:24], v[23:24], v[33:34], v[23:24]
	v_mul_f64 v[33:34], v[31:32], v[23:24]
	v_fma_f64 v[21:22], -v[21:22], v[33:34], v[31:32]
	v_div_fmas_f64 v[21:22], v[21:22], v[23:24], v[33:34]
	v_fma_f64 v[23:24], v[19:20], v[9:10], v[17:18]
	v_fma_f64 v[17:18], -v[17:18], v[9:10], v[19:20]
	v_div_fixup_f64 v[11:12], v[21:22], v[11:12], 1.0
	v_mul_f64 v[9:10], v[23:24], v[11:12]
	v_mul_f64 v[11:12], v[17:18], v[11:12]
.LBB233_53:                             ;   in Loop: Header=BB233_47 Depth=1
	s_add_i32 s8, s15, -16
	v_mov_b32_e32 v17, s8
	ds_read_b128 v[21:24], v17
	s_add_i32 s16, s15, 0xfffffe30
	v_mov_b32_e32 v17, s16
	ds_read_b128 v[17:20], v17
	s_mov_b64 s[8:9], -1
	s_waitcnt lgkmcnt(1)
	v_mul_f64 v[31:32], v[11:12], v[23:24]
	v_mul_f64 v[23:24], v[9:10], v[23:24]
	ds_write_b128 v30, v[9:12]
	s_waitcnt lgkmcnt(1)
	v_cmp_ngt_f64_e64 s[22:23], |v[17:18]|, |v[19:20]|
	v_fma_f64 v[31:32], v[9:10], v[21:22], -v[31:32]
	v_fma_f64 v[23:24], v[11:12], v[21:22], v[23:24]
	s_and_b64 vcc, exec, s[22:23]
	v_add_f64 v[21:22], v[13:14], -v[31:32]
	v_add_f64 v[23:24], v[15:16], -v[23:24]
                                        ; implicit-def: $vgpr15_vgpr16
	s_cbranch_vccz .LBB233_55
; %bb.54:                               ;   in Loop: Header=BB233_47 Depth=1
	v_div_scale_f64 v[13:14], s[8:9], v[19:20], v[19:20], v[17:18]
	v_rcp_f64_e32 v[15:16], v[13:14]
	v_fma_f64 v[30:31], -v[13:14], v[15:16], 1.0
	v_fma_f64 v[15:16], v[15:16], v[30:31], v[15:16]
	v_div_scale_f64 v[30:31], vcc, v[17:18], v[19:20], v[17:18]
	v_fma_f64 v[32:33], -v[13:14], v[15:16], 1.0
	v_fma_f64 v[15:16], v[15:16], v[32:33], v[15:16]
	v_mul_f64 v[32:33], v[30:31], v[15:16]
	v_fma_f64 v[13:14], -v[13:14], v[32:33], v[30:31]
	v_div_fmas_f64 v[13:14], v[13:14], v[15:16], v[32:33]
	v_div_fixup_f64 v[13:14], v[13:14], v[19:20], v[17:18]
	v_fma_f64 v[15:16], v[17:18], v[13:14], v[19:20]
	v_div_scale_f64 v[30:31], s[8:9], v[15:16], v[15:16], 1.0
	s_mov_b64 s[8:9], 0
	v_rcp_f64_e32 v[32:33], v[30:31]
	v_fma_f64 v[34:35], -v[30:31], v[32:33], 1.0
	v_fma_f64 v[32:33], v[32:33], v[34:35], v[32:33]
	v_div_scale_f64 v[34:35], vcc, 1.0, v[15:16], 1.0
	v_fma_f64 v[36:37], -v[30:31], v[32:33], 1.0
	v_fma_f64 v[32:33], v[32:33], v[36:37], v[32:33]
	v_mul_f64 v[36:37], v[34:35], v[32:33]
	v_fma_f64 v[30:31], -v[30:31], v[36:37], v[34:35]
	v_div_fmas_f64 v[30:31], v[30:31], v[32:33], v[36:37]
	v_fma_f64 v[32:33], v[13:14], v[21:22], v[23:24]
	v_div_fixup_f64 v[15:16], v[30:31], v[15:16], 1.0
	v_fma_f64 v[30:31], v[13:14], v[23:24], -v[21:22]
	v_mul_f64 v[13:14], v[32:33], v[15:16]
	v_mul_f64 v[15:16], v[30:31], v[15:16]
.LBB233_55:                             ;   in Loop: Header=BB233_47 Depth=1
	s_andn2_b64 vcc, exec, s[8:9]
	s_cbranch_vccnz .LBB233_57
; %bb.56:                               ;   in Loop: Header=BB233_47 Depth=1
	v_div_scale_f64 v[13:14], s[8:9], v[17:18], v[17:18], v[19:20]
	v_rcp_f64_e32 v[15:16], v[13:14]
	v_fma_f64 v[30:31], -v[13:14], v[15:16], 1.0
	v_fma_f64 v[15:16], v[15:16], v[30:31], v[15:16]
	v_div_scale_f64 v[30:31], vcc, v[19:20], v[17:18], v[19:20]
	v_fma_f64 v[32:33], -v[13:14], v[15:16], 1.0
	v_fma_f64 v[15:16], v[15:16], v[32:33], v[15:16]
	v_mul_f64 v[32:33], v[30:31], v[15:16]
	v_fma_f64 v[13:14], -v[13:14], v[32:33], v[30:31]
	v_div_fmas_f64 v[13:14], v[13:14], v[15:16], v[32:33]
	v_div_fixup_f64 v[13:14], v[13:14], v[17:18], v[19:20]
	v_fma_f64 v[15:16], v[19:20], v[13:14], v[17:18]
	v_div_scale_f64 v[17:18], s[8:9], v[15:16], v[15:16], 1.0
	v_rcp_f64_e32 v[19:20], v[17:18]
	v_fma_f64 v[30:31], -v[17:18], v[19:20], 1.0
	v_fma_f64 v[19:20], v[19:20], v[30:31], v[19:20]
	v_div_scale_f64 v[30:31], vcc, 1.0, v[15:16], 1.0
	v_fma_f64 v[32:33], -v[17:18], v[19:20], 1.0
	v_fma_f64 v[19:20], v[19:20], v[32:33], v[19:20]
	v_mul_f64 v[32:33], v[30:31], v[19:20]
	v_fma_f64 v[17:18], -v[17:18], v[32:33], v[30:31]
	v_div_fmas_f64 v[17:18], v[17:18], v[19:20], v[32:33]
	v_fma_f64 v[19:20], v[13:14], v[23:24], v[21:22]
	v_div_fixup_f64 v[15:16], v[17:18], v[15:16], 1.0
	v_fma_f64 v[17:18], -v[13:14], v[21:22], v[23:24]
	v_mul_f64 v[13:14], v[19:20], v[15:16]
	v_mul_f64 v[15:16], v[17:18], v[15:16]
.LBB233_57:                             ;   in Loop: Header=BB233_47 Depth=1
	s_sub_i32 s17, s15, 32
	v_mov_b32_e32 v17, s17
	s_add_i32 s8, s11, -1
	ds_read_b128 v[17:20], v17
	s_add_i32 s9, s11, -2
	s_lshl_b32 s8, s8, 4
	s_sub_i32 s22, s16, s8
	s_lshl_b32 s16, s9, 4
	s_add_i32 s8, s22, s16
	v_mov_b32_e32 v21, s8
	ds_read_b128 v[21:24], v21
	s_waitcnt lgkmcnt(1)
	v_mul_f64 v[30:31], v[11:12], v[19:20]
	v_mul_f64 v[19:20], v[9:10], v[19:20]
	s_add_i32 s17, s15, 0xfffffc60
	s_mov_b64 s[8:9], -1
	s_waitcnt lgkmcnt(0)
	v_mul_f64 v[32:33], v[15:16], v[23:24]
	v_mul_f64 v[23:24], v[13:14], v[23:24]
	ds_write_b128 v29, v[13:16]
	v_fma_f64 v[30:31], v[9:10], v[17:18], -v[30:31]
	v_fma_f64 v[34:35], v[11:12], v[17:18], v[19:20]
	v_mov_b32_e32 v17, s17
	ds_read_b128 v[17:20], v17
	v_fma_f64 v[32:33], v[13:14], v[21:22], -v[32:33]
	v_fma_f64 v[23:24], v[15:16], v[21:22], v[23:24]
	v_add_f64 v[5:6], v[5:6], -v[30:31]
	v_add_f64 v[7:8], v[7:8], -v[34:35]
	s_waitcnt lgkmcnt(0)
	v_cmp_ngt_f64_e64 s[26:27], |v[17:18]|, |v[19:20]|
	v_add_f64 v[21:22], v[5:6], -v[32:33]
	v_add_f64 v[23:24], v[7:8], -v[23:24]
	s_and_b64 vcc, exec, s[26:27]
                                        ; implicit-def: $vgpr7_vgpr8
	s_cbranch_vccz .LBB233_59
; %bb.58:                               ;   in Loop: Header=BB233_47 Depth=1
	v_div_scale_f64 v[5:6], s[8:9], v[19:20], v[19:20], v[17:18]
	v_rcp_f64_e32 v[7:8], v[5:6]
	v_fma_f64 v[29:30], -v[5:6], v[7:8], 1.0
	v_fma_f64 v[7:8], v[7:8], v[29:30], v[7:8]
	v_div_scale_f64 v[29:30], vcc, v[17:18], v[19:20], v[17:18]
	v_fma_f64 v[31:32], -v[5:6], v[7:8], 1.0
	v_fma_f64 v[7:8], v[7:8], v[31:32], v[7:8]
	v_mul_f64 v[31:32], v[29:30], v[7:8]
	v_fma_f64 v[5:6], -v[5:6], v[31:32], v[29:30]
	v_div_fmas_f64 v[5:6], v[5:6], v[7:8], v[31:32]
	v_div_fixup_f64 v[5:6], v[5:6], v[19:20], v[17:18]
	v_fma_f64 v[7:8], v[17:18], v[5:6], v[19:20]
	v_div_scale_f64 v[29:30], s[8:9], v[7:8], v[7:8], 1.0
	s_mov_b64 s[8:9], 0
	v_rcp_f64_e32 v[31:32], v[29:30]
	v_fma_f64 v[33:34], -v[29:30], v[31:32], 1.0
	v_fma_f64 v[31:32], v[31:32], v[33:34], v[31:32]
	v_div_scale_f64 v[33:34], vcc, 1.0, v[7:8], 1.0
	v_fma_f64 v[35:36], -v[29:30], v[31:32], 1.0
	v_fma_f64 v[31:32], v[31:32], v[35:36], v[31:32]
	v_mul_f64 v[35:36], v[33:34], v[31:32]
	v_fma_f64 v[29:30], -v[29:30], v[35:36], v[33:34]
	v_div_fmas_f64 v[29:30], v[29:30], v[31:32], v[35:36]
	v_fma_f64 v[31:32], v[5:6], v[21:22], v[23:24]
	v_div_fixup_f64 v[7:8], v[29:30], v[7:8], 1.0
	v_fma_f64 v[29:30], v[5:6], v[23:24], -v[21:22]
	v_mul_f64 v[5:6], v[31:32], v[7:8]
	v_mul_f64 v[7:8], v[29:30], v[7:8]
.LBB233_59:                             ;   in Loop: Header=BB233_47 Depth=1
	s_andn2_b64 vcc, exec, s[8:9]
	s_cbranch_vccnz .LBB233_61
; %bb.60:                               ;   in Loop: Header=BB233_47 Depth=1
	v_div_scale_f64 v[5:6], s[8:9], v[17:18], v[17:18], v[19:20]
	v_rcp_f64_e32 v[7:8], v[5:6]
	v_fma_f64 v[29:30], -v[5:6], v[7:8], 1.0
	v_fma_f64 v[7:8], v[7:8], v[29:30], v[7:8]
	v_div_scale_f64 v[29:30], vcc, v[19:20], v[17:18], v[19:20]
	v_fma_f64 v[31:32], -v[5:6], v[7:8], 1.0
	v_fma_f64 v[7:8], v[7:8], v[31:32], v[7:8]
	v_mul_f64 v[31:32], v[29:30], v[7:8]
	v_fma_f64 v[5:6], -v[5:6], v[31:32], v[29:30]
	v_div_fmas_f64 v[5:6], v[5:6], v[7:8], v[31:32]
	v_div_fixup_f64 v[5:6], v[5:6], v[17:18], v[19:20]
	v_fma_f64 v[7:8], v[19:20], v[5:6], v[17:18]
	v_div_scale_f64 v[17:18], s[8:9], v[7:8], v[7:8], 1.0
	v_rcp_f64_e32 v[19:20], v[17:18]
	v_fma_f64 v[29:30], -v[17:18], v[19:20], 1.0
	v_fma_f64 v[19:20], v[19:20], v[29:30], v[19:20]
	v_div_scale_f64 v[29:30], vcc, 1.0, v[7:8], 1.0
	v_fma_f64 v[31:32], -v[17:18], v[19:20], 1.0
	v_fma_f64 v[19:20], v[19:20], v[31:32], v[19:20]
	v_mul_f64 v[31:32], v[29:30], v[19:20]
	v_fma_f64 v[17:18], -v[17:18], v[31:32], v[29:30]
	v_div_fmas_f64 v[17:18], v[17:18], v[19:20], v[31:32]
	v_fma_f64 v[19:20], v[5:6], v[23:24], v[21:22]
	v_div_fixup_f64 v[7:8], v[17:18], v[7:8], 1.0
	v_fma_f64 v[17:18], -v[5:6], v[21:22], v[23:24]
	v_mul_f64 v[5:6], v[19:20], v[7:8]
	v_mul_f64 v[7:8], v[17:18], v[7:8]
.LBB233_61:                             ;   in Loop: Header=BB233_47 Depth=1
	s_sub_i32 s8, s15, 48
	v_mov_b32_e32 v17, s8
	ds_read_b128 v[17:20], v17
	s_lshl_b32 s8, s14, 4
	s_add_i32 s9, s22, s8
	v_mov_b32_e32 v21, s9
	s_sub_i32 s9, s17, s16
	s_add_i32 s8, s9, s8
	v_mov_b32_e32 v29, s8
	ds_read_b128 v[29:32], v29
	s_waitcnt lgkmcnt(1)
	v_mul_f64 v[33:34], v[11:12], v[19:20]
	v_mul_f64 v[19:20], v[9:10], v[19:20]
	ds_read_b128 v[21:24], v21
	s_add_i32 s14, s17, 0xfffffe30
	s_mov_b64 s[8:9], -1
	ds_write_b128 v28, v[5:8]
	v_fma_f64 v[33:34], v[9:10], v[17:18], -v[33:34]
	v_mov_b32_e32 v9, s14
	v_fma_f64 v[17:18], v[11:12], v[17:18], v[19:20]
	ds_read_b128 v[9:12], v9
	s_waitcnt lgkmcnt(2)
	v_mul_f64 v[35:36], v[15:16], v[23:24]
	v_mul_f64 v[23:24], v[13:14], v[23:24]
	v_mul_f64 v[19:20], v[7:8], v[31:32]
	v_mul_f64 v[31:32], v[5:6], v[31:32]
	v_add_f64 v[1:2], v[1:2], -v[33:34]
	s_waitcnt lgkmcnt(0)
	v_cmp_ngt_f64_e64 s[14:15], |v[9:10]|, |v[11:12]|
	v_add_f64 v[3:4], v[3:4], -v[17:18]
	v_fma_f64 v[13:14], v[13:14], v[21:22], -v[35:36]
	v_fma_f64 v[15:16], v[15:16], v[21:22], v[23:24]
	v_fma_f64 v[17:18], v[5:6], v[29:30], -v[19:20]
	v_fma_f64 v[19:20], v[7:8], v[29:30], v[31:32]
	s_and_b64 vcc, exec, s[14:15]
	v_add_f64 v[1:2], v[1:2], -v[13:14]
	v_add_f64 v[3:4], v[3:4], -v[15:16]
	;; [unrolled: 1-line block ×4, first 2 shown]
                                        ; implicit-def: $vgpr3_vgpr4
	s_cbranch_vccz .LBB233_63
; %bb.62:                               ;   in Loop: Header=BB233_47 Depth=1
	v_div_scale_f64 v[1:2], s[8:9], v[11:12], v[11:12], v[9:10]
	v_rcp_f64_e32 v[3:4], v[1:2]
	v_fma_f64 v[5:6], -v[1:2], v[3:4], 1.0
	v_fma_f64 v[3:4], v[3:4], v[5:6], v[3:4]
	v_div_scale_f64 v[5:6], vcc, v[9:10], v[11:12], v[9:10]
	v_fma_f64 v[7:8], -v[1:2], v[3:4], 1.0
	v_fma_f64 v[3:4], v[3:4], v[7:8], v[3:4]
	v_mul_f64 v[7:8], v[5:6], v[3:4]
	v_fma_f64 v[1:2], -v[1:2], v[7:8], v[5:6]
	v_div_fmas_f64 v[1:2], v[1:2], v[3:4], v[7:8]
	v_div_fixup_f64 v[1:2], v[1:2], v[11:12], v[9:10]
	v_fma_f64 v[3:4], v[9:10], v[1:2], v[11:12]
	v_div_scale_f64 v[5:6], s[8:9], v[3:4], v[3:4], 1.0
	s_mov_b64 s[8:9], 0
	v_rcp_f64_e32 v[7:8], v[5:6]
	v_fma_f64 v[17:18], -v[5:6], v[7:8], 1.0
	v_fma_f64 v[7:8], v[7:8], v[17:18], v[7:8]
	v_div_scale_f64 v[17:18], vcc, 1.0, v[3:4], 1.0
	v_fma_f64 v[19:20], -v[5:6], v[7:8], 1.0
	v_fma_f64 v[7:8], v[7:8], v[19:20], v[7:8]
	v_mul_f64 v[19:20], v[17:18], v[7:8]
	v_fma_f64 v[5:6], -v[5:6], v[19:20], v[17:18]
	v_div_fmas_f64 v[5:6], v[5:6], v[7:8], v[19:20]
	v_fma_f64 v[7:8], v[1:2], v[13:14], v[15:16]
	v_div_fixup_f64 v[3:4], v[5:6], v[3:4], 1.0
	v_fma_f64 v[5:6], v[1:2], v[15:16], -v[13:14]
	v_mul_f64 v[1:2], v[7:8], v[3:4]
	v_mul_f64 v[3:4], v[5:6], v[3:4]
.LBB233_63:                             ;   in Loop: Header=BB233_47 Depth=1
	s_andn2_b64 vcc, exec, s[8:9]
	s_cbranch_vccnz .LBB233_65
; %bb.64:                               ;   in Loop: Header=BB233_47 Depth=1
	v_div_scale_f64 v[1:2], s[8:9], v[9:10], v[9:10], v[11:12]
	v_rcp_f64_e32 v[3:4], v[1:2]
	v_fma_f64 v[5:6], -v[1:2], v[3:4], 1.0
	v_fma_f64 v[3:4], v[3:4], v[5:6], v[3:4]
	v_div_scale_f64 v[5:6], vcc, v[11:12], v[9:10], v[11:12]
	v_fma_f64 v[7:8], -v[1:2], v[3:4], 1.0
	v_fma_f64 v[3:4], v[3:4], v[7:8], v[3:4]
	v_mul_f64 v[7:8], v[5:6], v[3:4]
	v_fma_f64 v[1:2], -v[1:2], v[7:8], v[5:6]
	v_div_fmas_f64 v[1:2], v[1:2], v[3:4], v[7:8]
	v_div_fixup_f64 v[1:2], v[1:2], v[9:10], v[11:12]
	v_fma_f64 v[3:4], v[11:12], v[1:2], v[9:10]
	v_div_scale_f64 v[5:6], s[8:9], v[3:4], v[3:4], 1.0
	v_rcp_f64_e32 v[7:8], v[5:6]
	v_fma_f64 v[9:10], -v[5:6], v[7:8], 1.0
	v_fma_f64 v[7:8], v[7:8], v[9:10], v[7:8]
	v_div_scale_f64 v[9:10], vcc, 1.0, v[3:4], 1.0
	v_fma_f64 v[11:12], -v[5:6], v[7:8], 1.0
	v_fma_f64 v[7:8], v[7:8], v[11:12], v[7:8]
	v_mul_f64 v[11:12], v[9:10], v[7:8]
	v_fma_f64 v[5:6], -v[5:6], v[11:12], v[9:10]
	v_div_fmas_f64 v[5:6], v[5:6], v[7:8], v[11:12]
	v_fma_f64 v[7:8], v[1:2], v[15:16], v[13:14]
	v_div_fixup_f64 v[3:4], v[5:6], v[3:4], 1.0
	v_fma_f64 v[5:6], -v[1:2], v[13:14], v[15:16]
	v_mul_f64 v[1:2], v[7:8], v[3:4]
	v_mul_f64 v[3:4], v[5:6], v[3:4]
.LBB233_65:                             ;   in Loop: Header=BB233_47 Depth=1
	s_add_i32 s14, s11, -4
	s_sub_i32 s10, s10, 64
	s_cmp_lt_i32 s11, 7
	ds_write_b128 v27, v[1:4]
	s_cbranch_scc1 .LBB233_67
; %bb.66:                               ;   in Loop: Header=BB233_47 Depth=1
	s_mov_b32 s11, s14
	s_branch .LBB233_47
.LBB233_67:
	s_cmp_lt_i32 s14, 0
	s_cbranch_scc1 .LBB233_76
; %bb.68:
	s_mul_i32 s8, s25, 0x1c0
	s_lshl_b32 s9, s14, 4
	s_add_i32 s9, s8, s9
	v_lshl_add_u32 v1, v0, 4, s8
	s_add_i32 s10, s9, 0xfffffe40
	v_add_u32_e32 v13, 0x2f40, v1
	s_branch .LBB233_70
.LBB233_69:                             ;   in Loop: Header=BB233_70 Depth=1
	v_sub_co_u32_e64 v1, s[8:9], s14, 1
	v_readfirstlane_b32 s14, v1
	s_add_i32 s10, s10, -16
	s_and_b64 vcc, exec, s[8:9]
	ds_write_b128 v14, v[9:12]
	s_cbranch_vccnz .LBB233_76
.LBB233_70:                             ; =>This Loop Header: Depth=1
                                        ;     Child Loop BB233_71 Depth 2
	s_mul_i32 s8, s14, 0x1c0
	v_add_u32_e32 v14, s8, v25
	ds_read_b128 v[1:4], v14
	s_cmp_le_i32 s13, s14
	v_mov_b32_e32 v5, v13
	s_mov_b32 s9, s10
	s_mov_b32 s11, s13
	s_cbranch_scc1 .LBB233_72
.LBB233_71:                             ;   Parent Loop BB233_70 Depth=1
                                        ; =>  This Inner Loop Header: Depth=2
	v_mov_b32_e32 v10, s9
	ds_read_b128 v[6:9], v5
	ds_read_b128 v[15:18], v10
	s_add_i32 s11, s11, -1
	s_addk_i32 s9, 0xfe40
	s_cmp_le_u32 s11, s14
	v_add_u32_e32 v5, 0xfffffe40, v5
	s_waitcnt lgkmcnt(0)
	v_mul_f64 v[10:11], v[17:18], v[8:9]
	v_mul_f64 v[8:9], v[15:16], v[8:9]
	v_fma_f64 v[10:11], v[15:16], v[6:7], -v[10:11]
	v_fma_f64 v[6:7], v[17:18], v[6:7], v[8:9]
	v_add_f64 v[1:2], v[1:2], -v[10:11]
	v_add_f64 v[3:4], v[3:4], -v[6:7]
	s_cbranch_scc0 .LBB233_71
.LBB233_72:                             ;   in Loop: Header=BB233_70 Depth=1
	s_lshl_b32 s9, s14, 4
	s_add_i32 s8, s9, s8
	v_mov_b32_e32 v5, s8
	ds_read_b128 v[5:8], v5
	s_mov_b64 s[8:9], -1
                                        ; implicit-def: $vgpr9_vgpr10
	s_waitcnt lgkmcnt(0)
	v_cmp_ngt_f64_e64 s[16:17], |v[5:6]|, |v[7:8]|
	s_and_b64 vcc, exec, s[16:17]
	s_cbranch_vccz .LBB233_74
; %bb.73:                               ;   in Loop: Header=BB233_70 Depth=1
	v_div_scale_f64 v[9:10], s[8:9], v[7:8], v[7:8], v[5:6]
	v_rcp_f64_e32 v[11:12], v[9:10]
	v_fma_f64 v[15:16], -v[9:10], v[11:12], 1.0
	v_fma_f64 v[11:12], v[11:12], v[15:16], v[11:12]
	v_div_scale_f64 v[15:16], vcc, v[5:6], v[7:8], v[5:6]
	v_fma_f64 v[17:18], -v[9:10], v[11:12], 1.0
	v_fma_f64 v[11:12], v[11:12], v[17:18], v[11:12]
	v_mul_f64 v[17:18], v[15:16], v[11:12]
	v_fma_f64 v[9:10], -v[9:10], v[17:18], v[15:16]
	v_div_fmas_f64 v[9:10], v[9:10], v[11:12], v[17:18]
	v_div_fixup_f64 v[9:10], v[9:10], v[7:8], v[5:6]
	v_fma_f64 v[11:12], v[5:6], v[9:10], v[7:8]
	v_div_scale_f64 v[15:16], s[8:9], v[11:12], v[11:12], 1.0
	s_mov_b64 s[8:9], 0
	v_rcp_f64_e32 v[17:18], v[15:16]
	v_fma_f64 v[19:20], -v[15:16], v[17:18], 1.0
	v_fma_f64 v[17:18], v[17:18], v[19:20], v[17:18]
	v_div_scale_f64 v[19:20], vcc, 1.0, v[11:12], 1.0
	v_fma_f64 v[21:22], -v[15:16], v[17:18], 1.0
	v_fma_f64 v[17:18], v[17:18], v[21:22], v[17:18]
	v_mul_f64 v[21:22], v[19:20], v[17:18]
	v_fma_f64 v[15:16], -v[15:16], v[21:22], v[19:20]
	v_div_fmas_f64 v[15:16], v[15:16], v[17:18], v[21:22]
	v_fma_f64 v[17:18], v[1:2], v[9:10], v[3:4]
	v_div_fixup_f64 v[11:12], v[15:16], v[11:12], 1.0
	v_fma_f64 v[15:16], v[3:4], v[9:10], -v[1:2]
	v_mul_f64 v[9:10], v[17:18], v[11:12]
	v_mul_f64 v[11:12], v[15:16], v[11:12]
.LBB233_74:                             ;   in Loop: Header=BB233_70 Depth=1
	s_andn2_b64 vcc, exec, s[8:9]
	s_cbranch_vccnz .LBB233_69
; %bb.75:                               ;   in Loop: Header=BB233_70 Depth=1
	v_div_scale_f64 v[9:10], s[8:9], v[5:6], v[5:6], v[7:8]
	v_rcp_f64_e32 v[11:12], v[9:10]
	v_fma_f64 v[15:16], -v[9:10], v[11:12], 1.0
	v_fma_f64 v[11:12], v[11:12], v[15:16], v[11:12]
	v_div_scale_f64 v[15:16], vcc, v[7:8], v[5:6], v[7:8]
	v_fma_f64 v[17:18], -v[9:10], v[11:12], 1.0
	v_fma_f64 v[11:12], v[11:12], v[17:18], v[11:12]
	v_mul_f64 v[17:18], v[15:16], v[11:12]
	v_fma_f64 v[9:10], -v[9:10], v[17:18], v[15:16]
	v_div_fmas_f64 v[9:10], v[9:10], v[11:12], v[17:18]
	v_div_fixup_f64 v[9:10], v[9:10], v[5:6], v[7:8]
	v_fma_f64 v[5:6], v[7:8], v[9:10], v[5:6]
	v_div_scale_f64 v[7:8], s[8:9], v[5:6], v[5:6], 1.0
	v_rcp_f64_e32 v[11:12], v[7:8]
	v_fma_f64 v[15:16], -v[7:8], v[11:12], 1.0
	v_fma_f64 v[11:12], v[11:12], v[15:16], v[11:12]
	v_div_scale_f64 v[15:16], vcc, 1.0, v[5:6], 1.0
	v_fma_f64 v[17:18], -v[7:8], v[11:12], 1.0
	v_fma_f64 v[11:12], v[11:12], v[17:18], v[11:12]
	v_mul_f64 v[17:18], v[15:16], v[11:12]
	v_fma_f64 v[7:8], -v[7:8], v[17:18], v[15:16]
	v_div_fmas_f64 v[7:8], v[7:8], v[11:12], v[17:18]
	v_fma_f64 v[11:12], v[3:4], v[9:10], v[1:2]
	v_fma_f64 v[1:2], -v[1:2], v[9:10], v[3:4]
	v_div_fixup_f64 v[5:6], v[7:8], v[5:6], 1.0
	v_mul_f64 v[9:10], v[11:12], v[5:6]
	v_mul_f64 v[11:12], v[1:2], v[5:6]
	s_branch .LBB233_69
.LBB233_76:
	s_mov_b64 s[10:11], 0
.LBB233_77:
	s_andn2_b64 vcc, exec, s[10:11]
	s_cbranch_vccnz .LBB233_109
; %bb.78:
	s_andn2_b64 vcc, exec, s[6:7]
	s_mul_i32 s8, s25, 0x1c0
	s_mov_b32 s11, s13
	s_cbranch_vccnz .LBB233_100
; %bb.79:
	v_lshl_add_u32 v1, v0, 4, s8
	s_mul_i32 s6, s25, 0x1d0
	v_add_u32_e32 v26, 0x2f40, v1
	s_add_i32 s9, s6, 0xfffff8f0
	s_mov_b32 s10, s13
.LBB233_80:                             ; =>This Loop Header: Depth=1
                                        ;     Child Loop BB233_81 Depth 2
	s_mul_i32 s11, s10, 28
	v_lshl_add_u32 v30, s11, 4, v25
	v_add_u32_e32 v28, 0xfffffc80, v30
	v_add_u32_e32 v29, 0xfffffe40, v30
	ds_read_b128 v[17:20], v30
	ds_read_b128 v[13:16], v29
	v_add_u32_e32 v27, 0xfffffac0, v30
	ds_read_b128 v[5:8], v28
	ds_read_b128 v[1:4], v27
	s_cmp_le_i32 s13, s10
	s_mov_b32 s6, s9
	v_mov_b32_e32 v9, v26
	s_mov_b32 s7, s13
	s_cbranch_scc1 .LBB233_82
.LBB233_81:                             ;   Parent Loop BB233_80 Depth=1
                                        ; =>  This Inner Loop Header: Depth=2
	v_mov_b32_e32 v10, s6
	ds_read_b128 v[21:24], v9
	ds_read_b128 v[31:34], v10 offset:1344
	ds_read_b128 v[35:38], v10 offset:896
	;; [unrolled: 1-line block ×3, first 2 shown]
	ds_read_b128 v[43:46], v10
	s_add_i32 s7, s7, -1
	s_add_i32 s6, s6, -16
	s_cmp_le_i32 s7, s10
	s_waitcnt lgkmcnt(3)
	v_mul_f64 v[10:11], v[23:24], v[33:34]
	v_mul_f64 v[33:34], v[21:22], v[33:34]
	s_waitcnt lgkmcnt(2)
	v_mul_f64 v[47:48], v[23:24], v[37:38]
	v_mul_f64 v[37:38], v[21:22], v[37:38]
	;; [unrolled: 3-line block ×4, first 2 shown]
	v_fma_f64 v[10:11], v[21:22], v[31:32], -v[10:11]
	v_fma_f64 v[31:32], v[23:24], v[31:32], v[33:34]
	v_fma_f64 v[33:34], v[21:22], v[35:36], -v[47:48]
	v_fma_f64 v[35:36], v[23:24], v[35:36], v[37:38]
	;; [unrolled: 2-line block ×4, first 2 shown]
	v_add_f64 v[17:18], v[17:18], -v[10:11]
	v_add_f64 v[19:20], v[19:20], -v[31:32]
	v_add_f64 v[13:14], v[13:14], -v[33:34]
	v_add_f64 v[15:16], v[15:16], -v[35:36]
	v_add_f64 v[5:6], v[5:6], -v[37:38]
	v_add_f64 v[7:8], v[7:8], -v[39:40]
	v_add_f64 v[1:2], v[1:2], -v[21:22]
	v_add_f64 v[3:4], v[3:4], -v[23:24]
	v_add_u32_e32 v9, 0xfffffe40, v9
	s_cbranch_scc0 .LBB233_81
.LBB233_82:                             ;   in Loop: Header=BB233_80 Depth=1
	s_mul_i32 s6, s10, 0x1d0
	v_mov_b32_e32 v9, s6
	ds_read_b128 v[21:24], v9
	s_mov_b64 s[6:7], -1
                                        ; implicit-def: $vgpr11_vgpr12
	s_waitcnt lgkmcnt(0)
	v_cmp_ngt_f64_e64 s[14:15], |v[21:22]|, |v[23:24]|
	s_and_b64 vcc, exec, s[14:15]
	s_cbranch_vccz .LBB233_84
; %bb.83:                               ;   in Loop: Header=BB233_80 Depth=1
	v_div_scale_f64 v[9:10], s[6:7], v[23:24], v[23:24], v[21:22]
	v_rcp_f64_e32 v[11:12], v[9:10]
	v_fma_f64 v[31:32], -v[9:10], v[11:12], 1.0
	v_fma_f64 v[11:12], v[11:12], v[31:32], v[11:12]
	v_div_scale_f64 v[31:32], vcc, v[21:22], v[23:24], v[21:22]
	v_fma_f64 v[33:34], -v[9:10], v[11:12], 1.0
	v_fma_f64 v[11:12], v[11:12], v[33:34], v[11:12]
	v_mul_f64 v[33:34], v[31:32], v[11:12]
	v_fma_f64 v[9:10], -v[9:10], v[33:34], v[31:32]
	v_div_fmas_f64 v[9:10], v[9:10], v[11:12], v[33:34]
	v_div_fixup_f64 v[9:10], v[9:10], v[23:24], v[21:22]
	v_fma_f64 v[11:12], v[21:22], v[9:10], v[23:24]
	v_div_scale_f64 v[31:32], s[6:7], v[11:12], v[11:12], 1.0
	s_mov_b64 s[6:7], 0
	v_rcp_f64_e32 v[33:34], v[31:32]
	v_fma_f64 v[35:36], -v[31:32], v[33:34], 1.0
	v_fma_f64 v[33:34], v[33:34], v[35:36], v[33:34]
	v_div_scale_f64 v[35:36], vcc, 1.0, v[11:12], 1.0
	v_fma_f64 v[37:38], -v[31:32], v[33:34], 1.0
	v_fma_f64 v[33:34], v[33:34], v[37:38], v[33:34]
	v_mul_f64 v[37:38], v[35:36], v[33:34]
	v_fma_f64 v[31:32], -v[31:32], v[37:38], v[35:36]
	v_div_fmas_f64 v[31:32], v[31:32], v[33:34], v[37:38]
	v_fma_f64 v[33:34], v[17:18], v[9:10], v[19:20]
	v_div_fixup_f64 v[11:12], v[31:32], v[11:12], 1.0
	v_fma_f64 v[31:32], v[19:20], v[9:10], -v[17:18]
	v_mul_f64 v[9:10], v[33:34], v[11:12]
	v_mul_f64 v[11:12], v[31:32], v[11:12]
.LBB233_84:                             ;   in Loop: Header=BB233_80 Depth=1
	s_andn2_b64 vcc, exec, s[6:7]
	s_cbranch_vccnz .LBB233_86
; %bb.85:                               ;   in Loop: Header=BB233_80 Depth=1
	v_div_scale_f64 v[9:10], s[6:7], v[21:22], v[21:22], v[23:24]
	v_rcp_f64_e32 v[11:12], v[9:10]
	v_fma_f64 v[31:32], -v[9:10], v[11:12], 1.0
	v_fma_f64 v[11:12], v[11:12], v[31:32], v[11:12]
	v_div_scale_f64 v[31:32], vcc, v[23:24], v[21:22], v[23:24]
	v_fma_f64 v[33:34], -v[9:10], v[11:12], 1.0
	v_fma_f64 v[11:12], v[11:12], v[33:34], v[11:12]
	v_mul_f64 v[33:34], v[31:32], v[11:12]
	v_fma_f64 v[9:10], -v[9:10], v[33:34], v[31:32]
	v_div_fmas_f64 v[9:10], v[9:10], v[11:12], v[33:34]
	v_div_fixup_f64 v[9:10], v[9:10], v[21:22], v[23:24]
	v_fma_f64 v[11:12], v[23:24], v[9:10], v[21:22]
	v_div_scale_f64 v[21:22], s[6:7], v[11:12], v[11:12], 1.0
	v_rcp_f64_e32 v[23:24], v[21:22]
	v_fma_f64 v[31:32], -v[21:22], v[23:24], 1.0
	v_fma_f64 v[23:24], v[23:24], v[31:32], v[23:24]
	v_div_scale_f64 v[31:32], vcc, 1.0, v[11:12], 1.0
	v_fma_f64 v[33:34], -v[21:22], v[23:24], 1.0
	v_fma_f64 v[23:24], v[23:24], v[33:34], v[23:24]
	v_mul_f64 v[33:34], v[31:32], v[23:24]
	v_fma_f64 v[21:22], -v[21:22], v[33:34], v[31:32]
	v_div_fmas_f64 v[21:22], v[21:22], v[23:24], v[33:34]
	v_fma_f64 v[23:24], v[19:20], v[9:10], v[17:18]
	v_fma_f64 v[17:18], -v[17:18], v[9:10], v[19:20]
	v_div_fixup_f64 v[11:12], v[21:22], v[11:12], 1.0
	v_mul_f64 v[9:10], v[23:24], v[11:12]
	v_mul_f64 v[11:12], v[17:18], v[11:12]
.LBB233_86:                             ;   in Loop: Header=BB233_80 Depth=1
	s_lshl_b32 s11, s11, 4
	s_addk_i32 s11, 0xfe40
	s_lshl_b32 s14, s10, 4
	s_add_i32 s6, s11, s14
	v_mov_b32_e32 v17, s6
	ds_read_b128 v[21:24], v17
	s_add_i32 s6, s6, -16
	v_mov_b32_e32 v17, s6
	ds_read_b128 v[17:20], v17
	s_mov_b64 s[6:7], -1
	s_waitcnt lgkmcnt(1)
	v_mul_f64 v[31:32], v[11:12], v[23:24]
	v_mul_f64 v[23:24], v[9:10], v[23:24]
	ds_write_b128 v30, v[9:12]
	s_waitcnt lgkmcnt(1)
	v_cmp_ngt_f64_e64 s[16:17], |v[17:18]|, |v[19:20]|
	v_fma_f64 v[31:32], v[9:10], v[21:22], -v[31:32]
	v_fma_f64 v[23:24], v[11:12], v[21:22], v[23:24]
	s_and_b64 vcc, exec, s[16:17]
	v_add_f64 v[21:22], v[13:14], -v[31:32]
	v_add_f64 v[23:24], v[15:16], -v[23:24]
                                        ; implicit-def: $vgpr15_vgpr16
	s_cbranch_vccz .LBB233_88
; %bb.87:                               ;   in Loop: Header=BB233_80 Depth=1
	v_div_scale_f64 v[13:14], s[6:7], v[19:20], v[19:20], v[17:18]
	v_rcp_f64_e32 v[15:16], v[13:14]
	v_fma_f64 v[30:31], -v[13:14], v[15:16], 1.0
	v_fma_f64 v[15:16], v[15:16], v[30:31], v[15:16]
	v_div_scale_f64 v[30:31], vcc, v[17:18], v[19:20], v[17:18]
	v_fma_f64 v[32:33], -v[13:14], v[15:16], 1.0
	v_fma_f64 v[15:16], v[15:16], v[32:33], v[15:16]
	v_mul_f64 v[32:33], v[30:31], v[15:16]
	v_fma_f64 v[13:14], -v[13:14], v[32:33], v[30:31]
	v_div_fmas_f64 v[13:14], v[13:14], v[15:16], v[32:33]
	v_div_fixup_f64 v[13:14], v[13:14], v[19:20], v[17:18]
	v_fma_f64 v[15:16], v[17:18], v[13:14], v[19:20]
	v_div_scale_f64 v[30:31], s[6:7], v[15:16], v[15:16], 1.0
	s_mov_b64 s[6:7], 0
	v_rcp_f64_e32 v[32:33], v[30:31]
	v_fma_f64 v[34:35], -v[30:31], v[32:33], 1.0
	v_fma_f64 v[32:33], v[32:33], v[34:35], v[32:33]
	v_div_scale_f64 v[34:35], vcc, 1.0, v[15:16], 1.0
	v_fma_f64 v[36:37], -v[30:31], v[32:33], 1.0
	v_fma_f64 v[32:33], v[32:33], v[36:37], v[32:33]
	v_mul_f64 v[36:37], v[34:35], v[32:33]
	v_fma_f64 v[30:31], -v[30:31], v[36:37], v[34:35]
	v_div_fmas_f64 v[30:31], v[30:31], v[32:33], v[36:37]
	v_fma_f64 v[32:33], v[13:14], v[21:22], v[23:24]
	v_div_fixup_f64 v[15:16], v[30:31], v[15:16], 1.0
	v_fma_f64 v[30:31], v[13:14], v[23:24], -v[21:22]
	v_mul_f64 v[13:14], v[32:33], v[15:16]
	v_mul_f64 v[15:16], v[30:31], v[15:16]
.LBB233_88:                             ;   in Loop: Header=BB233_80 Depth=1
	s_andn2_b64 vcc, exec, s[6:7]
	s_cbranch_vccnz .LBB233_90
; %bb.89:                               ;   in Loop: Header=BB233_80 Depth=1
	v_div_scale_f64 v[13:14], s[6:7], v[17:18], v[17:18], v[19:20]
	v_rcp_f64_e32 v[15:16], v[13:14]
	v_fma_f64 v[30:31], -v[13:14], v[15:16], 1.0
	v_fma_f64 v[15:16], v[15:16], v[30:31], v[15:16]
	v_div_scale_f64 v[30:31], vcc, v[19:20], v[17:18], v[19:20]
	v_fma_f64 v[32:33], -v[13:14], v[15:16], 1.0
	v_fma_f64 v[15:16], v[15:16], v[32:33], v[15:16]
	v_mul_f64 v[32:33], v[30:31], v[15:16]
	v_fma_f64 v[13:14], -v[13:14], v[32:33], v[30:31]
	v_div_fmas_f64 v[13:14], v[13:14], v[15:16], v[32:33]
	v_div_fixup_f64 v[13:14], v[13:14], v[17:18], v[19:20]
	v_fma_f64 v[15:16], v[19:20], v[13:14], v[17:18]
	v_div_scale_f64 v[17:18], s[6:7], v[15:16], v[15:16], 1.0
	v_rcp_f64_e32 v[19:20], v[17:18]
	v_fma_f64 v[30:31], -v[17:18], v[19:20], 1.0
	v_fma_f64 v[19:20], v[19:20], v[30:31], v[19:20]
	v_div_scale_f64 v[30:31], vcc, 1.0, v[15:16], 1.0
	v_fma_f64 v[32:33], -v[17:18], v[19:20], 1.0
	v_fma_f64 v[19:20], v[19:20], v[32:33], v[19:20]
	v_mul_f64 v[32:33], v[30:31], v[19:20]
	v_fma_f64 v[17:18], -v[17:18], v[32:33], v[30:31]
	v_div_fmas_f64 v[17:18], v[17:18], v[19:20], v[32:33]
	v_fma_f64 v[19:20], v[13:14], v[23:24], v[21:22]
	v_div_fixup_f64 v[15:16], v[17:18], v[15:16], 1.0
	v_fma_f64 v[17:18], -v[13:14], v[21:22], v[23:24]
	v_mul_f64 v[13:14], v[19:20], v[15:16]
	v_mul_f64 v[15:16], v[17:18], v[15:16]
.LBB233_90:                             ;   in Loop: Header=BB233_80 Depth=1
	s_addk_i32 s11, 0xfe40
	s_add_i32 s11, s11, s14
	v_mov_b32_e32 v17, s11
	ds_read_b128 v[17:20], v17
	s_add_i32 s6, s11, -16
	v_mov_b32_e32 v21, s6
	ds_read_b128 v[21:24], v21
	s_sub_i32 s6, s11, 32
	s_waitcnt lgkmcnt(1)
	v_mul_f64 v[30:31], v[11:12], v[19:20]
	v_mul_f64 v[19:20], v[9:10], v[19:20]
	ds_write_b128 v29, v[13:16]
	s_waitcnt lgkmcnt(1)
	v_mul_f64 v[32:33], v[15:16], v[23:24]
	v_mul_f64 v[23:24], v[13:14], v[23:24]
	v_fma_f64 v[30:31], v[9:10], v[17:18], -v[30:31]
	v_fma_f64 v[34:35], v[11:12], v[17:18], v[19:20]
	v_mov_b32_e32 v17, s6
	v_fma_f64 v[32:33], v[13:14], v[21:22], -v[32:33]
	v_fma_f64 v[23:24], v[15:16], v[21:22], v[23:24]
	ds_read_b128 v[17:20], v17
	s_mov_b64 s[6:7], -1
	v_add_f64 v[5:6], v[5:6], -v[30:31]
	v_add_f64 v[7:8], v[7:8], -v[34:35]
	s_waitcnt lgkmcnt(0)
	v_cmp_ngt_f64_e64 s[14:15], |v[17:18]|, |v[19:20]|
	v_add_f64 v[21:22], v[5:6], -v[32:33]
	v_add_f64 v[23:24], v[7:8], -v[23:24]
	s_and_b64 vcc, exec, s[14:15]
                                        ; implicit-def: $vgpr7_vgpr8
	s_cbranch_vccz .LBB233_92
; %bb.91:                               ;   in Loop: Header=BB233_80 Depth=1
	v_div_scale_f64 v[5:6], s[6:7], v[19:20], v[19:20], v[17:18]
	v_rcp_f64_e32 v[7:8], v[5:6]
	v_fma_f64 v[29:30], -v[5:6], v[7:8], 1.0
	v_fma_f64 v[7:8], v[7:8], v[29:30], v[7:8]
	v_div_scale_f64 v[29:30], vcc, v[17:18], v[19:20], v[17:18]
	v_fma_f64 v[31:32], -v[5:6], v[7:8], 1.0
	v_fma_f64 v[7:8], v[7:8], v[31:32], v[7:8]
	v_mul_f64 v[31:32], v[29:30], v[7:8]
	v_fma_f64 v[5:6], -v[5:6], v[31:32], v[29:30]
	v_div_fmas_f64 v[5:6], v[5:6], v[7:8], v[31:32]
	v_div_fixup_f64 v[5:6], v[5:6], v[19:20], v[17:18]
	v_fma_f64 v[7:8], v[17:18], v[5:6], v[19:20]
	v_div_scale_f64 v[29:30], s[6:7], v[7:8], v[7:8], 1.0
	s_mov_b64 s[6:7], 0
	v_rcp_f64_e32 v[31:32], v[29:30]
	v_fma_f64 v[33:34], -v[29:30], v[31:32], 1.0
	v_fma_f64 v[31:32], v[31:32], v[33:34], v[31:32]
	v_div_scale_f64 v[33:34], vcc, 1.0, v[7:8], 1.0
	v_fma_f64 v[35:36], -v[29:30], v[31:32], 1.0
	v_fma_f64 v[31:32], v[31:32], v[35:36], v[31:32]
	v_mul_f64 v[35:36], v[33:34], v[31:32]
	v_fma_f64 v[29:30], -v[29:30], v[35:36], v[33:34]
	v_div_fmas_f64 v[29:30], v[29:30], v[31:32], v[35:36]
	v_fma_f64 v[31:32], v[5:6], v[21:22], v[23:24]
	v_div_fixup_f64 v[7:8], v[29:30], v[7:8], 1.0
	v_fma_f64 v[29:30], v[5:6], v[23:24], -v[21:22]
	v_mul_f64 v[5:6], v[31:32], v[7:8]
	v_mul_f64 v[7:8], v[29:30], v[7:8]
.LBB233_92:                             ;   in Loop: Header=BB233_80 Depth=1
	s_andn2_b64 vcc, exec, s[6:7]
	s_cbranch_vccnz .LBB233_94
; %bb.93:                               ;   in Loop: Header=BB233_80 Depth=1
	v_div_scale_f64 v[5:6], s[6:7], v[17:18], v[17:18], v[19:20]
	v_rcp_f64_e32 v[7:8], v[5:6]
	v_fma_f64 v[29:30], -v[5:6], v[7:8], 1.0
	v_fma_f64 v[7:8], v[7:8], v[29:30], v[7:8]
	v_div_scale_f64 v[29:30], vcc, v[19:20], v[17:18], v[19:20]
	v_fma_f64 v[31:32], -v[5:6], v[7:8], 1.0
	v_fma_f64 v[7:8], v[7:8], v[31:32], v[7:8]
	v_mul_f64 v[31:32], v[29:30], v[7:8]
	v_fma_f64 v[5:6], -v[5:6], v[31:32], v[29:30]
	v_div_fmas_f64 v[5:6], v[5:6], v[7:8], v[31:32]
	v_div_fixup_f64 v[5:6], v[5:6], v[17:18], v[19:20]
	v_fma_f64 v[7:8], v[19:20], v[5:6], v[17:18]
	v_div_scale_f64 v[17:18], s[6:7], v[7:8], v[7:8], 1.0
	v_rcp_f64_e32 v[19:20], v[17:18]
	v_fma_f64 v[29:30], -v[17:18], v[19:20], 1.0
	v_fma_f64 v[19:20], v[19:20], v[29:30], v[19:20]
	v_div_scale_f64 v[29:30], vcc, 1.0, v[7:8], 1.0
	v_fma_f64 v[31:32], -v[17:18], v[19:20], 1.0
	v_fma_f64 v[19:20], v[19:20], v[31:32], v[19:20]
	v_mul_f64 v[31:32], v[29:30], v[19:20]
	v_fma_f64 v[17:18], -v[17:18], v[31:32], v[29:30]
	v_div_fmas_f64 v[17:18], v[17:18], v[19:20], v[31:32]
	v_fma_f64 v[19:20], v[5:6], v[23:24], v[21:22]
	v_div_fixup_f64 v[7:8], v[17:18], v[7:8], 1.0
	v_fma_f64 v[17:18], -v[5:6], v[21:22], v[23:24]
	v_mul_f64 v[5:6], v[19:20], v[7:8]
	v_mul_f64 v[7:8], v[17:18], v[7:8]
.LBB233_94:                             ;   in Loop: Header=BB233_80 Depth=1
	s_add_i32 s6, s11, 0xfffffe40
	v_mov_b32_e32 v17, s6
	ds_read_b128 v[17:20], v17
	s_add_i32 s6, s11, 0xfffffe30
	v_mov_b32_e32 v21, s6
	s_add_i32 s6, s11, 0xfffffe20
	v_mov_b32_e32 v29, s6
	ds_read_b128 v[29:32], v29
	s_waitcnt lgkmcnt(1)
	v_mul_f64 v[33:34], v[11:12], v[19:20]
	v_mul_f64 v[19:20], v[9:10], v[19:20]
	ds_read_b128 v[21:24], v21
	s_add_i32 s7, s11, 0xfffffe10
	ds_write_b128 v28, v[5:8]
	v_fma_f64 v[33:34], v[9:10], v[17:18], -v[33:34]
	v_mov_b32_e32 v9, s7
	v_fma_f64 v[17:18], v[11:12], v[17:18], v[19:20]
	ds_read_b128 v[9:12], v9
	s_waitcnt lgkmcnt(2)
	v_mul_f64 v[35:36], v[15:16], v[23:24]
	v_mul_f64 v[23:24], v[13:14], v[23:24]
	;; [unrolled: 1-line block ×4, first 2 shown]
	v_add_f64 v[1:2], v[1:2], -v[33:34]
	s_waitcnt lgkmcnt(0)
	v_cmp_ngt_f64_e64 s[14:15], |v[9:10]|, |v[11:12]|
	v_add_f64 v[3:4], v[3:4], -v[17:18]
	s_mov_b64 s[6:7], -1
	v_fma_f64 v[13:14], v[13:14], v[21:22], -v[35:36]
	v_fma_f64 v[15:16], v[15:16], v[21:22], v[23:24]
	v_fma_f64 v[17:18], v[5:6], v[29:30], -v[19:20]
	v_fma_f64 v[19:20], v[7:8], v[29:30], v[31:32]
	s_and_b64 vcc, exec, s[14:15]
	v_add_f64 v[1:2], v[1:2], -v[13:14]
	v_add_f64 v[3:4], v[3:4], -v[15:16]
	;; [unrolled: 1-line block ×4, first 2 shown]
                                        ; implicit-def: $vgpr3_vgpr4
	s_cbranch_vccz .LBB233_96
; %bb.95:                               ;   in Loop: Header=BB233_80 Depth=1
	v_div_scale_f64 v[1:2], s[6:7], v[11:12], v[11:12], v[9:10]
	v_rcp_f64_e32 v[3:4], v[1:2]
	v_fma_f64 v[5:6], -v[1:2], v[3:4], 1.0
	v_fma_f64 v[3:4], v[3:4], v[5:6], v[3:4]
	v_div_scale_f64 v[5:6], vcc, v[9:10], v[11:12], v[9:10]
	v_fma_f64 v[7:8], -v[1:2], v[3:4], 1.0
	v_fma_f64 v[3:4], v[3:4], v[7:8], v[3:4]
	v_mul_f64 v[7:8], v[5:6], v[3:4]
	v_fma_f64 v[1:2], -v[1:2], v[7:8], v[5:6]
	v_div_fmas_f64 v[1:2], v[1:2], v[3:4], v[7:8]
	v_div_fixup_f64 v[1:2], v[1:2], v[11:12], v[9:10]
	v_fma_f64 v[3:4], v[9:10], v[1:2], v[11:12]
	v_div_scale_f64 v[5:6], s[6:7], v[3:4], v[3:4], 1.0
	s_mov_b64 s[6:7], 0
	v_rcp_f64_e32 v[7:8], v[5:6]
	v_fma_f64 v[17:18], -v[5:6], v[7:8], 1.0
	v_fma_f64 v[7:8], v[7:8], v[17:18], v[7:8]
	v_div_scale_f64 v[17:18], vcc, 1.0, v[3:4], 1.0
	v_fma_f64 v[19:20], -v[5:6], v[7:8], 1.0
	v_fma_f64 v[7:8], v[7:8], v[19:20], v[7:8]
	v_mul_f64 v[19:20], v[17:18], v[7:8]
	v_fma_f64 v[5:6], -v[5:6], v[19:20], v[17:18]
	v_div_fmas_f64 v[5:6], v[5:6], v[7:8], v[19:20]
	v_fma_f64 v[7:8], v[1:2], v[13:14], v[15:16]
	v_div_fixup_f64 v[3:4], v[5:6], v[3:4], 1.0
	v_fma_f64 v[5:6], v[1:2], v[15:16], -v[13:14]
	v_mul_f64 v[1:2], v[7:8], v[3:4]
	v_mul_f64 v[3:4], v[5:6], v[3:4]
.LBB233_96:                             ;   in Loop: Header=BB233_80 Depth=1
	s_andn2_b64 vcc, exec, s[6:7]
	s_cbranch_vccnz .LBB233_98
; %bb.97:                               ;   in Loop: Header=BB233_80 Depth=1
	v_div_scale_f64 v[1:2], s[6:7], v[9:10], v[9:10], v[11:12]
	v_rcp_f64_e32 v[3:4], v[1:2]
	v_fma_f64 v[5:6], -v[1:2], v[3:4], 1.0
	v_fma_f64 v[3:4], v[3:4], v[5:6], v[3:4]
	v_div_scale_f64 v[5:6], vcc, v[11:12], v[9:10], v[11:12]
	v_fma_f64 v[7:8], -v[1:2], v[3:4], 1.0
	v_fma_f64 v[3:4], v[3:4], v[7:8], v[3:4]
	v_mul_f64 v[7:8], v[5:6], v[3:4]
	v_fma_f64 v[1:2], -v[1:2], v[7:8], v[5:6]
	v_div_fmas_f64 v[1:2], v[1:2], v[3:4], v[7:8]
	v_div_fixup_f64 v[1:2], v[1:2], v[9:10], v[11:12]
	v_fma_f64 v[3:4], v[11:12], v[1:2], v[9:10]
	v_div_scale_f64 v[5:6], s[6:7], v[3:4], v[3:4], 1.0
	v_rcp_f64_e32 v[7:8], v[5:6]
	v_fma_f64 v[9:10], -v[5:6], v[7:8], 1.0
	v_fma_f64 v[7:8], v[7:8], v[9:10], v[7:8]
	v_div_scale_f64 v[9:10], vcc, 1.0, v[3:4], 1.0
	v_fma_f64 v[11:12], -v[5:6], v[7:8], 1.0
	v_fma_f64 v[7:8], v[7:8], v[11:12], v[7:8]
	v_mul_f64 v[11:12], v[9:10], v[7:8]
	v_fma_f64 v[5:6], -v[5:6], v[11:12], v[9:10]
	v_div_fmas_f64 v[5:6], v[5:6], v[7:8], v[11:12]
	v_fma_f64 v[7:8], v[1:2], v[15:16], v[13:14]
	v_div_fixup_f64 v[3:4], v[5:6], v[3:4], 1.0
	v_fma_f64 v[5:6], -v[1:2], v[13:14], v[15:16]
	v_mul_f64 v[1:2], v[7:8], v[3:4]
	v_mul_f64 v[3:4], v[5:6], v[3:4]
.LBB233_98:                             ;   in Loop: Header=BB233_80 Depth=1
	s_add_i32 s11, s10, -4
	s_addk_i32 s9, 0xf900
	s_cmp_lt_i32 s10, 7
	ds_write_b128 v27, v[1:4]
	s_cbranch_scc1 .LBB233_100
; %bb.99:                               ;   in Loop: Header=BB233_80 Depth=1
	s_mov_b32 s10, s11
	s_branch .LBB233_80
.LBB233_100:
	s_cmp_lt_i32 s11, 0
	s_cbranch_scc1 .LBB233_109
; %bb.101:
	s_mul_i32 s6, s11, 0x1c0
	s_lshl_b32 s7, s25, 4
	v_lshl_add_u32 v1, v0, 4, s8
	s_add_i32 s6, s6, s7
	v_add_u32_e32 v13, 0x2f40, v1
	s_add_i32 s8, s6, -16
	s_branch .LBB233_103
.LBB233_102:                            ;   in Loop: Header=BB233_103 Depth=1
	v_sub_co_u32_e64 v1, s[6:7], s11, 1
	v_readfirstlane_b32 s11, v1
	s_addk_i32 s8, 0xfe40
	s_and_b64 vcc, exec, s[6:7]
	ds_write_b128 v14, v[9:12]
	s_cbranch_vccnz .LBB233_109
.LBB233_103:                            ; =>This Loop Header: Depth=1
                                        ;     Child Loop BB233_104 Depth 2
	s_mul_i32 s6, s11, 0x1c0
	v_add_u32_e32 v14, s6, v25
	ds_read_b128 v[1:4], v14
	s_cmp_le_i32 s13, s11
	s_mov_b32 s6, s8
	v_mov_b32_e32 v5, v13
	s_mov_b32 s7, s13
	s_cbranch_scc1 .LBB233_105
.LBB233_104:                            ;   Parent Loop BB233_103 Depth=1
                                        ; =>  This Inner Loop Header: Depth=2
	v_mov_b32_e32 v10, s6
	ds_read_b128 v[6:9], v5
	ds_read_b128 v[15:18], v10
	s_add_i32 s7, s7, -1
	s_add_i32 s6, s6, -16
	s_cmp_le_u32 s7, s11
	v_add_u32_e32 v5, 0xfffffe40, v5
	s_waitcnt lgkmcnt(0)
	v_mul_f64 v[10:11], v[17:18], v[8:9]
	v_mul_f64 v[8:9], v[15:16], v[8:9]
	v_fma_f64 v[10:11], v[15:16], v[6:7], -v[10:11]
	v_fma_f64 v[6:7], v[17:18], v[6:7], v[8:9]
	v_add_f64 v[1:2], v[1:2], -v[10:11]
	v_add_f64 v[3:4], v[3:4], -v[6:7]
	s_cbranch_scc0 .LBB233_104
.LBB233_105:                            ;   in Loop: Header=BB233_103 Depth=1
	s_mul_i32 s6, s11, 0x1d0
	v_mov_b32_e32 v5, s6
	ds_read_b128 v[5:8], v5
	s_mov_b64 s[6:7], -1
                                        ; implicit-def: $vgpr9_vgpr10
	s_waitcnt lgkmcnt(0)
	v_cmp_ngt_f64_e64 s[14:15], |v[5:6]|, |v[7:8]|
	s_and_b64 vcc, exec, s[14:15]
	s_cbranch_vccz .LBB233_107
; %bb.106:                              ;   in Loop: Header=BB233_103 Depth=1
	v_div_scale_f64 v[9:10], s[6:7], v[7:8], v[7:8], v[5:6]
	v_rcp_f64_e32 v[11:12], v[9:10]
	v_fma_f64 v[15:16], -v[9:10], v[11:12], 1.0
	v_fma_f64 v[11:12], v[11:12], v[15:16], v[11:12]
	v_div_scale_f64 v[15:16], vcc, v[5:6], v[7:8], v[5:6]
	v_fma_f64 v[17:18], -v[9:10], v[11:12], 1.0
	v_fma_f64 v[11:12], v[11:12], v[17:18], v[11:12]
	v_mul_f64 v[17:18], v[15:16], v[11:12]
	v_fma_f64 v[9:10], -v[9:10], v[17:18], v[15:16]
	v_div_fmas_f64 v[9:10], v[9:10], v[11:12], v[17:18]
	v_div_fixup_f64 v[9:10], v[9:10], v[7:8], v[5:6]
	v_fma_f64 v[11:12], v[5:6], v[9:10], v[7:8]
	v_div_scale_f64 v[15:16], s[6:7], v[11:12], v[11:12], 1.0
	s_mov_b64 s[6:7], 0
	v_rcp_f64_e32 v[17:18], v[15:16]
	v_fma_f64 v[19:20], -v[15:16], v[17:18], 1.0
	v_fma_f64 v[17:18], v[17:18], v[19:20], v[17:18]
	v_div_scale_f64 v[19:20], vcc, 1.0, v[11:12], 1.0
	v_fma_f64 v[21:22], -v[15:16], v[17:18], 1.0
	v_fma_f64 v[17:18], v[17:18], v[21:22], v[17:18]
	v_mul_f64 v[21:22], v[19:20], v[17:18]
	v_fma_f64 v[15:16], -v[15:16], v[21:22], v[19:20]
	v_div_fmas_f64 v[15:16], v[15:16], v[17:18], v[21:22]
	v_fma_f64 v[17:18], v[1:2], v[9:10], v[3:4]
	v_div_fixup_f64 v[11:12], v[15:16], v[11:12], 1.0
	v_fma_f64 v[15:16], v[3:4], v[9:10], -v[1:2]
	v_mul_f64 v[9:10], v[17:18], v[11:12]
	v_mul_f64 v[11:12], v[15:16], v[11:12]
.LBB233_107:                            ;   in Loop: Header=BB233_103 Depth=1
	s_andn2_b64 vcc, exec, s[6:7]
	s_cbranch_vccnz .LBB233_102
; %bb.108:                              ;   in Loop: Header=BB233_103 Depth=1
	v_div_scale_f64 v[9:10], s[6:7], v[5:6], v[5:6], v[7:8]
	v_rcp_f64_e32 v[11:12], v[9:10]
	v_fma_f64 v[15:16], -v[9:10], v[11:12], 1.0
	v_fma_f64 v[11:12], v[11:12], v[15:16], v[11:12]
	v_div_scale_f64 v[15:16], vcc, v[7:8], v[5:6], v[7:8]
	v_fma_f64 v[17:18], -v[9:10], v[11:12], 1.0
	v_fma_f64 v[11:12], v[11:12], v[17:18], v[11:12]
	v_mul_f64 v[17:18], v[15:16], v[11:12]
	v_fma_f64 v[9:10], -v[9:10], v[17:18], v[15:16]
	v_div_fmas_f64 v[9:10], v[9:10], v[11:12], v[17:18]
	v_div_fixup_f64 v[9:10], v[9:10], v[5:6], v[7:8]
	v_fma_f64 v[5:6], v[7:8], v[9:10], v[5:6]
	v_div_scale_f64 v[7:8], s[6:7], v[5:6], v[5:6], 1.0
	v_rcp_f64_e32 v[11:12], v[7:8]
	v_fma_f64 v[15:16], -v[7:8], v[11:12], 1.0
	v_fma_f64 v[11:12], v[11:12], v[15:16], v[11:12]
	v_div_scale_f64 v[15:16], vcc, 1.0, v[5:6], 1.0
	v_fma_f64 v[17:18], -v[7:8], v[11:12], 1.0
	v_fma_f64 v[11:12], v[11:12], v[17:18], v[11:12]
	v_mul_f64 v[17:18], v[15:16], v[11:12]
	v_fma_f64 v[7:8], -v[7:8], v[17:18], v[15:16]
	v_div_fmas_f64 v[7:8], v[7:8], v[11:12], v[17:18]
	v_fma_f64 v[11:12], v[3:4], v[9:10], v[1:2]
	v_fma_f64 v[1:2], -v[1:2], v[9:10], v[3:4]
	v_div_fixup_f64 v[5:6], v[7:8], v[5:6], 1.0
	v_mul_f64 v[9:10], v[11:12], v[5:6]
	v_mul_f64 v[11:12], v[1:2], v[5:6]
	s_branch .LBB233_102
.LBB233_109:
	s_mov_b64 s[10:11], 0
.LBB233_110:
	s_andn2_b64 vcc, exec, s[10:11]
	s_cbranch_vccnz .LBB233_142
; %bb.111:
	v_mov_b32_e32 v1, 0x3100
	v_lshl_add_u32 v25, v0, 4, v1
	s_cmp_lt_i32 s24, 4
	s_mov_b32 s10, 0
	s_cbranch_scc1 .LBB233_133
; %bb.112:
	s_mov_b32 s8, 0
	s_mov_b32 s9, 0
.LBB233_113:                            ; =>This Loop Header: Depth=1
                                        ;     Child Loop BB233_114 Depth 2
	s_mul_i32 s10, s9, 28
	v_lshl_add_u32 v26, s10, 4, v25
	ds_read_b128 v[17:20], v26
	ds_read_b128 v[13:16], v26 offset:448
	ds_read_b128 v[5:8], v26 offset:896
	ds_read_b128 v[1:4], v26 offset:1344
	s_cmp_eq_u32 s9, 0
	s_mov_b32 s6, s8
	v_mov_b32_e32 v9, v25
	s_mov_b32 s7, s9
	s_cbranch_scc1 .LBB233_115
.LBB233_114:                            ;   Parent Loop BB233_113 Depth=1
                                        ; =>  This Inner Loop Header: Depth=2
	v_mov_b32_e32 v10, s6
	ds_read_b128 v[21:24], v9
	ds_read_b128 v[27:30], v10
	ds_read_b128 v[31:34], v10 offset:448
	ds_read_b128 v[35:38], v10 offset:896
	;; [unrolled: 1-line block ×3, first 2 shown]
	s_add_i32 s7, s7, -1
	s_add_i32 s6, s6, 16
	s_cmp_eq_u32 s7, 0
	s_waitcnt lgkmcnt(3)
	v_mul_f64 v[10:11], v[23:24], v[29:30]
	v_mul_f64 v[29:30], v[21:22], v[29:30]
	s_waitcnt lgkmcnt(2)
	v_mul_f64 v[43:44], v[23:24], v[33:34]
	v_mul_f64 v[33:34], v[21:22], v[33:34]
	s_waitcnt lgkmcnt(1)
	v_mul_f64 v[45:46], v[23:24], v[37:38]
	v_mul_f64 v[37:38], v[21:22], v[37:38]
	s_waitcnt lgkmcnt(0)
	v_mul_f64 v[47:48], v[23:24], v[41:42]
	v_mul_f64 v[41:42], v[21:22], v[41:42]
	v_fma_f64 v[10:11], v[21:22], v[27:28], -v[10:11]
	v_fma_f64 v[27:28], v[23:24], v[27:28], v[29:30]
	v_fma_f64 v[29:30], v[21:22], v[31:32], -v[43:44]
	v_fma_f64 v[31:32], v[23:24], v[31:32], v[33:34]
	;; [unrolled: 2-line block ×4, first 2 shown]
	v_add_f64 v[17:18], v[17:18], -v[10:11]
	v_add_f64 v[19:20], v[19:20], -v[27:28]
	;; [unrolled: 1-line block ×8, first 2 shown]
	v_add_u32_e32 v9, 0x1c0, v9
	s_cbranch_scc0 .LBB233_114
.LBB233_115:                            ;   in Loop: Header=BB233_113 Depth=1
	s_mul_i32 s6, s9, 0x1d0
	v_mov_b32_e32 v9, s6
	ds_read_b128 v[21:24], v9
	s_mov_b64 s[6:7], -1
                                        ; implicit-def: $vgpr11_vgpr12
	s_waitcnt lgkmcnt(0)
	v_cmp_ngt_f64_e64 s[14:15], |v[21:22]|, |v[23:24]|
	s_and_b64 vcc, exec, s[14:15]
	s_cbranch_vccz .LBB233_117
; %bb.116:                              ;   in Loop: Header=BB233_113 Depth=1
	v_div_scale_f64 v[9:10], s[6:7], v[23:24], v[23:24], v[21:22]
	v_rcp_f64_e32 v[11:12], v[9:10]
	v_fma_f64 v[27:28], -v[9:10], v[11:12], 1.0
	v_fma_f64 v[11:12], v[11:12], v[27:28], v[11:12]
	v_div_scale_f64 v[27:28], vcc, v[21:22], v[23:24], v[21:22]
	v_fma_f64 v[29:30], -v[9:10], v[11:12], 1.0
	v_fma_f64 v[11:12], v[11:12], v[29:30], v[11:12]
	v_mul_f64 v[29:30], v[27:28], v[11:12]
	v_fma_f64 v[9:10], -v[9:10], v[29:30], v[27:28]
	v_div_fmas_f64 v[9:10], v[9:10], v[11:12], v[29:30]
	v_div_fixup_f64 v[9:10], v[9:10], v[23:24], v[21:22]
	v_fma_f64 v[11:12], v[21:22], v[9:10], v[23:24]
	v_div_scale_f64 v[27:28], s[6:7], v[11:12], v[11:12], 1.0
	s_mov_b64 s[6:7], 0
	v_rcp_f64_e32 v[29:30], v[27:28]
	v_fma_f64 v[31:32], -v[27:28], v[29:30], 1.0
	v_fma_f64 v[29:30], v[29:30], v[31:32], v[29:30]
	v_div_scale_f64 v[31:32], vcc, 1.0, v[11:12], 1.0
	v_fma_f64 v[33:34], -v[27:28], v[29:30], 1.0
	v_fma_f64 v[29:30], v[29:30], v[33:34], v[29:30]
	v_mul_f64 v[33:34], v[31:32], v[29:30]
	v_fma_f64 v[27:28], -v[27:28], v[33:34], v[31:32]
	v_div_fmas_f64 v[27:28], v[27:28], v[29:30], v[33:34]
	v_fma_f64 v[29:30], v[17:18], v[9:10], v[19:20]
	v_div_fixup_f64 v[11:12], v[27:28], v[11:12], 1.0
	v_fma_f64 v[27:28], v[19:20], v[9:10], -v[17:18]
	v_mul_f64 v[9:10], v[29:30], v[11:12]
	v_mul_f64 v[11:12], v[27:28], v[11:12]
.LBB233_117:                            ;   in Loop: Header=BB233_113 Depth=1
	s_andn2_b64 vcc, exec, s[6:7]
	s_cbranch_vccnz .LBB233_119
; %bb.118:                              ;   in Loop: Header=BB233_113 Depth=1
	v_div_scale_f64 v[9:10], s[6:7], v[21:22], v[21:22], v[23:24]
	v_rcp_f64_e32 v[11:12], v[9:10]
	v_fma_f64 v[27:28], -v[9:10], v[11:12], 1.0
	v_fma_f64 v[11:12], v[11:12], v[27:28], v[11:12]
	v_div_scale_f64 v[27:28], vcc, v[23:24], v[21:22], v[23:24]
	v_fma_f64 v[29:30], -v[9:10], v[11:12], 1.0
	v_fma_f64 v[11:12], v[11:12], v[29:30], v[11:12]
	v_mul_f64 v[29:30], v[27:28], v[11:12]
	v_fma_f64 v[9:10], -v[9:10], v[29:30], v[27:28]
	v_div_fmas_f64 v[9:10], v[9:10], v[11:12], v[29:30]
	v_div_fixup_f64 v[9:10], v[9:10], v[21:22], v[23:24]
	v_fma_f64 v[11:12], v[23:24], v[9:10], v[21:22]
	v_div_scale_f64 v[21:22], s[6:7], v[11:12], v[11:12], 1.0
	v_rcp_f64_e32 v[23:24], v[21:22]
	v_fma_f64 v[27:28], -v[21:22], v[23:24], 1.0
	v_fma_f64 v[23:24], v[23:24], v[27:28], v[23:24]
	v_div_scale_f64 v[27:28], vcc, 1.0, v[11:12], 1.0
	v_fma_f64 v[29:30], -v[21:22], v[23:24], 1.0
	v_fma_f64 v[23:24], v[23:24], v[29:30], v[23:24]
	v_mul_f64 v[29:30], v[27:28], v[23:24]
	v_fma_f64 v[21:22], -v[21:22], v[29:30], v[27:28]
	v_div_fmas_f64 v[21:22], v[21:22], v[23:24], v[29:30]
	v_fma_f64 v[23:24], v[19:20], v[9:10], v[17:18]
	v_fma_f64 v[17:18], -v[17:18], v[9:10], v[19:20]
	v_div_fixup_f64 v[11:12], v[21:22], v[11:12], 1.0
	v_mul_f64 v[9:10], v[23:24], v[11:12]
	v_mul_f64 v[11:12], v[17:18], v[11:12]
.LBB233_119:                            ;   in Loop: Header=BB233_113 Depth=1
	s_lshl_b32 s10, s10, 4
	s_addk_i32 s10, 0x1c0
	s_lshl_b32 s11, s9, 4
	s_add_i32 s6, s10, s11
	v_mov_b32_e32 v17, s6
	ds_read_b128 v[21:24], v17
	ds_read_b128 v[17:20], v17 offset:16
	s_mov_b64 s[6:7], -1
	ds_write_b128 v26, v[9:12]
	s_waitcnt lgkmcnt(2)
	v_mul_f64 v[27:28], v[11:12], v[23:24]
	v_mul_f64 v[23:24], v[9:10], v[23:24]
	s_waitcnt lgkmcnt(1)
	v_cmp_ngt_f64_e64 s[14:15], |v[17:18]|, |v[19:20]|
	v_fma_f64 v[27:28], v[9:10], v[21:22], -v[27:28]
	v_fma_f64 v[23:24], v[11:12], v[21:22], v[23:24]
	s_and_b64 vcc, exec, s[14:15]
	v_add_f64 v[21:22], v[13:14], -v[27:28]
	v_add_f64 v[23:24], v[15:16], -v[23:24]
                                        ; implicit-def: $vgpr15_vgpr16
	s_cbranch_vccz .LBB233_121
; %bb.120:                              ;   in Loop: Header=BB233_113 Depth=1
	v_div_scale_f64 v[13:14], s[6:7], v[19:20], v[19:20], v[17:18]
	v_rcp_f64_e32 v[15:16], v[13:14]
	v_fma_f64 v[27:28], -v[13:14], v[15:16], 1.0
	v_fma_f64 v[15:16], v[15:16], v[27:28], v[15:16]
	v_div_scale_f64 v[27:28], vcc, v[17:18], v[19:20], v[17:18]
	v_fma_f64 v[29:30], -v[13:14], v[15:16], 1.0
	v_fma_f64 v[15:16], v[15:16], v[29:30], v[15:16]
	v_mul_f64 v[29:30], v[27:28], v[15:16]
	v_fma_f64 v[13:14], -v[13:14], v[29:30], v[27:28]
	v_div_fmas_f64 v[13:14], v[13:14], v[15:16], v[29:30]
	v_div_fixup_f64 v[13:14], v[13:14], v[19:20], v[17:18]
	v_fma_f64 v[15:16], v[17:18], v[13:14], v[19:20]
	v_div_scale_f64 v[27:28], s[6:7], v[15:16], v[15:16], 1.0
	s_mov_b64 s[6:7], 0
	v_rcp_f64_e32 v[29:30], v[27:28]
	v_fma_f64 v[31:32], -v[27:28], v[29:30], 1.0
	v_fma_f64 v[29:30], v[29:30], v[31:32], v[29:30]
	v_div_scale_f64 v[31:32], vcc, 1.0, v[15:16], 1.0
	v_fma_f64 v[33:34], -v[27:28], v[29:30], 1.0
	v_fma_f64 v[29:30], v[29:30], v[33:34], v[29:30]
	v_mul_f64 v[33:34], v[31:32], v[29:30]
	v_fma_f64 v[27:28], -v[27:28], v[33:34], v[31:32]
	v_div_fmas_f64 v[27:28], v[27:28], v[29:30], v[33:34]
	v_fma_f64 v[29:30], v[13:14], v[21:22], v[23:24]
	v_div_fixup_f64 v[15:16], v[27:28], v[15:16], 1.0
	v_fma_f64 v[27:28], v[13:14], v[23:24], -v[21:22]
	v_mul_f64 v[13:14], v[29:30], v[15:16]
	v_mul_f64 v[15:16], v[27:28], v[15:16]
.LBB233_121:                            ;   in Loop: Header=BB233_113 Depth=1
	s_andn2_b64 vcc, exec, s[6:7]
	s_cbranch_vccnz .LBB233_123
; %bb.122:                              ;   in Loop: Header=BB233_113 Depth=1
	v_div_scale_f64 v[13:14], s[6:7], v[17:18], v[17:18], v[19:20]
	v_rcp_f64_e32 v[15:16], v[13:14]
	v_fma_f64 v[27:28], -v[13:14], v[15:16], 1.0
	v_fma_f64 v[15:16], v[15:16], v[27:28], v[15:16]
	v_div_scale_f64 v[27:28], vcc, v[19:20], v[17:18], v[19:20]
	v_fma_f64 v[29:30], -v[13:14], v[15:16], 1.0
	v_fma_f64 v[15:16], v[15:16], v[29:30], v[15:16]
	v_mul_f64 v[29:30], v[27:28], v[15:16]
	v_fma_f64 v[13:14], -v[13:14], v[29:30], v[27:28]
	v_div_fmas_f64 v[13:14], v[13:14], v[15:16], v[29:30]
	v_div_fixup_f64 v[13:14], v[13:14], v[17:18], v[19:20]
	v_fma_f64 v[15:16], v[19:20], v[13:14], v[17:18]
	v_div_scale_f64 v[17:18], s[6:7], v[15:16], v[15:16], 1.0
	v_rcp_f64_e32 v[19:20], v[17:18]
	v_fma_f64 v[27:28], -v[17:18], v[19:20], 1.0
	v_fma_f64 v[19:20], v[19:20], v[27:28], v[19:20]
	v_div_scale_f64 v[27:28], vcc, 1.0, v[15:16], 1.0
	v_fma_f64 v[29:30], -v[17:18], v[19:20], 1.0
	v_fma_f64 v[19:20], v[19:20], v[29:30], v[19:20]
	v_mul_f64 v[29:30], v[27:28], v[19:20]
	v_fma_f64 v[17:18], -v[17:18], v[29:30], v[27:28]
	v_div_fmas_f64 v[17:18], v[17:18], v[19:20], v[29:30]
	v_fma_f64 v[19:20], v[13:14], v[23:24], v[21:22]
	v_div_fixup_f64 v[15:16], v[17:18], v[15:16], 1.0
	v_fma_f64 v[17:18], -v[13:14], v[21:22], v[23:24]
	v_mul_f64 v[13:14], v[19:20], v[15:16]
	v_mul_f64 v[15:16], v[17:18], v[15:16]
.LBB233_123:                            ;   in Loop: Header=BB233_113 Depth=1
	s_addk_i32 s10, 0x1c0
	s_add_i32 s10, s10, s11
	v_mov_b32_e32 v33, s10
	ds_read_b128 v[17:20], v33
	ds_read_b128 v[21:24], v33 offset:16
	s_mov_b64 s[6:7], -1
	ds_write_b128 v26, v[13:16] offset:448
	s_waitcnt lgkmcnt(2)
	v_mul_f64 v[27:28], v[11:12], v[19:20]
	v_mul_f64 v[19:20], v[9:10], v[19:20]
	s_waitcnt lgkmcnt(1)
	v_mul_f64 v[29:30], v[15:16], v[23:24]
	v_mul_f64 v[23:24], v[13:14], v[23:24]
	v_fma_f64 v[27:28], v[9:10], v[17:18], -v[27:28]
	v_fma_f64 v[31:32], v[11:12], v[17:18], v[19:20]
	v_fma_f64 v[29:30], v[13:14], v[21:22], -v[29:30]
	v_fma_f64 v[21:22], v[15:16], v[21:22], v[23:24]
	ds_read_b128 v[17:20], v33 offset:32
	v_add_f64 v[5:6], v[5:6], -v[27:28]
	v_add_f64 v[7:8], v[7:8], -v[31:32]
	s_waitcnt lgkmcnt(0)
	v_cmp_ngt_f64_e64 s[14:15], |v[17:18]|, |v[19:20]|
	v_add_f64 v[5:6], v[5:6], -v[29:30]
	v_add_f64 v[7:8], v[7:8], -v[21:22]
	s_and_b64 vcc, exec, s[14:15]
                                        ; implicit-def: $vgpr23_vgpr24
	s_cbranch_vccz .LBB233_125
; %bb.124:                              ;   in Loop: Header=BB233_113 Depth=1
	v_div_scale_f64 v[21:22], s[6:7], v[19:20], v[19:20], v[17:18]
	v_rcp_f64_e32 v[23:24], v[21:22]
	v_fma_f64 v[27:28], -v[21:22], v[23:24], 1.0
	v_fma_f64 v[23:24], v[23:24], v[27:28], v[23:24]
	v_div_scale_f64 v[27:28], vcc, v[17:18], v[19:20], v[17:18]
	v_fma_f64 v[29:30], -v[21:22], v[23:24], 1.0
	v_fma_f64 v[23:24], v[23:24], v[29:30], v[23:24]
	v_mul_f64 v[29:30], v[27:28], v[23:24]
	v_fma_f64 v[21:22], -v[21:22], v[29:30], v[27:28]
	v_div_fmas_f64 v[21:22], v[21:22], v[23:24], v[29:30]
	v_div_fixup_f64 v[21:22], v[21:22], v[19:20], v[17:18]
	v_fma_f64 v[23:24], v[17:18], v[21:22], v[19:20]
	v_div_scale_f64 v[27:28], s[6:7], v[23:24], v[23:24], 1.0
	s_mov_b64 s[6:7], 0
	v_rcp_f64_e32 v[29:30], v[27:28]
	v_fma_f64 v[31:32], -v[27:28], v[29:30], 1.0
	v_fma_f64 v[29:30], v[29:30], v[31:32], v[29:30]
	v_div_scale_f64 v[31:32], vcc, 1.0, v[23:24], 1.0
	v_fma_f64 v[33:34], -v[27:28], v[29:30], 1.0
	v_fma_f64 v[29:30], v[29:30], v[33:34], v[29:30]
	v_mul_f64 v[33:34], v[31:32], v[29:30]
	v_fma_f64 v[27:28], -v[27:28], v[33:34], v[31:32]
	v_div_fmas_f64 v[27:28], v[27:28], v[29:30], v[33:34]
	v_fma_f64 v[29:30], v[21:22], v[5:6], v[7:8]
	v_div_fixup_f64 v[23:24], v[27:28], v[23:24], 1.0
	v_fma_f64 v[27:28], v[21:22], v[7:8], -v[5:6]
	v_mul_f64 v[21:22], v[29:30], v[23:24]
	v_mul_f64 v[23:24], v[27:28], v[23:24]
.LBB233_125:                            ;   in Loop: Header=BB233_113 Depth=1
	s_andn2_b64 vcc, exec, s[6:7]
	s_cbranch_vccnz .LBB233_127
; %bb.126:                              ;   in Loop: Header=BB233_113 Depth=1
	v_div_scale_f64 v[21:22], s[6:7], v[17:18], v[17:18], v[19:20]
	v_rcp_f64_e32 v[23:24], v[21:22]
	v_fma_f64 v[27:28], -v[21:22], v[23:24], 1.0
	v_fma_f64 v[23:24], v[23:24], v[27:28], v[23:24]
	v_div_scale_f64 v[27:28], vcc, v[19:20], v[17:18], v[19:20]
	v_fma_f64 v[29:30], -v[21:22], v[23:24], 1.0
	v_fma_f64 v[23:24], v[23:24], v[29:30], v[23:24]
	v_mul_f64 v[29:30], v[27:28], v[23:24]
	v_fma_f64 v[21:22], -v[21:22], v[29:30], v[27:28]
	v_div_fmas_f64 v[21:22], v[21:22], v[23:24], v[29:30]
	v_div_fixup_f64 v[21:22], v[21:22], v[17:18], v[19:20]
	v_fma_f64 v[17:18], v[19:20], v[21:22], v[17:18]
	v_div_scale_f64 v[19:20], s[6:7], v[17:18], v[17:18], 1.0
	v_rcp_f64_e32 v[23:24], v[19:20]
	v_fma_f64 v[27:28], -v[19:20], v[23:24], 1.0
	v_fma_f64 v[23:24], v[23:24], v[27:28], v[23:24]
	v_div_scale_f64 v[27:28], vcc, 1.0, v[17:18], 1.0
	v_fma_f64 v[29:30], -v[19:20], v[23:24], 1.0
	v_fma_f64 v[23:24], v[23:24], v[29:30], v[23:24]
	v_mul_f64 v[29:30], v[27:28], v[23:24]
	v_fma_f64 v[19:20], -v[19:20], v[29:30], v[27:28]
	v_div_fmas_f64 v[19:20], v[19:20], v[23:24], v[29:30]
	v_fma_f64 v[23:24], v[21:22], v[7:8], v[5:6]
	v_fma_f64 v[5:6], -v[21:22], v[5:6], v[7:8]
	v_div_fixup_f64 v[17:18], v[19:20], v[17:18], 1.0
	v_mul_f64 v[21:22], v[23:24], v[17:18]
	v_mul_f64 v[23:24], v[5:6], v[17:18]
.LBB233_127:                            ;   in Loop: Header=BB233_113 Depth=1
	v_mov_b32_e32 v35, s10
	ds_read_b128 v[5:8], v35 offset:448
	ds_read_b128 v[17:20], v35 offset:464
	ds_read_b128 v[27:30], v35 offset:480
	s_mov_b64 s[6:7], -1
	ds_write_b128 v26, v[21:24] offset:896
	s_waitcnt lgkmcnt(3)
	v_mul_f64 v[31:32], v[11:12], v[7:8]
	v_mul_f64 v[7:8], v[9:10], v[7:8]
	s_waitcnt lgkmcnt(2)
	v_mul_f64 v[33:34], v[15:16], v[19:20]
	v_mul_f64 v[19:20], v[13:14], v[19:20]
	v_fma_f64 v[9:10], v[9:10], v[5:6], -v[31:32]
	v_fma_f64 v[11:12], v[11:12], v[5:6], v[7:8]
	ds_read_b128 v[5:8], v35 offset:496
	s_waitcnt lgkmcnt(2)
	v_mul_f64 v[31:32], v[23:24], v[29:30]
	v_mul_f64 v[29:30], v[21:22], v[29:30]
	v_fma_f64 v[13:14], v[13:14], v[17:18], -v[33:34]
	v_fma_f64 v[15:16], v[15:16], v[17:18], v[19:20]
	s_waitcnt lgkmcnt(0)
	v_cmp_ngt_f64_e64 s[10:11], |v[5:6]|, |v[7:8]|
	v_add_f64 v[1:2], v[1:2], -v[9:10]
	v_add_f64 v[3:4], v[3:4], -v[11:12]
	v_fma_f64 v[9:10], v[21:22], v[27:28], -v[31:32]
	v_fma_f64 v[11:12], v[23:24], v[27:28], v[29:30]
	s_and_b64 vcc, exec, s[10:11]
	v_add_f64 v[1:2], v[1:2], -v[13:14]
	v_add_f64 v[3:4], v[3:4], -v[15:16]
	;; [unrolled: 1-line block ×4, first 2 shown]
                                        ; implicit-def: $vgpr3_vgpr4
	s_cbranch_vccz .LBB233_129
; %bb.128:                              ;   in Loop: Header=BB233_113 Depth=1
	v_div_scale_f64 v[1:2], s[6:7], v[7:8], v[7:8], v[5:6]
	v_rcp_f64_e32 v[3:4], v[1:2]
	v_fma_f64 v[13:14], -v[1:2], v[3:4], 1.0
	v_fma_f64 v[3:4], v[3:4], v[13:14], v[3:4]
	v_div_scale_f64 v[13:14], vcc, v[5:6], v[7:8], v[5:6]
	v_fma_f64 v[15:16], -v[1:2], v[3:4], 1.0
	v_fma_f64 v[3:4], v[3:4], v[15:16], v[3:4]
	v_mul_f64 v[15:16], v[13:14], v[3:4]
	v_fma_f64 v[1:2], -v[1:2], v[15:16], v[13:14]
	v_div_fmas_f64 v[1:2], v[1:2], v[3:4], v[15:16]
	v_div_fixup_f64 v[1:2], v[1:2], v[7:8], v[5:6]
	v_fma_f64 v[3:4], v[5:6], v[1:2], v[7:8]
	v_div_scale_f64 v[13:14], s[6:7], v[3:4], v[3:4], 1.0
	s_mov_b64 s[6:7], 0
	v_rcp_f64_e32 v[15:16], v[13:14]
	v_fma_f64 v[17:18], -v[13:14], v[15:16], 1.0
	v_fma_f64 v[15:16], v[15:16], v[17:18], v[15:16]
	v_div_scale_f64 v[17:18], vcc, 1.0, v[3:4], 1.0
	v_fma_f64 v[19:20], -v[13:14], v[15:16], 1.0
	v_fma_f64 v[15:16], v[15:16], v[19:20], v[15:16]
	v_mul_f64 v[19:20], v[17:18], v[15:16]
	v_fma_f64 v[13:14], -v[13:14], v[19:20], v[17:18]
	v_div_fmas_f64 v[13:14], v[13:14], v[15:16], v[19:20]
	v_fma_f64 v[15:16], v[1:2], v[9:10], v[11:12]
	v_div_fixup_f64 v[3:4], v[13:14], v[3:4], 1.0
	v_fma_f64 v[13:14], v[1:2], v[11:12], -v[9:10]
	v_mul_f64 v[1:2], v[15:16], v[3:4]
	v_mul_f64 v[3:4], v[13:14], v[3:4]
.LBB233_129:                            ;   in Loop: Header=BB233_113 Depth=1
	s_andn2_b64 vcc, exec, s[6:7]
	s_cbranch_vccnz .LBB233_131
; %bb.130:                              ;   in Loop: Header=BB233_113 Depth=1
	v_div_scale_f64 v[1:2], s[6:7], v[5:6], v[5:6], v[7:8]
	v_rcp_f64_e32 v[3:4], v[1:2]
	v_fma_f64 v[13:14], -v[1:2], v[3:4], 1.0
	v_fma_f64 v[3:4], v[3:4], v[13:14], v[3:4]
	v_div_scale_f64 v[13:14], vcc, v[7:8], v[5:6], v[7:8]
	v_fma_f64 v[15:16], -v[1:2], v[3:4], 1.0
	v_fma_f64 v[3:4], v[3:4], v[15:16], v[3:4]
	v_mul_f64 v[15:16], v[13:14], v[3:4]
	v_fma_f64 v[1:2], -v[1:2], v[15:16], v[13:14]
	v_div_fmas_f64 v[1:2], v[1:2], v[3:4], v[15:16]
	v_div_fixup_f64 v[1:2], v[1:2], v[5:6], v[7:8]
	v_fma_f64 v[3:4], v[7:8], v[1:2], v[5:6]
	v_div_scale_f64 v[5:6], s[6:7], v[3:4], v[3:4], 1.0
	v_rcp_f64_e32 v[7:8], v[5:6]
	v_fma_f64 v[13:14], -v[5:6], v[7:8], 1.0
	v_fma_f64 v[7:8], v[7:8], v[13:14], v[7:8]
	v_div_scale_f64 v[13:14], vcc, 1.0, v[3:4], 1.0
	v_fma_f64 v[15:16], -v[5:6], v[7:8], 1.0
	v_fma_f64 v[7:8], v[7:8], v[15:16], v[7:8]
	v_mul_f64 v[15:16], v[13:14], v[7:8]
	v_fma_f64 v[5:6], -v[5:6], v[15:16], v[13:14]
	v_div_fmas_f64 v[5:6], v[5:6], v[7:8], v[15:16]
	v_fma_f64 v[7:8], v[1:2], v[11:12], v[9:10]
	v_div_fixup_f64 v[3:4], v[5:6], v[3:4], 1.0
	v_fma_f64 v[5:6], -v[1:2], v[9:10], v[11:12]
	v_mul_f64 v[1:2], v[7:8], v[3:4]
	v_mul_f64 v[3:4], v[5:6], v[3:4]
.LBB233_131:                            ;   in Loop: Header=BB233_113 Depth=1
	s_add_i32 s10, s9, 4
	s_add_i32 s6, s9, 7
	s_addk_i32 s8, 0x700
	s_cmp_ge_i32 s6, s25
	ds_write_b128 v26, v[1:4] offset:1344
	s_cbranch_scc1 .LBB233_133
; %bb.132:                              ;   in Loop: Header=BB233_113 Depth=1
	s_mov_b32 s9, s10
	s_branch .LBB233_113
.LBB233_133:
	s_cmp_ge_i32 s10, s25
	s_cbranch_scc1 .LBB233_142
; %bb.134:
	v_mov_b32_e32 v1, 0x3100
	v_lshl_add_u32 v13, v0, 4, v1
	s_mul_i32 s8, s10, 0x1c0
	s_branch .LBB233_136
.LBB233_135:                            ;   in Loop: Header=BB233_136 Depth=1
	s_add_i32 s10, s10, 1
	s_addk_i32 s8, 0x1c0
	s_cmp_ge_i32 s10, s25
	ds_write_b128 v14, v[9:12]
	s_cbranch_scc1 .LBB233_142
.LBB233_136:                            ; =>This Loop Header: Depth=1
                                        ;     Child Loop BB233_137 Depth 2
	s_mul_i32 s6, s10, 0x1c0
	v_add_u32_e32 v14, s6, v25
	ds_read_b128 v[1:4], v14
	s_cmp_eq_u32 s10, 0
	s_mov_b32 s6, s8
	v_mov_b32_e32 v5, v13
	s_mov_b32 s7, s10
	s_cbranch_scc1 .LBB233_138
.LBB233_137:                            ;   Parent Loop BB233_136 Depth=1
                                        ; =>  This Inner Loop Header: Depth=2
	v_mov_b32_e32 v10, s6
	ds_read_b128 v[6:9], v5
	ds_read_b128 v[15:18], v10
	s_add_i32 s7, s7, -1
	s_add_i32 s6, s6, 16
	s_cmp_eq_u32 s7, 0
	v_add_u32_e32 v5, 0x1c0, v5
	s_waitcnt lgkmcnt(0)
	v_mul_f64 v[10:11], v[17:18], v[8:9]
	v_mul_f64 v[8:9], v[15:16], v[8:9]
	v_fma_f64 v[10:11], v[15:16], v[6:7], -v[10:11]
	v_fma_f64 v[6:7], v[17:18], v[6:7], v[8:9]
	v_add_f64 v[1:2], v[1:2], -v[10:11]
	v_add_f64 v[3:4], v[3:4], -v[6:7]
	s_cbranch_scc0 .LBB233_137
.LBB233_138:                            ;   in Loop: Header=BB233_136 Depth=1
	s_mul_i32 s6, s10, 0x1d0
	v_mov_b32_e32 v5, s6
	ds_read_b128 v[5:8], v5
	s_mov_b64 s[6:7], -1
                                        ; implicit-def: $vgpr9_vgpr10
	s_waitcnt lgkmcnt(0)
	v_cmp_ngt_f64_e64 s[14:15], |v[5:6]|, |v[7:8]|
	s_and_b64 vcc, exec, s[14:15]
	s_cbranch_vccz .LBB233_140
; %bb.139:                              ;   in Loop: Header=BB233_136 Depth=1
	v_div_scale_f64 v[9:10], s[6:7], v[7:8], v[7:8], v[5:6]
	v_rcp_f64_e32 v[11:12], v[9:10]
	v_fma_f64 v[15:16], -v[9:10], v[11:12], 1.0
	v_fma_f64 v[11:12], v[11:12], v[15:16], v[11:12]
	v_div_scale_f64 v[15:16], vcc, v[5:6], v[7:8], v[5:6]
	v_fma_f64 v[17:18], -v[9:10], v[11:12], 1.0
	v_fma_f64 v[11:12], v[11:12], v[17:18], v[11:12]
	v_mul_f64 v[17:18], v[15:16], v[11:12]
	v_fma_f64 v[9:10], -v[9:10], v[17:18], v[15:16]
	v_div_fmas_f64 v[9:10], v[9:10], v[11:12], v[17:18]
	v_div_fixup_f64 v[9:10], v[9:10], v[7:8], v[5:6]
	v_fma_f64 v[11:12], v[5:6], v[9:10], v[7:8]
	v_div_scale_f64 v[15:16], s[6:7], v[11:12], v[11:12], 1.0
	s_mov_b64 s[6:7], 0
	v_rcp_f64_e32 v[17:18], v[15:16]
	v_fma_f64 v[19:20], -v[15:16], v[17:18], 1.0
	v_fma_f64 v[17:18], v[17:18], v[19:20], v[17:18]
	v_div_scale_f64 v[19:20], vcc, 1.0, v[11:12], 1.0
	v_fma_f64 v[21:22], -v[15:16], v[17:18], 1.0
	v_fma_f64 v[17:18], v[17:18], v[21:22], v[17:18]
	v_mul_f64 v[21:22], v[19:20], v[17:18]
	v_fma_f64 v[15:16], -v[15:16], v[21:22], v[19:20]
	v_div_fmas_f64 v[15:16], v[15:16], v[17:18], v[21:22]
	v_fma_f64 v[17:18], v[1:2], v[9:10], v[3:4]
	v_div_fixup_f64 v[11:12], v[15:16], v[11:12], 1.0
	v_fma_f64 v[15:16], v[3:4], v[9:10], -v[1:2]
	v_mul_f64 v[9:10], v[17:18], v[11:12]
	v_mul_f64 v[11:12], v[15:16], v[11:12]
.LBB233_140:                            ;   in Loop: Header=BB233_136 Depth=1
	s_andn2_b64 vcc, exec, s[6:7]
	s_cbranch_vccnz .LBB233_135
; %bb.141:                              ;   in Loop: Header=BB233_136 Depth=1
	v_div_scale_f64 v[9:10], s[6:7], v[5:6], v[5:6], v[7:8]
	v_rcp_f64_e32 v[11:12], v[9:10]
	v_fma_f64 v[15:16], -v[9:10], v[11:12], 1.0
	v_fma_f64 v[11:12], v[11:12], v[15:16], v[11:12]
	v_div_scale_f64 v[15:16], vcc, v[7:8], v[5:6], v[7:8]
	v_fma_f64 v[17:18], -v[9:10], v[11:12], 1.0
	v_fma_f64 v[11:12], v[11:12], v[17:18], v[11:12]
	v_mul_f64 v[17:18], v[15:16], v[11:12]
	v_fma_f64 v[9:10], -v[9:10], v[17:18], v[15:16]
	v_div_fmas_f64 v[9:10], v[9:10], v[11:12], v[17:18]
	v_div_fixup_f64 v[9:10], v[9:10], v[5:6], v[7:8]
	v_fma_f64 v[5:6], v[7:8], v[9:10], v[5:6]
	v_div_scale_f64 v[7:8], s[6:7], v[5:6], v[5:6], 1.0
	v_rcp_f64_e32 v[11:12], v[7:8]
	v_fma_f64 v[15:16], -v[7:8], v[11:12], 1.0
	v_fma_f64 v[11:12], v[11:12], v[15:16], v[11:12]
	v_div_scale_f64 v[15:16], vcc, 1.0, v[5:6], 1.0
	v_fma_f64 v[17:18], -v[7:8], v[11:12], 1.0
	v_fma_f64 v[11:12], v[11:12], v[17:18], v[11:12]
	v_mul_f64 v[17:18], v[15:16], v[11:12]
	v_fma_f64 v[7:8], -v[7:8], v[17:18], v[15:16]
	v_div_fmas_f64 v[7:8], v[7:8], v[11:12], v[17:18]
	v_fma_f64 v[11:12], v[3:4], v[9:10], v[1:2]
	v_fma_f64 v[1:2], -v[1:2], v[9:10], v[3:4]
	v_div_fixup_f64 v[5:6], v[7:8], v[5:6], 1.0
	v_mul_f64 v[9:10], v[11:12], v[5:6]
	v_mul_f64 v[11:12], v[1:2], v[5:6]
	s_branch .LBB233_135
.LBB233_142:
	s_and_saveexec_b64 s[6:7], s[0:1]
	s_cbranch_execz .LBB233_146
; %bb.143:
	s_cmp_lt_i32 s24, 1
	s_cbranch_scc1 .LBB233_146
; %bb.144:
	s_lshl_b64 s[0:1], s[4:5], 4
	s_add_u32 s2, s2, s0
	s_addc_u32 s3, s3, s1
	s_lshl_b64 s[0:1], s[20:21], 4
	s_add_u32 s0, s2, s0
	s_addc_u32 s1, s3, s1
	s_add_u32 s0, s0, s19
	s_addc_u32 s1, s1, s18
	s_ashr_i32 s13, s12, 31
	v_lshlrev_b32_e32 v2, 4, v0
	v_mov_b32_e32 v1, s1
	v_add_co_u32_e32 v0, vcc, s0, v2
	s_lshl_b64 s[0:1], s[12:13], 4
	v_addc_co_u32_e32 v1, vcc, 0, v1, vcc
	v_add_u32_e32 v2, 0x3100, v2
	v_mov_b32_e32 v3, s1
.LBB233_145:                            ; =>This Inner Loop Header: Depth=1
	ds_read2_b64 v[4:7], v2 offset1:1
	s_add_i32 s24, s24, -1
	v_add_u32_e32 v2, 0x1c0, v2
	s_cmp_lg_u32 s24, 0
	s_waitcnt lgkmcnt(0)
	global_store_dwordx4 v[0:1], v[4:7], off
	v_add_co_u32_e32 v0, vcc, s0, v0
	v_addc_co_u32_e32 v1, vcc, v1, v3, vcc
	s_cbranch_scc1 .LBB233_145
.LBB233_146:
	s_endpgm
	.section	.rodata,"a",@progbits
	.p2align	6, 0x0
	.amdhsa_kernel _ZL31rocblas_trsm_small_right_deviceI19rocblas_complex_numIdES1_PKS1_PS1_Li28EEv13rocblas_fill_18rocblas_operation_17rocblas_diagonal_iiT0_T1_lilT2_lili
		.amdhsa_group_segment_fixed_size 25088
		.amdhsa_private_segment_fixed_size 0
		.amdhsa_kernarg_size 368
		.amdhsa_user_sgpr_count 6
		.amdhsa_user_sgpr_private_segment_buffer 1
		.amdhsa_user_sgpr_dispatch_ptr 0
		.amdhsa_user_sgpr_queue_ptr 0
		.amdhsa_user_sgpr_kernarg_segment_ptr 1
		.amdhsa_user_sgpr_dispatch_id 0
		.amdhsa_user_sgpr_flat_scratch_init 0
		.amdhsa_user_sgpr_private_segment_size 0
		.amdhsa_uses_dynamic_stack 0
		.amdhsa_system_sgpr_private_segment_wavefront_offset 0
		.amdhsa_system_sgpr_workgroup_id_x 1
		.amdhsa_system_sgpr_workgroup_id_y 0
		.amdhsa_system_sgpr_workgroup_id_z 1
		.amdhsa_system_sgpr_workgroup_info 0
		.amdhsa_system_vgpr_workitem_id 0
		.amdhsa_next_free_vgpr 129
		.amdhsa_next_free_sgpr 98
		.amdhsa_reserve_vcc 1
		.amdhsa_reserve_flat_scratch 0
		.amdhsa_float_round_mode_32 0
		.amdhsa_float_round_mode_16_64 0
		.amdhsa_float_denorm_mode_32 3
		.amdhsa_float_denorm_mode_16_64 3
		.amdhsa_dx10_clamp 1
		.amdhsa_ieee_mode 1
		.amdhsa_fp16_overflow 0
		.amdhsa_exception_fp_ieee_invalid_op 0
		.amdhsa_exception_fp_denorm_src 0
		.amdhsa_exception_fp_ieee_div_zero 0
		.amdhsa_exception_fp_ieee_overflow 0
		.amdhsa_exception_fp_ieee_underflow 0
		.amdhsa_exception_fp_ieee_inexact 0
		.amdhsa_exception_int_div_zero 0
	.end_amdhsa_kernel
	.section	.text._ZL31rocblas_trsm_small_right_deviceI19rocblas_complex_numIdES1_PKS1_PS1_Li28EEv13rocblas_fill_18rocblas_operation_17rocblas_diagonal_iiT0_T1_lilT2_lili,"axG",@progbits,_ZL31rocblas_trsm_small_right_deviceI19rocblas_complex_numIdES1_PKS1_PS1_Li28EEv13rocblas_fill_18rocblas_operation_17rocblas_diagonal_iiT0_T1_lilT2_lili,comdat
.Lfunc_end233:
	.size	_ZL31rocblas_trsm_small_right_deviceI19rocblas_complex_numIdES1_PKS1_PS1_Li28EEv13rocblas_fill_18rocblas_operation_17rocblas_diagonal_iiT0_T1_lilT2_lili, .Lfunc_end233-_ZL31rocblas_trsm_small_right_deviceI19rocblas_complex_numIdES1_PKS1_PS1_Li28EEv13rocblas_fill_18rocblas_operation_17rocblas_diagonal_iiT0_T1_lilT2_lili
                                        ; -- End function
	.set _ZL31rocblas_trsm_small_right_deviceI19rocblas_complex_numIdES1_PKS1_PS1_Li28EEv13rocblas_fill_18rocblas_operation_17rocblas_diagonal_iiT0_T1_lilT2_lili.num_vgpr, 53
	.set _ZL31rocblas_trsm_small_right_deviceI19rocblas_complex_numIdES1_PKS1_PS1_Li28EEv13rocblas_fill_18rocblas_operation_17rocblas_diagonal_iiT0_T1_lilT2_lili.num_agpr, 0
	.set _ZL31rocblas_trsm_small_right_deviceI19rocblas_complex_numIdES1_PKS1_PS1_Li28EEv13rocblas_fill_18rocblas_operation_17rocblas_diagonal_iiT0_T1_lilT2_lili.numbered_sgpr, 29
	.set _ZL31rocblas_trsm_small_right_deviceI19rocblas_complex_numIdES1_PKS1_PS1_Li28EEv13rocblas_fill_18rocblas_operation_17rocblas_diagonal_iiT0_T1_lilT2_lili.num_named_barrier, 0
	.set _ZL31rocblas_trsm_small_right_deviceI19rocblas_complex_numIdES1_PKS1_PS1_Li28EEv13rocblas_fill_18rocblas_operation_17rocblas_diagonal_iiT0_T1_lilT2_lili.private_seg_size, 0
	.set _ZL31rocblas_trsm_small_right_deviceI19rocblas_complex_numIdES1_PKS1_PS1_Li28EEv13rocblas_fill_18rocblas_operation_17rocblas_diagonal_iiT0_T1_lilT2_lili.uses_vcc, 1
	.set _ZL31rocblas_trsm_small_right_deviceI19rocblas_complex_numIdES1_PKS1_PS1_Li28EEv13rocblas_fill_18rocblas_operation_17rocblas_diagonal_iiT0_T1_lilT2_lili.uses_flat_scratch, 0
	.set _ZL31rocblas_trsm_small_right_deviceI19rocblas_complex_numIdES1_PKS1_PS1_Li28EEv13rocblas_fill_18rocblas_operation_17rocblas_diagonal_iiT0_T1_lilT2_lili.has_dyn_sized_stack, 0
	.set _ZL31rocblas_trsm_small_right_deviceI19rocblas_complex_numIdES1_PKS1_PS1_Li28EEv13rocblas_fill_18rocblas_operation_17rocblas_diagonal_iiT0_T1_lilT2_lili.has_recursion, 0
	.set _ZL31rocblas_trsm_small_right_deviceI19rocblas_complex_numIdES1_PKS1_PS1_Li28EEv13rocblas_fill_18rocblas_operation_17rocblas_diagonal_iiT0_T1_lilT2_lili.has_indirect_call, 0
	.section	.AMDGPU.csdata,"",@progbits
; Kernel info:
; codeLenInByte = 14568
; TotalNumSgprs: 33
; NumVgprs: 53
; ScratchSize: 0
; MemoryBound: 0
; FloatMode: 240
; IeeeMode: 1
; LDSByteSize: 25088 bytes/workgroup (compile time only)
; SGPRBlocks: 12
; VGPRBlocks: 32
; NumSGPRsForWavesPerEU: 102
; NumVGPRsForWavesPerEU: 129
; Occupancy: 1
; WaveLimiterHint : 0
; COMPUTE_PGM_RSRC2:SCRATCH_EN: 0
; COMPUTE_PGM_RSRC2:USER_SGPR: 6
; COMPUTE_PGM_RSRC2:TRAP_HANDLER: 0
; COMPUTE_PGM_RSRC2:TGID_X_EN: 1
; COMPUTE_PGM_RSRC2:TGID_Y_EN: 0
; COMPUTE_PGM_RSRC2:TGID_Z_EN: 1
; COMPUTE_PGM_RSRC2:TIDIG_COMP_CNT: 0
	.section	.text._ZL38rocblas_trsm_small_left_device_sharedBILi32ELi32ELb0E19rocblas_complex_numIdES1_PKS1_PS1_Ev13rocblas_fill_18rocblas_operation_17rocblas_diagonal_iiT3_T4_lilT5_lili,"axG",@progbits,_ZL38rocblas_trsm_small_left_device_sharedBILi32ELi32ELb0E19rocblas_complex_numIdES1_PKS1_PS1_Ev13rocblas_fill_18rocblas_operation_17rocblas_diagonal_iiT3_T4_lilT5_lili,comdat
	.globl	_ZL38rocblas_trsm_small_left_device_sharedBILi32ELi32ELb0E19rocblas_complex_numIdES1_PKS1_PS1_Ev13rocblas_fill_18rocblas_operation_17rocblas_diagonal_iiT3_T4_lilT5_lili ; -- Begin function _ZL38rocblas_trsm_small_left_device_sharedBILi32ELi32ELb0E19rocblas_complex_numIdES1_PKS1_PS1_Ev13rocblas_fill_18rocblas_operation_17rocblas_diagonal_iiT3_T4_lilT5_lili
	.p2align	8
	.type	_ZL38rocblas_trsm_small_left_device_sharedBILi32ELi32ELb0E19rocblas_complex_numIdES1_PKS1_PS1_Ev13rocblas_fill_18rocblas_operation_17rocblas_diagonal_iiT3_T4_lilT5_lili,@function
_ZL38rocblas_trsm_small_left_device_sharedBILi32ELi32ELb0E19rocblas_complex_numIdES1_PKS1_PS1_Ev13rocblas_fill_18rocblas_operation_17rocblas_diagonal_iiT3_T4_lilT5_lili: ; @_ZL38rocblas_trsm_small_left_device_sharedBILi32ELi32ELb0E19rocblas_complex_numIdES1_PKS1_PS1_Ev13rocblas_fill_18rocblas_operation_17rocblas_diagonal_iiT3_T4_lilT5_lili
; %bb.0:
	s_add_u32 s0, s0, s8
	s_load_dwordx4 s[20:23], s[4:5], 0x4
	s_load_dwordx8 s[12:19], s[4:5], 0x18
	s_load_dwordx4 s[8:11], s[4:5], 0x40
	s_load_dwordx2 s[24:25], s[4:5], 0x50
	s_load_dword s29, s[4:5], 0x70
	s_addc_u32 s1, s1, 0
	s_waitcnt lgkmcnt(0)
	s_min_i32 s28, s22, 32
	v_cmp_gt_i32_e32 vcc, s28, v0
	s_and_saveexec_b64 s[26:27], vcc
	s_cbranch_execz .LBB234_11
; %bb.1:
	s_load_dword s30, s[4:5], 0x38
	s_mul_i32 s9, s9, s7
	s_mul_hi_u32 s33, s8, s7
	s_mul_i32 s8, s8, s7
	v_lshlrev_b32_e32 v3, 4, v0
	s_waitcnt lgkmcnt(0)
	s_ashr_i32 s31, s30, 31
	s_cmpk_eq_i32 s20, 0x71
	s_cselect_b64 vcc, -1, 0
	s_add_i32 s9, s33, s9
	s_lshl_b64 s[8:9], s[8:9], 4
	s_lshl_b64 s[18:19], s[18:19], 4
	s_add_u32 s8, s8, s18
	s_addc_u32 s9, s9, s19
	s_add_u32 s8, s16, s8
	s_addc_u32 s9, s17, s9
	v_mov_b32_e32 v1, s9
	v_add_co_u32_e64 v2, s[8:9], s8, v3
	v_addc_co_u32_e64 v4, s[8:9], 0, v1, s[8:9]
	v_add_co_u32_e64 v1, s[8:9], 8, v2
	s_lshl_b64 s[16:17], s[30:31], 4
	v_addc_co_u32_e64 v2, s[8:9], 0, v4, s[8:9]
	v_mov_b32_e32 v4, s17
	v_mov_b32_e32 v5, v3
	s_mov_b32 s17, s28
.LBB234_2:                              ; =>This Inner Loop Header: Depth=1
	global_load_dwordx4 v[6:9], v[1:2], off offset:-8
	s_add_i32 s17, s17, -1
	v_add_co_u32_e64 v1, s[8:9], s16, v1
	v_addc_co_u32_e64 v2, s[8:9], v2, v4, s[8:9]
	s_cmp_eq_u32 s17, 0
	s_waitcnt vmcnt(0)
	v_xor_b32_e32 v10, 0x80000000, v9
	v_cndmask_b32_e32 v9, v9, v10, vcc
	ds_write_b128 v5, v[6:9]
	v_add_u32_e32 v5, 0x200, v5
	s_cbranch_scc0 .LBB234_2
; %bb.3:
	v_lshlrev_b32_e32 v1, 9, v0
	s_cmpk_lg_i32 s21, 0x84
	v_add_u32_e32 v9, v3, v1
	s_cbranch_scc0 .LBB234_9
; %bb.4:
	ds_read_b128 v[1:4], v9
                                        ; implicit-def: $vgpr7_vgpr8
	s_waitcnt lgkmcnt(0)
	v_cmp_ngt_f64_e64 s[8:9], |v[1:2]|, |v[3:4]|
	s_and_saveexec_b64 s[16:17], s[8:9]
	s_xor_b64 s[8:9], exec, s[16:17]
	s_cbranch_execz .LBB234_6
; %bb.5:
	v_div_scale_f64 v[5:6], s[16:17], v[3:4], v[3:4], v[1:2]
	v_rcp_f64_e32 v[7:8], v[5:6]
	v_fma_f64 v[10:11], -v[5:6], v[7:8], 1.0
	v_fma_f64 v[7:8], v[7:8], v[10:11], v[7:8]
	v_div_scale_f64 v[10:11], vcc, v[1:2], v[3:4], v[1:2]
	v_fma_f64 v[12:13], -v[5:6], v[7:8], 1.0
	v_fma_f64 v[7:8], v[7:8], v[12:13], v[7:8]
	v_mul_f64 v[12:13], v[10:11], v[7:8]
	v_fma_f64 v[5:6], -v[5:6], v[12:13], v[10:11]
	v_div_fmas_f64 v[5:6], v[5:6], v[7:8], v[12:13]
	v_div_fixup_f64 v[5:6], v[5:6], v[3:4], v[1:2]
	v_fma_f64 v[1:2], v[1:2], v[5:6], v[3:4]
	v_div_scale_f64 v[3:4], s[16:17], v[1:2], v[1:2], 1.0
	v_rcp_f64_e32 v[7:8], v[3:4]
	v_fma_f64 v[10:11], -v[3:4], v[7:8], 1.0
	v_fma_f64 v[7:8], v[7:8], v[10:11], v[7:8]
	v_div_scale_f64 v[10:11], vcc, 1.0, v[1:2], 1.0
	v_fma_f64 v[12:13], -v[3:4], v[7:8], 1.0
	v_fma_f64 v[7:8], v[7:8], v[12:13], v[7:8]
	v_mul_f64 v[12:13], v[10:11], v[7:8]
	v_fma_f64 v[3:4], -v[3:4], v[12:13], v[10:11]
	v_div_fmas_f64 v[3:4], v[3:4], v[7:8], v[12:13]
	v_add_f64 v[7:8], v[5:6], 0
	v_div_fixup_f64 v[1:2], v[3:4], v[1:2], 1.0
	v_fma_f64 v[3:4], v[5:6], 0, -1.0
	v_mul_f64 v[5:6], v[7:8], v[1:2]
	v_mul_f64 v[7:8], v[3:4], v[1:2]
                                        ; implicit-def: $vgpr1_vgpr2
.LBB234_6:
	s_andn2_saveexec_b64 s[8:9], s[8:9]
	s_cbranch_execz .LBB234_8
; %bb.7:
	v_div_scale_f64 v[5:6], s[16:17], v[1:2], v[1:2], v[3:4]
	v_rcp_f64_e32 v[7:8], v[5:6]
	v_fma_f64 v[10:11], -v[5:6], v[7:8], 1.0
	v_fma_f64 v[7:8], v[7:8], v[10:11], v[7:8]
	v_div_scale_f64 v[10:11], vcc, v[3:4], v[1:2], v[3:4]
	v_fma_f64 v[12:13], -v[5:6], v[7:8], 1.0
	v_fma_f64 v[7:8], v[7:8], v[12:13], v[7:8]
	v_mul_f64 v[12:13], v[10:11], v[7:8]
	v_fma_f64 v[5:6], -v[5:6], v[12:13], v[10:11]
	v_div_fmas_f64 v[5:6], v[5:6], v[7:8], v[12:13]
	v_div_fixup_f64 v[5:6], v[5:6], v[1:2], v[3:4]
	v_fma_f64 v[1:2], v[3:4], v[5:6], v[1:2]
	v_div_scale_f64 v[3:4], s[16:17], v[1:2], v[1:2], 1.0
	v_rcp_f64_e32 v[7:8], v[3:4]
	v_fma_f64 v[10:11], -v[3:4], v[7:8], 1.0
	v_fma_f64 v[7:8], v[7:8], v[10:11], v[7:8]
	v_div_scale_f64 v[10:11], vcc, 1.0, v[1:2], 1.0
	v_fma_f64 v[12:13], -v[3:4], v[7:8], 1.0
	v_fma_f64 v[7:8], v[7:8], v[12:13], v[7:8]
	v_mul_f64 v[12:13], v[10:11], v[7:8]
	v_fma_f64 v[3:4], -v[3:4], v[12:13], v[10:11]
	v_div_fmas_f64 v[3:4], v[3:4], v[7:8], v[12:13]
	v_fma_f64 v[7:8], v[5:6], 0, 1.0
	v_div_fixup_f64 v[1:2], v[3:4], v[1:2], 1.0
	v_add_f64 v[3:4], -v[5:6], 0
	v_mul_f64 v[5:6], v[7:8], v[1:2]
	v_mul_f64 v[7:8], v[3:4], v[1:2]
.LBB234_8:
	s_or_b64 exec, exec, s[8:9]
	s_branch .LBB234_10
.LBB234_9:
	v_mov_b32_e32 v7, 0
	v_mov_b32_e32 v5, 0
	;; [unrolled: 1-line block ×4, first 2 shown]
.LBB234_10:
	ds_write_b128 v9, v[5:8]
.LBB234_11:
	s_or_b64 exec, exec, s[26:27]
	s_load_dword s21, s[4:5], 0x58
	s_load_dwordx2 s[8:9], s[4:5], 0x60
	s_add_i32 s29, s29, -1
	s_waitcnt lgkmcnt(0)
	s_ashr_i32 s26, s21, 31
	s_mul_i32 s4, s9, s7
	s_mul_hi_u32 s5, s8, s7
	s_mul_i32 s16, s8, s7
	s_lshl_b32 s8, s6, 5
	s_add_i32 s17, s5, s4
	s_sub_i32 s4, s23, s8
	s_cmp_ge_u32 s6, s29
	s_cselect_b32 s4, s4, 32
	s_ashr_i32 s9, s8, 31
	s_cmp_gt_i32 s22, 0
	v_cmp_gt_i32_e64 s[4:5], s4, v0
	s_cselect_b64 s[6:7], -1, 0
	s_and_b64 s[22:23], s[4:5], s[6:7]
	s_and_saveexec_b64 s[18:19], s[22:23]
	s_cbranch_execz .LBB234_14
; %bb.12:
	v_lshlrev_b32_e32 v3, 4, v0
	s_lshl_b64 s[30:31], s[8:9], 4
	s_lshl_b64 s[22:23], s[16:17], 4
	v_mov_b32_e32 v1, s31
	v_add_co_u32_e32 v4, vcc, s30, v3
	s_lshl_b64 s[30:31], s[24:25], 4
	s_add_u32 s9, s10, s30
	s_addc_u32 s27, s11, s31
	s_add_u32 s22, s9, s22
	v_addc_co_u32_e32 v5, vcc, 0, v1, vcc
	s_addc_u32 s23, s27, s23
	v_mov_b32_e32 v1, s22
	v_mov_b32_e32 v2, s23
	v_mad_u64_u32 v[1:2], s[22:23], v4, s21, v[1:2]
	v_mul_lo_u32 v4, v4, s26
	v_mul_lo_u32 v5, v5, s21
	v_add_co_u32_e32 v1, vcc, 8, v1
	v_or_b32_e32 v3, 0x4000, v3
	v_add3_u32 v2, v5, v2, v4
	v_addc_co_u32_e32 v2, vcc, 0, v2, vcc
	s_mov_b32 s9, s28
.LBB234_13:                             ; =>This Inner Loop Header: Depth=1
	global_load_dwordx4 v[4:7], v[1:2], off offset:-8
	s_add_i32 s9, s9, -1
	v_add_co_u32_e32 v1, vcc, 16, v1
	v_addc_co_u32_e32 v2, vcc, 0, v2, vcc
	s_cmp_lg_u32 s9, 0
	s_waitcnt vmcnt(0)
	v_mul_f64 v[8:9], s[14:15], v[6:7]
	v_mul_f64 v[10:11], s[12:13], v[6:7]
	v_fma_f64 v[6:7], s[12:13], v[4:5], -v[8:9]
	v_fma_f64 v[8:9], s[14:15], v[4:5], v[10:11]
	ds_write_b128 v3, v[6:9]
	v_add_u32_e32 v3, 0x200, v3
	s_cbranch_scc1 .LBB234_13
.LBB234_14:
	s_or_b64 exec, exec, s[18:19]
	v_mov_b32_e32 v1, 0x4000
	s_cmpk_eq_i32 s20, 0x6f
	v_lshl_or_b32 v5, v0, 4, v1
	s_mov_b64 s[12:13], -1
	s_waitcnt lgkmcnt(0)
	; wave barrier
	s_cbranch_scc1 .LBB234_36
; %bb.15:
	s_mov_b32 s13, 0
	s_mov_b32 s12, s13
	;; [unrolled: 1-line block ×3, first 2 shown]
	s_branch .LBB234_17
.LBB234_16:                             ;   in Loop: Header=BB234_17 Depth=1
	s_cmp_ge_i32 s9, s28
	s_cselect_b64 s[14:15], -1, 0
	s_add_i32 s12, s12, 1
	s_cmp_eq_u32 s12, 3
	s_cselect_b64 s[18:19], -1, 0
	s_or_b64 s[14:15], s[14:15], s[18:19]
	s_andn2_b64 vcc, exec, s[14:15]
	s_cbranch_vccz .LBB234_35
.LBB234_17:                             ; =>This Loop Header: Depth=1
                                        ;     Child Loop BB234_20 Depth 2
                                        ;       Child Loop BB234_21 Depth 3
                                        ;       Child Loop BB234_24 Depth 3
                                        ;         Child Loop BB234_25 Depth 4
                                        ;       Child Loop BB234_29 Depth 3
                                        ;         Child Loop BB234_31 Depth 4
	s_lshl_b64 s[14:15], s[12:13], 2
	s_getpc_b64 s[18:19]
	s_add_u32 s18, s18, __const._ZL38rocblas_trsm_small_left_device_sharedBILi32ELi32ELb0E19rocblas_complex_numIdES1_PKS1_PS1_Ev13rocblas_fill_18rocblas_operation_17rocblas_diagonal_iiT3_T4_lilT5_lili.step_sizes@rel32@lo+4
	s_addc_u32 s19, s19, __const._ZL38rocblas_trsm_small_left_device_sharedBILi32ELi32ELb0E19rocblas_complex_numIdES1_PKS1_PS1_Ev13rocblas_fill_18rocblas_operation_17rocblas_diagonal_iiT3_T4_lilT5_lili.step_sizes@rel32@hi+12
	s_add_u32 s14, s18, s14
	s_addc_u32 s15, s19, s15
	s_load_dword s18, s[14:15], 0x0
	s_waitcnt lgkmcnt(0)
	s_add_i32 s19, s18, -1
	s_add_i32 s14, s19, s9
	s_cmp_ge_i32 s14, s28
	s_cbranch_scc1 .LBB234_16
; %bb.18:                               ;   in Loop: Header=BB234_17 Depth=1
	s_lshl_b32 s22, s9, 9
	s_max_i32 s20, s18, 1
	v_add_u32_e32 v6, s22, v5
	s_lshl_b32 s23, s18, 9
	s_mul_i32 s26, s9, 0x210
	s_mul_i32 s27, s18, 0x210
	s_branch .LBB234_20
.LBB234_19:                             ;   in Loop: Header=BB234_20 Depth=2
	s_add_i32 s9, s9, s18
	s_add_i32 s14, s19, s9
	;; [unrolled: 1-line block ×4, first 2 shown]
	s_cmp_ge_i32 s14, s28
	v_add_u32_e32 v6, s23, v6
	s_cbranch_scc1 .LBB234_16
.LBB234_20:                             ;   Parent Loop BB234_17 Depth=1
                                        ; =>  This Loop Header: Depth=2
                                        ;       Child Loop BB234_21 Depth 3
                                        ;       Child Loop BB234_24 Depth 3
                                        ;         Child Loop BB234_25 Depth 4
                                        ;       Child Loop BB234_29 Depth 3
                                        ;         Child Loop BB234_31 Depth 4
	s_mov_b32 s14, 0
	v_mov_b32_e32 v1, v6
	s_mov_b32 s15, s20
.LBB234_21:                             ;   Parent Loop BB234_17 Depth=1
                                        ;     Parent Loop BB234_20 Depth=2
                                        ; =>    This Inner Loop Header: Depth=3
	ds_read_b128 v[7:10], v1
	v_mov_b32_e32 v2, s14
	s_add_i32 s15, s15, -1
	s_add_i32 s14, s14, 16
	v_add_u32_e32 v1, 0x200, v1
	s_cmp_eq_u32 s15, 0
	s_waitcnt lgkmcnt(0)
	buffer_store_dword v10, v2, s[0:3], 0 offen offset:12
	buffer_store_dword v9, v2, s[0:3], 0 offen offset:8
	;; [unrolled: 1-line block ×3, first 2 shown]
	buffer_store_dword v7, v2, s[0:3], 0 offen
	s_cbranch_scc0 .LBB234_21
; %bb.22:                               ;   in Loop: Header=BB234_20 Depth=2
	s_cmp_lt_i32 s9, 1
	s_cbranch_scc1 .LBB234_27
; %bb.23:                               ;   in Loop: Header=BB234_20 Depth=2
	s_mov_b32 s14, 0
	s_mov_b32 s15, s22
.LBB234_24:                             ;   Parent Loop BB234_17 Depth=1
                                        ;     Parent Loop BB234_20 Depth=2
                                        ; =>    This Loop Header: Depth=3
                                        ;         Child Loop BB234_25 Depth 4
	v_lshl_add_u32 v1, s14, 9, v5
	ds_read_b128 v[1:4], v1
	s_mov_b32 s29, 0
	s_mov_b32 s30, s15
	;; [unrolled: 1-line block ×3, first 2 shown]
.LBB234_25:                             ;   Parent Loop BB234_17 Depth=1
                                        ;     Parent Loop BB234_20 Depth=2
                                        ;       Parent Loop BB234_24 Depth=3
                                        ; =>      This Inner Loop Header: Depth=4
	v_mov_b32_e32 v17, s29
	buffer_load_dword v11, v17, s[0:3], 0 offen
	buffer_load_dword v12, v17, s[0:3], 0 offen offset:4
	buffer_load_dword v13, v17, s[0:3], 0 offen offset:8
	;; [unrolled: 1-line block ×3, first 2 shown]
	v_mov_b32_e32 v7, s30
	ds_read_b128 v[7:10], v7
	s_add_i32 s31, s31, -1
	s_addk_i32 s30, 0x200
	s_add_i32 s29, s29, 16
	s_cmp_eq_u32 s31, 0
	s_waitcnt lgkmcnt(0)
	v_mul_f64 v[15:16], v[3:4], v[9:10]
	v_mul_f64 v[9:10], v[1:2], v[9:10]
	v_fma_f64 v[15:16], v[1:2], v[7:8], -v[15:16]
	v_fma_f64 v[7:8], v[3:4], v[7:8], v[9:10]
	s_waitcnt vmcnt(2)
	v_add_f64 v[9:10], v[11:12], -v[15:16]
	s_waitcnt vmcnt(0)
	v_add_f64 v[7:8], v[13:14], -v[7:8]
	buffer_store_dword v9, v17, s[0:3], 0 offen
	buffer_store_dword v10, v17, s[0:3], 0 offen offset:4
	buffer_store_dword v7, v17, s[0:3], 0 offen offset:8
	;; [unrolled: 1-line block ×3, first 2 shown]
	s_cbranch_scc0 .LBB234_25
; %bb.26:                               ;   in Loop: Header=BB234_24 Depth=3
	s_add_i32 s14, s14, 1
	s_add_i32 s15, s15, 16
	s_cmp_eq_u32 s14, s9
	s_cbranch_scc0 .LBB234_24
.LBB234_27:                             ;   in Loop: Header=BB234_20 Depth=2
	s_lshl_b32 s29, s9, 9
	s_mov_b32 s30, 0
	s_mov_b32 s31, s26
	s_branch .LBB234_29
.LBB234_28:                             ;   in Loop: Header=BB234_29 Depth=3
	s_mul_i32 s14, s34, 0x210
	v_mov_b32_e32 v7, s14
	ds_read_b128 v[7:10], v7
	s_lshl_b32 s14, s30, 4
	s_add_i32 s30, s30, 1
	s_addk_i32 s31, 0x200
	s_cmp_eq_u32 s30, s20
	s_waitcnt vmcnt(0) lgkmcnt(0)
	v_mul_f64 v[11:12], v[9:10], v[3:4]
	v_mul_f64 v[3:4], v[7:8], v[3:4]
	v_fma_f64 v[7:8], v[7:8], v[1:2], -v[11:12]
	v_fma_f64 v[9:10], v[9:10], v[1:2], v[3:4]
	v_add_u32_e32 v1, s33, v5
	v_mov_b32_e32 v2, s14
	buffer_store_dword v8, v2, s[0:3], 0 offen offset:4
	buffer_store_dword v7, v2, s[0:3], 0 offen
	buffer_store_dword v10, v2, s[0:3], 0 offen offset:12
	buffer_store_dword v9, v2, s[0:3], 0 offen offset:8
	ds_write_b128 v1, v[7:10]
	s_cbranch_scc1 .LBB234_19
.LBB234_29:                             ;   Parent Loop BB234_17 Depth=1
                                        ;     Parent Loop BB234_20 Depth=2
                                        ; =>    This Loop Header: Depth=3
                                        ;         Child Loop BB234_31 Depth 4
	s_cmp_lg_u32 s30, 0
	s_cbranch_scc0 .LBB234_33
; %bb.30:                               ;   in Loop: Header=BB234_29 Depth=3
	s_lshl_b32 s14, s30, 4
	v_mov_b32_e32 v7, s14
	buffer_load_dword v1, v7, s[0:3], 0 offen
	buffer_load_dword v2, v7, s[0:3], 0 offen offset:4
	buffer_load_dword v3, v7, s[0:3], 0 offen offset:8
	;; [unrolled: 1-line block ×3, first 2 shown]
	s_add_i32 s34, s30, s9
	s_lshl_b32 s33, s34, 9
	s_mov_b32 s14, 0
	s_mov_b32 s15, s31
	;; [unrolled: 1-line block ×3, first 2 shown]
.LBB234_31:                             ;   Parent Loop BB234_17 Depth=1
                                        ;     Parent Loop BB234_20 Depth=2
                                        ;       Parent Loop BB234_29 Depth=3
                                        ; =>      This Inner Loop Header: Depth=4
	v_mov_b32_e32 v8, s14
	buffer_load_dword v12, v8, s[0:3], 0 offen offset:8
	buffer_load_dword v13, v8, s[0:3], 0 offen offset:12
	buffer_load_dword v14, v8, s[0:3], 0 offen
	buffer_load_dword v15, v8, s[0:3], 0 offen offset:4
	v_mov_b32_e32 v8, s15
	ds_read_b128 v[8:11], v8
	s_add_i32 s35, s35, -1
	s_add_i32 s14, s14, 16
	s_add_i32 s15, s15, 16
	s_cmp_eq_u32 s35, 0
	s_waitcnt vmcnt(2) lgkmcnt(0)
	v_mul_f64 v[16:17], v[10:11], v[12:13]
	v_mul_f64 v[12:13], v[8:9], v[12:13]
	s_waitcnt vmcnt(0)
	v_fma_f64 v[8:9], v[8:9], v[14:15], -v[16:17]
	v_fma_f64 v[10:11], v[10:11], v[14:15], v[12:13]
	v_add_f64 v[1:2], v[1:2], -v[8:9]
	v_add_f64 v[3:4], v[3:4], -v[10:11]
	buffer_store_dword v1, v7, s[0:3], 0 offen
	buffer_store_dword v2, v7, s[0:3], 0 offen offset:4
	buffer_store_dword v3, v7, s[0:3], 0 offen offset:8
	;; [unrolled: 1-line block ×3, first 2 shown]
	s_cbranch_scc0 .LBB234_31
; %bb.32:                               ;   in Loop: Header=BB234_29 Depth=3
	s_branch .LBB234_28
.LBB234_33:                             ;   in Loop: Header=BB234_29 Depth=3
                                        ; implicit-def: $vgpr1_vgpr2
                                        ; implicit-def: $vgpr3_vgpr4
                                        ; implicit-def: $sgpr34
                                        ; implicit-def: $sgpr33
	s_cbranch_execz .LBB234_28
; %bb.34:                               ;   in Loop: Header=BB234_29 Depth=3
	buffer_load_dword v1, off, s[0:3], 0
	buffer_load_dword v2, off, s[0:3], 0 offset:4
	buffer_load_dword v3, off, s[0:3], 0 offset:8
	;; [unrolled: 1-line block ×3, first 2 shown]
	s_mov_b32 s33, s29
	s_mov_b32 s34, s9
	s_branch .LBB234_28
.LBB234_35:
	s_mov_b64 s[12:13], 0
.LBB234_36:
	s_and_b64 vcc, exec, s[12:13]
	s_cbranch_vccz .LBB234_56
; %bb.37:
	s_add_i32 s9, s28, -1
	v_mov_b32_e32 v1, 0x4000
	s_lshl_b32 s18, s28, 9
	s_mov_b32 s13, 0
	v_lshl_or_b32 v6, v0, 4, v1
	s_addk_i32 s18, 0xfe00
	s_mov_b32 s12, s13
	s_mov_b32 s19, s9
	s_branch .LBB234_39
.LBB234_38:                             ;   in Loop: Header=BB234_39 Depth=1
	s_cmp_lt_i32 s19, 0
	s_cselect_b64 s[14:15], -1, 0
	s_add_i32 s12, s12, 1
	s_cmp_eq_u32 s12, 3
	s_cselect_b64 s[22:23], -1, 0
	s_or_b64 s[14:15], s[14:15], s[22:23]
	s_and_b64 vcc, exec, s[14:15]
	s_cbranch_vccnz .LBB234_56
.LBB234_39:                             ; =>This Loop Header: Depth=1
                                        ;     Child Loop BB234_42 Depth 2
                                        ;       Child Loop BB234_43 Depth 3
                                        ;       Child Loop BB234_45 Depth 3
                                        ;         Child Loop BB234_46 Depth 4
                                        ;       Child Loop BB234_50 Depth 3
                                        ;         Child Loop BB234_52 Depth 4
	s_lshl_b64 s[14:15], s[12:13], 2
	s_getpc_b64 s[22:23]
	s_add_u32 s22, s22, __const._ZL38rocblas_trsm_small_left_device_sharedBILi32ELi32ELb0E19rocblas_complex_numIdES1_PKS1_PS1_Ev13rocblas_fill_18rocblas_operation_17rocblas_diagonal_iiT3_T4_lilT5_lili.step_sizes@rel32@lo+4
	s_addc_u32 s23, s23, __const._ZL38rocblas_trsm_small_left_device_sharedBILi32ELi32ELb0E19rocblas_complex_numIdES1_PKS1_PS1_Ev13rocblas_fill_18rocblas_operation_17rocblas_diagonal_iiT3_T4_lilT5_lili.step_sizes@rel32@hi+12
	s_add_u32 s14, s22, s14
	s_addc_u32 s15, s23, s15
	s_load_dword s20, s[14:15], 0x0
	s_waitcnt lgkmcnt(0)
	s_add_i32 s22, s20, -1
	s_cmp_lt_i32 s19, s22
	s_cbranch_scc1 .LBB234_38
; %bb.40:                               ;   in Loop: Header=BB234_39 Depth=1
	s_lshl_b32 s14, s20, 9
	s_sub_i32 s26, 0, s14
	s_lshl_b32 s14, s19, 4
	s_add_i32 s27, s18, s14
	s_lshl_b32 s14, s20, 4
	s_max_i32 s23, s20, 1
	v_lshl_add_u32 v7, s19, 9, v6
	s_sub_i32 s29, 0, s14
	s_mul_i32 s30, s19, 0x210
	s_mul_i32 s31, s20, 0xfffffdf0
	s_branch .LBB234_42
.LBB234_41:                             ;   in Loop: Header=BB234_42 Depth=2
	s_sub_i32 s19, s19, s20
	s_add_i32 s27, s27, s29
	s_add_i32 s30, s30, s31
	s_cmp_lt_i32 s19, s22
	v_add_u32_e32 v7, s26, v7
	s_cbranch_scc1 .LBB234_38
.LBB234_42:                             ;   Parent Loop BB234_39 Depth=1
                                        ; =>  This Loop Header: Depth=2
                                        ;       Child Loop BB234_43 Depth 3
                                        ;       Child Loop BB234_45 Depth 3
                                        ;         Child Loop BB234_46 Depth 4
                                        ;       Child Loop BB234_50 Depth 3
                                        ;         Child Loop BB234_52 Depth 4
	s_mov_b32 s14, 0
	v_mov_b32_e32 v1, v7
	s_mov_b32 s15, s23
.LBB234_43:                             ;   Parent Loop BB234_39 Depth=1
                                        ;     Parent Loop BB234_42 Depth=2
                                        ; =>    This Inner Loop Header: Depth=3
	ds_read_b128 v[8:11], v1
	v_mov_b32_e32 v2, s14
	s_add_i32 s15, s15, -1
	s_add_i32 s14, s14, 16
	v_add_u32_e32 v1, 0xfffffe00, v1
	s_cmp_eq_u32 s15, 0
	s_waitcnt lgkmcnt(0)
	buffer_store_dword v11, v2, s[0:3], 0 offen offset:12
	buffer_store_dword v10, v2, s[0:3], 0 offen offset:8
	;; [unrolled: 1-line block ×3, first 2 shown]
	buffer_store_dword v8, v2, s[0:3], 0 offen
	s_cbranch_scc0 .LBB234_43
; %bb.44:                               ;   in Loop: Header=BB234_42 Depth=2
	s_cmp_le_i32 s9, s19
	s_mov_b32 s14, s27
	s_mov_b32 s15, s9
	s_cbranch_scc1 .LBB234_48
.LBB234_45:                             ;   Parent Loop BB234_39 Depth=1
                                        ;     Parent Loop BB234_42 Depth=2
                                        ; =>    This Loop Header: Depth=3
                                        ;         Child Loop BB234_46 Depth 4
	v_lshl_add_u32 v1, s15, 9, v5
	ds_read_b128 v[1:4], v1
	s_mov_b32 s33, 0
	s_mov_b32 s34, s14
	;; [unrolled: 1-line block ×3, first 2 shown]
.LBB234_46:                             ;   Parent Loop BB234_39 Depth=1
                                        ;     Parent Loop BB234_42 Depth=2
                                        ;       Parent Loop BB234_45 Depth=3
                                        ; =>      This Inner Loop Header: Depth=4
	v_mov_b32_e32 v18, s33
	buffer_load_dword v12, v18, s[0:3], 0 offen
	buffer_load_dword v13, v18, s[0:3], 0 offen offset:4
	buffer_load_dword v14, v18, s[0:3], 0 offen offset:8
	;; [unrolled: 1-line block ×3, first 2 shown]
	v_mov_b32_e32 v8, s34
	ds_read_b128 v[8:11], v8
	s_add_i32 s35, s35, -1
	s_add_i32 s34, s34, -16
	s_add_i32 s33, s33, 16
	s_cmp_eq_u32 s35, 0
	s_waitcnt lgkmcnt(0)
	v_mul_f64 v[16:17], v[3:4], v[10:11]
	v_mul_f64 v[10:11], v[1:2], v[10:11]
	v_fma_f64 v[16:17], v[1:2], v[8:9], -v[16:17]
	v_fma_f64 v[8:9], v[3:4], v[8:9], v[10:11]
	s_waitcnt vmcnt(2)
	v_add_f64 v[10:11], v[12:13], -v[16:17]
	s_waitcnt vmcnt(0)
	v_add_f64 v[8:9], v[14:15], -v[8:9]
	buffer_store_dword v10, v18, s[0:3], 0 offen
	buffer_store_dword v11, v18, s[0:3], 0 offen offset:4
	buffer_store_dword v8, v18, s[0:3], 0 offen offset:8
	;; [unrolled: 1-line block ×3, first 2 shown]
	s_cbranch_scc0 .LBB234_46
; %bb.47:                               ;   in Loop: Header=BB234_45 Depth=3
	s_add_i32 s15, s15, -1
	s_addk_i32 s14, 0xfe00
	s_cmp_le_i32 s15, s19
	s_cbranch_scc0 .LBB234_45
.LBB234_48:                             ;   in Loop: Header=BB234_42 Depth=2
	s_mov_b32 s33, 0
	s_mov_b32 s34, s30
	s_branch .LBB234_50
.LBB234_49:                             ;   in Loop: Header=BB234_50 Depth=3
	s_mul_i32 s14, s35, 0x210
	v_mov_b32_e32 v8, s14
	ds_read_b128 v[8:11], v8
	s_lshl_b32 s14, s33, 4
	s_add_i32 s33, s33, 1
	s_add_i32 s34, s34, -16
	s_cmp_eq_u32 s33, s23
	s_waitcnt vmcnt(0) lgkmcnt(0)
	v_mul_f64 v[12:13], v[10:11], v[3:4]
	v_mul_f64 v[3:4], v[8:9], v[3:4]
	v_fma_f64 v[8:9], v[8:9], v[1:2], -v[12:13]
	v_fma_f64 v[10:11], v[10:11], v[1:2], v[3:4]
	v_lshl_add_u32 v1, s35, 9, v5
	v_mov_b32_e32 v2, s14
	buffer_store_dword v9, v2, s[0:3], 0 offen offset:4
	buffer_store_dword v8, v2, s[0:3], 0 offen
	buffer_store_dword v11, v2, s[0:3], 0 offen offset:12
	buffer_store_dword v10, v2, s[0:3], 0 offen offset:8
	ds_write_b128 v1, v[8:11]
	s_cbranch_scc1 .LBB234_41
.LBB234_50:                             ;   Parent Loop BB234_39 Depth=1
                                        ;     Parent Loop BB234_42 Depth=2
                                        ; =>    This Loop Header: Depth=3
                                        ;         Child Loop BB234_52 Depth 4
	s_cmp_lg_u32 s33, 0
	s_cbranch_scc0 .LBB234_54
; %bb.51:                               ;   in Loop: Header=BB234_50 Depth=3
	s_lshl_b32 s14, s33, 4
	v_mov_b32_e32 v8, s14
	buffer_load_dword v1, v8, s[0:3], 0 offen
	buffer_load_dword v2, v8, s[0:3], 0 offen offset:4
	buffer_load_dword v3, v8, s[0:3], 0 offen offset:8
	;; [unrolled: 1-line block ×3, first 2 shown]
	s_sub_i32 s35, s19, s33
	s_mov_b32 s14, 0
	s_mov_b32 s15, s34
	;; [unrolled: 1-line block ×3, first 2 shown]
.LBB234_52:                             ;   Parent Loop BB234_39 Depth=1
                                        ;     Parent Loop BB234_42 Depth=2
                                        ;       Parent Loop BB234_50 Depth=3
                                        ; =>      This Inner Loop Header: Depth=4
	v_mov_b32_e32 v9, s14
	buffer_load_dword v13, v9, s[0:3], 0 offen offset:8
	buffer_load_dword v14, v9, s[0:3], 0 offen offset:12
	buffer_load_dword v15, v9, s[0:3], 0 offen
	buffer_load_dword v16, v9, s[0:3], 0 offen offset:4
	v_mov_b32_e32 v9, s15
	ds_read_b128 v[9:12], v9
	s_add_i32 s36, s36, -1
	s_addk_i32 s15, 0xfe00
	s_add_i32 s14, s14, 16
	s_cmp_eq_u32 s36, 0
	s_waitcnt vmcnt(2) lgkmcnt(0)
	v_mul_f64 v[17:18], v[11:12], v[13:14]
	v_mul_f64 v[13:14], v[9:10], v[13:14]
	s_waitcnt vmcnt(0)
	v_fma_f64 v[9:10], v[9:10], v[15:16], -v[17:18]
	v_fma_f64 v[11:12], v[11:12], v[15:16], v[13:14]
	v_add_f64 v[1:2], v[1:2], -v[9:10]
	v_add_f64 v[3:4], v[3:4], -v[11:12]
	buffer_store_dword v1, v8, s[0:3], 0 offen
	buffer_store_dword v2, v8, s[0:3], 0 offen offset:4
	buffer_store_dword v3, v8, s[0:3], 0 offen offset:8
	;; [unrolled: 1-line block ×3, first 2 shown]
	s_cbranch_scc0 .LBB234_52
; %bb.53:                               ;   in Loop: Header=BB234_50 Depth=3
	s_branch .LBB234_49
.LBB234_54:                             ;   in Loop: Header=BB234_50 Depth=3
                                        ; implicit-def: $vgpr1_vgpr2
                                        ; implicit-def: $vgpr3_vgpr4
                                        ; implicit-def: $sgpr35
	s_cbranch_execz .LBB234_49
; %bb.55:                               ;   in Loop: Header=BB234_50 Depth=3
	buffer_load_dword v1, off, s[0:3], 0
	buffer_load_dword v2, off, s[0:3], 0 offset:4
	buffer_load_dword v3, off, s[0:3], 0 offset:8
	;; [unrolled: 1-line block ×3, first 2 shown]
	s_mov_b32 s35, s19
	s_branch .LBB234_49
.LBB234_56:
	s_waitcnt lgkmcnt(0)
	; wave barrier
	s_and_saveexec_b64 s[12:13], s[4:5]
	s_cbranch_execz .LBB234_60
; %bb.57:
	s_andn2_b64 vcc, exec, s[6:7]
	s_cbranch_vccnz .LBB234_60
; %bb.58:
	s_lshl_b64 s[4:5], s[16:17], 4
	s_add_u32 s6, s10, s4
	s_addc_u32 s7, s11, s5
	s_lshl_b64 s[4:5], s[24:25], 4
	s_add_u32 s9, s6, s4
	s_addc_u32 s10, s7, s5
	v_mad_i64_i32 v[1:2], s[6:7], s21, v0, 0
	s_mul_hi_i32 s5, s21, s8
	s_mul_i32 s4, s21, s8
	s_lshl_b64 s[4:5], s[4:5], 4
	s_add_u32 s4, s9, s4
	v_lshlrev_b64 v[1:2], 4, v[1:2]
	s_addc_u32 s5, s10, s5
	v_mov_b32_e32 v3, s5
	v_add_co_u32_e32 v1, vcc, s4, v1
	v_addc_co_u32_e32 v2, vcc, v3, v2, vcc
	v_mov_b32_e32 v3, 0x4000
	v_lshl_or_b32 v0, v0, 4, v3
.LBB234_59:                             ; =>This Inner Loop Header: Depth=1
	ds_read2_b64 v[3:6], v0 offset1:1
	s_add_i32 s28, s28, -1
	v_add_u32_e32 v0, 0x200, v0
	s_cmp_lg_u32 s28, 0
	s_waitcnt lgkmcnt(0)
	global_store_dwordx4 v[1:2], v[3:6], off
	v_add_co_u32_e32 v1, vcc, 16, v1
	v_addc_co_u32_e32 v2, vcc, 0, v2, vcc
	s_cbranch_scc1 .LBB234_59
.LBB234_60:
	s_endpgm
	.section	.rodata,"a",@progbits
	.p2align	6, 0x0
	.amdhsa_kernel _ZL38rocblas_trsm_small_left_device_sharedBILi32ELi32ELb0E19rocblas_complex_numIdES1_PKS1_PS1_Ev13rocblas_fill_18rocblas_operation_17rocblas_diagonal_iiT3_T4_lilT5_lili
		.amdhsa_group_segment_fixed_size 32768
		.amdhsa_private_segment_fixed_size 528
		.amdhsa_kernarg_size 368
		.amdhsa_user_sgpr_count 6
		.amdhsa_user_sgpr_private_segment_buffer 1
		.amdhsa_user_sgpr_dispatch_ptr 0
		.amdhsa_user_sgpr_queue_ptr 0
		.amdhsa_user_sgpr_kernarg_segment_ptr 1
		.amdhsa_user_sgpr_dispatch_id 0
		.amdhsa_user_sgpr_flat_scratch_init 0
		.amdhsa_user_sgpr_private_segment_size 0
		.amdhsa_uses_dynamic_stack 0
		.amdhsa_system_sgpr_private_segment_wavefront_offset 1
		.amdhsa_system_sgpr_workgroup_id_x 1
		.amdhsa_system_sgpr_workgroup_id_y 0
		.amdhsa_system_sgpr_workgroup_id_z 1
		.amdhsa_system_sgpr_workgroup_info 0
		.amdhsa_system_vgpr_workitem_id 0
		.amdhsa_next_free_vgpr 129
		.amdhsa_next_free_sgpr 98
		.amdhsa_reserve_vcc 1
		.amdhsa_reserve_flat_scratch 0
		.amdhsa_float_round_mode_32 0
		.amdhsa_float_round_mode_16_64 0
		.amdhsa_float_denorm_mode_32 3
		.amdhsa_float_denorm_mode_16_64 3
		.amdhsa_dx10_clamp 1
		.amdhsa_ieee_mode 1
		.amdhsa_fp16_overflow 0
		.amdhsa_exception_fp_ieee_invalid_op 0
		.amdhsa_exception_fp_denorm_src 0
		.amdhsa_exception_fp_ieee_div_zero 0
		.amdhsa_exception_fp_ieee_overflow 0
		.amdhsa_exception_fp_ieee_underflow 0
		.amdhsa_exception_fp_ieee_inexact 0
		.amdhsa_exception_int_div_zero 0
	.end_amdhsa_kernel
	.section	.text._ZL38rocblas_trsm_small_left_device_sharedBILi32ELi32ELb0E19rocblas_complex_numIdES1_PKS1_PS1_Ev13rocblas_fill_18rocblas_operation_17rocblas_diagonal_iiT3_T4_lilT5_lili,"axG",@progbits,_ZL38rocblas_trsm_small_left_device_sharedBILi32ELi32ELb0E19rocblas_complex_numIdES1_PKS1_PS1_Ev13rocblas_fill_18rocblas_operation_17rocblas_diagonal_iiT3_T4_lilT5_lili,comdat
.Lfunc_end234:
	.size	_ZL38rocblas_trsm_small_left_device_sharedBILi32ELi32ELb0E19rocblas_complex_numIdES1_PKS1_PS1_Ev13rocblas_fill_18rocblas_operation_17rocblas_diagonal_iiT3_T4_lilT5_lili, .Lfunc_end234-_ZL38rocblas_trsm_small_left_device_sharedBILi32ELi32ELb0E19rocblas_complex_numIdES1_PKS1_PS1_Ev13rocblas_fill_18rocblas_operation_17rocblas_diagonal_iiT3_T4_lilT5_lili
                                        ; -- End function
	.set _ZL38rocblas_trsm_small_left_device_sharedBILi32ELi32ELb0E19rocblas_complex_numIdES1_PKS1_PS1_Ev13rocblas_fill_18rocblas_operation_17rocblas_diagonal_iiT3_T4_lilT5_lili.num_vgpr, 19
	.set _ZL38rocblas_trsm_small_left_device_sharedBILi32ELi32ELb0E19rocblas_complex_numIdES1_PKS1_PS1_Ev13rocblas_fill_18rocblas_operation_17rocblas_diagonal_iiT3_T4_lilT5_lili.num_agpr, 0
	.set _ZL38rocblas_trsm_small_left_device_sharedBILi32ELi32ELb0E19rocblas_complex_numIdES1_PKS1_PS1_Ev13rocblas_fill_18rocblas_operation_17rocblas_diagonal_iiT3_T4_lilT5_lili.numbered_sgpr, 37
	.set _ZL38rocblas_trsm_small_left_device_sharedBILi32ELi32ELb0E19rocblas_complex_numIdES1_PKS1_PS1_Ev13rocblas_fill_18rocblas_operation_17rocblas_diagonal_iiT3_T4_lilT5_lili.num_named_barrier, 0
	.set _ZL38rocblas_trsm_small_left_device_sharedBILi32ELi32ELb0E19rocblas_complex_numIdES1_PKS1_PS1_Ev13rocblas_fill_18rocblas_operation_17rocblas_diagonal_iiT3_T4_lilT5_lili.private_seg_size, 528
	.set _ZL38rocblas_trsm_small_left_device_sharedBILi32ELi32ELb0E19rocblas_complex_numIdES1_PKS1_PS1_Ev13rocblas_fill_18rocblas_operation_17rocblas_diagonal_iiT3_T4_lilT5_lili.uses_vcc, 1
	.set _ZL38rocblas_trsm_small_left_device_sharedBILi32ELi32ELb0E19rocblas_complex_numIdES1_PKS1_PS1_Ev13rocblas_fill_18rocblas_operation_17rocblas_diagonal_iiT3_T4_lilT5_lili.uses_flat_scratch, 0
	.set _ZL38rocblas_trsm_small_left_device_sharedBILi32ELi32ELb0E19rocblas_complex_numIdES1_PKS1_PS1_Ev13rocblas_fill_18rocblas_operation_17rocblas_diagonal_iiT3_T4_lilT5_lili.has_dyn_sized_stack, 0
	.set _ZL38rocblas_trsm_small_left_device_sharedBILi32ELi32ELb0E19rocblas_complex_numIdES1_PKS1_PS1_Ev13rocblas_fill_18rocblas_operation_17rocblas_diagonal_iiT3_T4_lilT5_lili.has_recursion, 0
	.set _ZL38rocblas_trsm_small_left_device_sharedBILi32ELi32ELb0E19rocblas_complex_numIdES1_PKS1_PS1_Ev13rocblas_fill_18rocblas_operation_17rocblas_diagonal_iiT3_T4_lilT5_lili.has_indirect_call, 0
	.section	.AMDGPU.csdata,"",@progbits
; Kernel info:
; codeLenInByte = 3068
; TotalNumSgprs: 41
; NumVgprs: 19
; ScratchSize: 528
; MemoryBound: 0
; FloatMode: 240
; IeeeMode: 1
; LDSByteSize: 32768 bytes/workgroup (compile time only)
; SGPRBlocks: 12
; VGPRBlocks: 32
; NumSGPRsForWavesPerEU: 102
; NumVGPRsForWavesPerEU: 129
; Occupancy: 1
; WaveLimiterHint : 0
; COMPUTE_PGM_RSRC2:SCRATCH_EN: 1
; COMPUTE_PGM_RSRC2:USER_SGPR: 6
; COMPUTE_PGM_RSRC2:TRAP_HANDLER: 0
; COMPUTE_PGM_RSRC2:TGID_X_EN: 1
; COMPUTE_PGM_RSRC2:TGID_Y_EN: 0
; COMPUTE_PGM_RSRC2:TGID_Z_EN: 1
; COMPUTE_PGM_RSRC2:TIDIG_COMP_CNT: 0
	.section	.text._ZL30rocblas_trsm_small_left_deviceILi32ELi32ELb0E19rocblas_complex_numIdES1_PKS1_PS1_Ev13rocblas_fill_18rocblas_operation_17rocblas_diagonal_iiT3_T4_lilT5_lili,"axG",@progbits,_ZL30rocblas_trsm_small_left_deviceILi32ELi32ELb0E19rocblas_complex_numIdES1_PKS1_PS1_Ev13rocblas_fill_18rocblas_operation_17rocblas_diagonal_iiT3_T4_lilT5_lili,comdat
	.globl	_ZL30rocblas_trsm_small_left_deviceILi32ELi32ELb0E19rocblas_complex_numIdES1_PKS1_PS1_Ev13rocblas_fill_18rocblas_operation_17rocblas_diagonal_iiT3_T4_lilT5_lili ; -- Begin function _ZL30rocblas_trsm_small_left_deviceILi32ELi32ELb0E19rocblas_complex_numIdES1_PKS1_PS1_Ev13rocblas_fill_18rocblas_operation_17rocblas_diagonal_iiT3_T4_lilT5_lili
	.p2align	8
	.type	_ZL30rocblas_trsm_small_left_deviceILi32ELi32ELb0E19rocblas_complex_numIdES1_PKS1_PS1_Ev13rocblas_fill_18rocblas_operation_17rocblas_diagonal_iiT3_T4_lilT5_lili,@function
_ZL30rocblas_trsm_small_left_deviceILi32ELi32ELb0E19rocblas_complex_numIdES1_PKS1_PS1_Ev13rocblas_fill_18rocblas_operation_17rocblas_diagonal_iiT3_T4_lilT5_lili: ; @_ZL30rocblas_trsm_small_left_deviceILi32ELi32ELb0E19rocblas_complex_numIdES1_PKS1_PS1_Ev13rocblas_fill_18rocblas_operation_17rocblas_diagonal_iiT3_T4_lilT5_lili
; %bb.0:
	s_add_u32 s0, s0, s8
	s_load_dwordx4 s[20:23], s[4:5], 0x4
	s_load_dwordx8 s[12:19], s[4:5], 0x18
	s_load_dwordx4 s[8:11], s[4:5], 0x40
	s_load_dwordx2 s[24:25], s[4:5], 0x50
	s_load_dword s29, s[4:5], 0x70
	s_addc_u32 s1, s1, 0
	s_waitcnt lgkmcnt(0)
	s_min_i32 s28, s22, 32
	v_cmp_gt_i32_e32 vcc, s28, v0
	s_and_saveexec_b64 s[26:27], vcc
	s_cbranch_execz .LBB235_11
; %bb.1:
	s_load_dword s30, s[4:5], 0x38
	s_mul_i32 s9, s9, s7
	s_mul_hi_u32 s22, s8, s7
	s_mul_i32 s8, s8, s7
	v_lshlrev_b32_e32 v3, 4, v0
	s_waitcnt lgkmcnt(0)
	s_ashr_i32 s31, s30, 31
	s_cmpk_eq_i32 s20, 0x71
	s_cselect_b64 vcc, -1, 0
	s_add_i32 s9, s22, s9
	s_lshl_b64 s[8:9], s[8:9], 4
	s_lshl_b64 s[18:19], s[18:19], 4
	s_add_u32 s8, s8, s18
	s_addc_u32 s9, s9, s19
	s_add_u32 s8, s16, s8
	s_addc_u32 s9, s17, s9
	v_mov_b32_e32 v1, s9
	v_add_co_u32_e64 v2, s[8:9], s8, v3
	v_addc_co_u32_e64 v4, s[8:9], 0, v1, s[8:9]
	v_add_co_u32_e64 v1, s[8:9], 8, v2
	s_lshl_b64 s[16:17], s[30:31], 4
	v_addc_co_u32_e64 v2, s[8:9], 0, v4, s[8:9]
	v_mov_b32_e32 v4, s17
	v_mov_b32_e32 v5, v3
	s_mov_b32 s17, s28
.LBB235_2:                              ; =>This Inner Loop Header: Depth=1
	global_load_dwordx4 v[6:9], v[1:2], off offset:-8
	s_add_i32 s17, s17, -1
	v_add_co_u32_e64 v1, s[8:9], s16, v1
	v_addc_co_u32_e64 v2, s[8:9], v2, v4, s[8:9]
	s_cmp_eq_u32 s17, 0
	s_waitcnt vmcnt(0)
	v_xor_b32_e32 v10, 0x80000000, v9
	v_cndmask_b32_e32 v9, v9, v10, vcc
	ds_write_b128 v5, v[6:9]
	v_add_u32_e32 v5, 0x200, v5
	s_cbranch_scc0 .LBB235_2
; %bb.3:
	v_lshlrev_b32_e32 v1, 9, v0
	s_cmpk_lg_i32 s21, 0x84
	v_add_u32_e32 v9, v3, v1
	s_cbranch_scc0 .LBB235_9
; %bb.4:
	ds_read_b128 v[1:4], v9
                                        ; implicit-def: $vgpr7_vgpr8
	s_waitcnt lgkmcnt(0)
	v_cmp_ngt_f64_e64 s[8:9], |v[1:2]|, |v[3:4]|
	s_and_saveexec_b64 s[16:17], s[8:9]
	s_xor_b64 s[8:9], exec, s[16:17]
	s_cbranch_execz .LBB235_6
; %bb.5:
	v_div_scale_f64 v[5:6], s[16:17], v[3:4], v[3:4], v[1:2]
	v_rcp_f64_e32 v[7:8], v[5:6]
	v_fma_f64 v[10:11], -v[5:6], v[7:8], 1.0
	v_fma_f64 v[7:8], v[7:8], v[10:11], v[7:8]
	v_div_scale_f64 v[10:11], vcc, v[1:2], v[3:4], v[1:2]
	v_fma_f64 v[12:13], -v[5:6], v[7:8], 1.0
	v_fma_f64 v[7:8], v[7:8], v[12:13], v[7:8]
	v_mul_f64 v[12:13], v[10:11], v[7:8]
	v_fma_f64 v[5:6], -v[5:6], v[12:13], v[10:11]
	v_div_fmas_f64 v[5:6], v[5:6], v[7:8], v[12:13]
	v_div_fixup_f64 v[5:6], v[5:6], v[3:4], v[1:2]
	v_fma_f64 v[1:2], v[1:2], v[5:6], v[3:4]
	v_div_scale_f64 v[3:4], s[16:17], v[1:2], v[1:2], 1.0
	v_rcp_f64_e32 v[7:8], v[3:4]
	v_fma_f64 v[10:11], -v[3:4], v[7:8], 1.0
	v_fma_f64 v[7:8], v[7:8], v[10:11], v[7:8]
	v_div_scale_f64 v[10:11], vcc, 1.0, v[1:2], 1.0
	v_fma_f64 v[12:13], -v[3:4], v[7:8], 1.0
	v_fma_f64 v[7:8], v[7:8], v[12:13], v[7:8]
	v_mul_f64 v[12:13], v[10:11], v[7:8]
	v_fma_f64 v[3:4], -v[3:4], v[12:13], v[10:11]
	v_div_fmas_f64 v[3:4], v[3:4], v[7:8], v[12:13]
	v_add_f64 v[7:8], v[5:6], 0
	v_div_fixup_f64 v[1:2], v[3:4], v[1:2], 1.0
	v_fma_f64 v[3:4], v[5:6], 0, -1.0
	v_mul_f64 v[5:6], v[7:8], v[1:2]
	v_mul_f64 v[7:8], v[3:4], v[1:2]
                                        ; implicit-def: $vgpr1_vgpr2
.LBB235_6:
	s_andn2_saveexec_b64 s[8:9], s[8:9]
	s_cbranch_execz .LBB235_8
; %bb.7:
	v_div_scale_f64 v[5:6], s[16:17], v[1:2], v[1:2], v[3:4]
	v_rcp_f64_e32 v[7:8], v[5:6]
	v_fma_f64 v[10:11], -v[5:6], v[7:8], 1.0
	v_fma_f64 v[7:8], v[7:8], v[10:11], v[7:8]
	v_div_scale_f64 v[10:11], vcc, v[3:4], v[1:2], v[3:4]
	v_fma_f64 v[12:13], -v[5:6], v[7:8], 1.0
	v_fma_f64 v[7:8], v[7:8], v[12:13], v[7:8]
	v_mul_f64 v[12:13], v[10:11], v[7:8]
	v_fma_f64 v[5:6], -v[5:6], v[12:13], v[10:11]
	v_div_fmas_f64 v[5:6], v[5:6], v[7:8], v[12:13]
	v_div_fixup_f64 v[5:6], v[5:6], v[1:2], v[3:4]
	v_fma_f64 v[1:2], v[3:4], v[5:6], v[1:2]
	v_div_scale_f64 v[3:4], s[16:17], v[1:2], v[1:2], 1.0
	v_rcp_f64_e32 v[7:8], v[3:4]
	v_fma_f64 v[10:11], -v[3:4], v[7:8], 1.0
	v_fma_f64 v[7:8], v[7:8], v[10:11], v[7:8]
	v_div_scale_f64 v[10:11], vcc, 1.0, v[1:2], 1.0
	v_fma_f64 v[12:13], -v[3:4], v[7:8], 1.0
	v_fma_f64 v[7:8], v[7:8], v[12:13], v[7:8]
	v_mul_f64 v[12:13], v[10:11], v[7:8]
	v_fma_f64 v[3:4], -v[3:4], v[12:13], v[10:11]
	v_div_fmas_f64 v[3:4], v[3:4], v[7:8], v[12:13]
	v_fma_f64 v[7:8], v[5:6], 0, 1.0
	v_div_fixup_f64 v[1:2], v[3:4], v[1:2], 1.0
	v_add_f64 v[3:4], -v[5:6], 0
	v_mul_f64 v[5:6], v[7:8], v[1:2]
	v_mul_f64 v[7:8], v[3:4], v[1:2]
.LBB235_8:
	s_or_b64 exec, exec, s[8:9]
	s_branch .LBB235_10
.LBB235_9:
	v_mov_b32_e32 v7, 0
	v_mov_b32_e32 v5, 0
	;; [unrolled: 1-line block ×4, first 2 shown]
.LBB235_10:
	ds_write_b128 v9, v[5:8]
.LBB235_11:
	s_or_b64 exec, exec, s[26:27]
	s_lshl_b32 s8, s6, 5
	s_add_i32 s29, s29, -1
	s_sub_i32 s9, s23, s8
	s_cmp_ge_u32 s6, s29
	s_cselect_b32 s6, s9, 32
	v_cmp_gt_i32_e32 vcc, s6, v0
	s_waitcnt lgkmcnt(0)
	; wave barrier
	s_and_saveexec_b64 s[16:17], vcc
	s_cbranch_execz .LBB235_54
; %bb.12:
	s_load_dwordx2 s[16:17], s[4:5], 0x60
	s_load_dword s6, s[4:5], 0x58
	v_add_u32_e32 v0, s8, v0
	s_waitcnt lgkmcnt(0)
	s_mul_i32 s5, s17, s7
	s_mul_hi_u32 s8, s16, s7
	s_mul_i32 s4, s16, s7
	s_add_i32 s5, s8, s5
	v_mad_i64_i32 v[0:1], s[6:7], s6, v0, 0
	s_lshl_b64 s[4:5], s[4:5], 4
	s_add_u32 s8, s10, s4
	s_addc_u32 s9, s11, s5
	s_lshl_b64 s[6:7], s[24:25], 4
	s_add_u32 s8, s8, s6
	v_lshlrev_b64 v[4:5], 4, v[0:1]
	s_addc_u32 s9, s9, s7
	v_mov_b32_e32 v0, s9
	v_add_co_u32_e32 v8, vcc, s8, v4
	v_addc_co_u32_e32 v9, vcc, v0, v5, vcc
	s_cmpk_eq_i32 s20, 0x6f
	s_mov_b64 s[8:9], -1
	s_cbranch_scc1 .LBB235_34
; %bb.13:
	s_add_u32 s8, s10, s6
	s_addc_u32 s9, s11, s7
	s_add_u32 s8, s8, s4
	s_addc_u32 s9, s9, s5
	v_mov_b32_e32 v0, s9
	v_add_co_u32_e32 v1, vcc, s8, v4
	v_addc_co_u32_e32 v0, vcc, v0, v5, vcc
	v_add_co_u32_e32 v10, vcc, 8, v1
	s_mov_b32 s9, 0
	v_addc_co_u32_e32 v11, vcc, 0, v0, vcc
	s_mov_b32 s16, s9
	s_mov_b32 s18, s9
	s_branch .LBB235_15
.LBB235_14:                             ;   in Loop: Header=BB235_15 Depth=1
	s_cmp_ge_i32 s18, s28
	s_cselect_b64 s[20:21], -1, 0
	s_add_i32 s16, s16, 1
	s_cmp_eq_u32 s16, 3
	s_cselect_b64 s[22:23], -1, 0
	s_or_b64 s[20:21], s[20:21], s[22:23]
	s_andn2_b64 vcc, exec, s[20:21]
	s_cbranch_vccz .LBB235_33
.LBB235_15:                             ; =>This Loop Header: Depth=1
                                        ;     Child Loop BB235_18 Depth 2
                                        ;       Child Loop BB235_19 Depth 3
                                        ;       Child Loop BB235_22 Depth 3
                                        ;         Child Loop BB235_23 Depth 4
                                        ;       Child Loop BB235_27 Depth 3
                                        ;         Child Loop BB235_29 Depth 4
	s_mov_b32 s17, s9
	s_lshl_b64 s[20:21], s[16:17], 2
	s_getpc_b64 s[22:23]
	s_add_u32 s22, s22, __const._ZL30rocblas_trsm_small_left_deviceILi32ELi32ELb0E19rocblas_complex_numIdES1_PKS1_PS1_Ev13rocblas_fill_18rocblas_operation_17rocblas_diagonal_iiT3_T4_lilT5_lili.step_sizes@rel32@lo+4
	s_addc_u32 s23, s23, __const._ZL30rocblas_trsm_small_left_deviceILi32ELi32ELb0E19rocblas_complex_numIdES1_PKS1_PS1_Ev13rocblas_fill_18rocblas_operation_17rocblas_diagonal_iiT3_T4_lilT5_lili.step_sizes@rel32@hi+12
	s_add_u32 s20, s22, s20
	s_addc_u32 s21, s23, s21
	s_load_dword s20, s[20:21], 0x0
	s_waitcnt lgkmcnt(0)
	s_add_i32 s17, s20, -1
	s_add_i32 s8, s17, s18
	s_cmp_ge_i32 s8, s28
	s_cbranch_scc1 .LBB235_14
; %bb.16:                               ;   in Loop: Header=BB235_15 Depth=1
	s_ashr_i32 s19, s18, 31
	s_lshl_b64 s[22:23], s[18:19], 4
	s_ashr_i32 s21, s20, 31
	v_mov_b32_e32 v0, s23
	v_add_co_u32_e32 v6, vcc, s22, v10
	s_lshl_b64 s[22:23], s[20:21], 4
	s_max_i32 s29, s20, 1
	v_addc_co_u32_e32 v7, vcc, v11, v0, vcc
	s_lshl_b32 s19, s18, 9
	s_lshl_b32 s21, s20, 9
	s_mul_i32 s30, s18, 0x210
	s_mul_i32 s31, s20, 0x210
	v_mov_b32_e32 v12, s23
	s_branch .LBB235_18
.LBB235_17:                             ;   in Loop: Header=BB235_18 Depth=2
	s_add_i32 s18, s18, s20
	s_add_i32 s8, s17, s18
	;; [unrolled: 1-line block ×4, first 2 shown]
	v_add_co_u32_e32 v6, vcc, s22, v6
	s_cmp_ge_i32 s8, s28
	v_addc_co_u32_e32 v7, vcc, v7, v12, vcc
	s_cbranch_scc1 .LBB235_14
.LBB235_18:                             ;   Parent Loop BB235_15 Depth=1
                                        ; =>  This Loop Header: Depth=2
                                        ;       Child Loop BB235_19 Depth 3
                                        ;       Child Loop BB235_22 Depth 3
                                        ;         Child Loop BB235_23 Depth 4
                                        ;       Child Loop BB235_27 Depth 3
                                        ;         Child Loop BB235_29 Depth 4
	v_mov_b32_e32 v0, v6
	s_mov_b32 s8, 0
	v_mov_b32_e32 v1, v7
	s_mov_b32 s23, s29
.LBB235_19:                             ;   Parent Loop BB235_15 Depth=1
                                        ;     Parent Loop BB235_18 Depth=2
                                        ; =>    This Inner Loop Header: Depth=3
	global_load_dwordx4 v[13:16], v[0:1], off offset:-8
	v_mov_b32_e32 v17, s8
	s_add_i32 s23, s23, -1
	v_add_co_u32_e32 v0, vcc, 16, v0
	s_add_i32 s8, s8, 16
	v_addc_co_u32_e32 v1, vcc, 0, v1, vcc
	s_cmp_eq_u32 s23, 0
	s_waitcnt vmcnt(0)
	v_mul_f64 v[2:3], s[14:15], v[15:16]
	v_mul_f64 v[15:16], s[12:13], v[15:16]
	v_fma_f64 v[2:3], s[12:13], v[13:14], -v[2:3]
	v_fma_f64 v[13:14], s[14:15], v[13:14], v[15:16]
	buffer_store_dword v3, v17, s[0:3], 0 offen offset:4
	buffer_store_dword v2, v17, s[0:3], 0 offen
	buffer_store_dword v14, v17, s[0:3], 0 offen offset:12
	buffer_store_dword v13, v17, s[0:3], 0 offen offset:8
	s_cbranch_scc0 .LBB235_19
; %bb.20:                               ;   in Loop: Header=BB235_18 Depth=2
	s_cmp_lt_i32 s18, 1
	s_cbranch_scc1 .LBB235_25
; %bb.21:                               ;   in Loop: Header=BB235_18 Depth=2
	s_mov_b32 s8, 0
	s_mov_b32 s23, s19
.LBB235_22:                             ;   Parent Loop BB235_15 Depth=1
                                        ;     Parent Loop BB235_18 Depth=2
                                        ; =>    This Loop Header: Depth=3
                                        ;         Child Loop BB235_23 Depth 4
	s_lshl_b64 s[24:25], s[8:9], 4
	v_mov_b32_e32 v1, s25
	v_add_co_u32_e32 v0, vcc, s24, v8
	v_addc_co_u32_e32 v1, vcc, v9, v1, vcc
	global_load_dwordx4 v[0:3], v[0:1], off
	s_mov_b32 s24, 0
	s_mov_b32 s25, s23
	;; [unrolled: 1-line block ×3, first 2 shown]
.LBB235_23:                             ;   Parent Loop BB235_15 Depth=1
                                        ;     Parent Loop BB235_18 Depth=2
                                        ;       Parent Loop BB235_22 Depth=3
                                        ; =>      This Inner Loop Header: Depth=4
	v_mov_b32_e32 v23, s24
	buffer_load_dword v17, v23, s[0:3], 0 offen
	buffer_load_dword v18, v23, s[0:3], 0 offen offset:4
	buffer_load_dword v19, v23, s[0:3], 0 offen offset:8
	;; [unrolled: 1-line block ×3, first 2 shown]
	v_mov_b32_e32 v13, s25
	ds_read_b128 v[13:16], v13
	s_add_i32 s26, s26, -1
	s_addk_i32 s25, 0x200
	s_add_i32 s24, s24, 16
	s_cmp_eq_u32 s26, 0
	s_waitcnt vmcnt(4) lgkmcnt(0)
	v_mul_f64 v[21:22], v[2:3], v[15:16]
	v_mul_f64 v[15:16], v[0:1], v[15:16]
	v_fma_f64 v[21:22], v[0:1], v[13:14], -v[21:22]
	v_fma_f64 v[13:14], v[2:3], v[13:14], v[15:16]
	s_waitcnt vmcnt(2)
	v_add_f64 v[15:16], v[17:18], -v[21:22]
	s_waitcnt vmcnt(0)
	v_add_f64 v[13:14], v[19:20], -v[13:14]
	buffer_store_dword v15, v23, s[0:3], 0 offen
	buffer_store_dword v16, v23, s[0:3], 0 offen offset:4
	buffer_store_dword v13, v23, s[0:3], 0 offen offset:8
	buffer_store_dword v14, v23, s[0:3], 0 offen offset:12
	s_cbranch_scc0 .LBB235_23
; %bb.24:                               ;   in Loop: Header=BB235_22 Depth=3
	s_add_i32 s8, s8, 1
	s_add_i32 s23, s23, 16
	s_cmp_eq_u32 s8, s18
	s_cbranch_scc0 .LBB235_22
.LBB235_25:                             ;   in Loop: Header=BB235_18 Depth=2
	s_mov_b32 s8, 0
	s_mov_b32 s23, s30
	s_branch .LBB235_27
.LBB235_26:                             ;   in Loop: Header=BB235_27 Depth=3
	s_mul_i32 s25, s24, 0x210
	v_mov_b32_e32 v13, s25
	ds_read_b128 v[13:16], v13
	s_ashr_i32 s25, s24, 31
	s_lshl_b64 s[24:25], s[24:25], 4
	s_lshl_b32 s26, s8, 4
	s_add_i32 s8, s8, 1
	s_waitcnt vmcnt(0) lgkmcnt(0)
	v_mul_f64 v[17:18], v[15:16], v[2:3]
	v_mul_f64 v[2:3], v[13:14], v[2:3]
	s_addk_i32 s23, 0x200
	v_mov_b32_e32 v19, s26
	s_cmp_eq_u32 s8, s29
	v_fma_f64 v[13:14], v[13:14], v[0:1], -v[17:18]
	v_fma_f64 v[15:16], v[15:16], v[0:1], v[2:3]
	v_mov_b32_e32 v17, s25
	v_add_co_u32_e32 v0, vcc, s24, v8
	v_addc_co_u32_e32 v1, vcc, v9, v17, vcc
	buffer_store_dword v14, v19, s[0:3], 0 offen offset:4
	buffer_store_dword v13, v19, s[0:3], 0 offen
	buffer_store_dword v16, v19, s[0:3], 0 offen offset:12
	buffer_store_dword v15, v19, s[0:3], 0 offen offset:8
	global_store_dwordx4 v[0:1], v[13:16], off
	s_cbranch_scc1 .LBB235_17
.LBB235_27:                             ;   Parent Loop BB235_15 Depth=1
                                        ;     Parent Loop BB235_18 Depth=2
                                        ; =>    This Loop Header: Depth=3
                                        ;         Child Loop BB235_29 Depth 4
	s_cmp_lg_u32 s8, 0
	s_cbranch_scc0 .LBB235_31
; %bb.28:                               ;   in Loop: Header=BB235_27 Depth=3
	s_lshl_b32 s24, s8, 4
	v_mov_b32_e32 v13, s24
	buffer_load_dword v0, v13, s[0:3], 0 offen
	buffer_load_dword v1, v13, s[0:3], 0 offen offset:4
	buffer_load_dword v2, v13, s[0:3], 0 offen offset:8
	;; [unrolled: 1-line block ×3, first 2 shown]
	s_add_i32 s24, s8, s18
	s_mov_b32 s25, 0
	s_mov_b32 s26, s23
	;; [unrolled: 1-line block ×3, first 2 shown]
.LBB235_29:                             ;   Parent Loop BB235_15 Depth=1
                                        ;     Parent Loop BB235_18 Depth=2
                                        ;       Parent Loop BB235_27 Depth=3
                                        ; =>      This Inner Loop Header: Depth=4
	v_mov_b32_e32 v14, s25
	buffer_load_dword v18, v14, s[0:3], 0 offen offset:8
	buffer_load_dword v19, v14, s[0:3], 0 offen offset:12
	buffer_load_dword v20, v14, s[0:3], 0 offen
	buffer_load_dword v21, v14, s[0:3], 0 offen offset:4
	v_mov_b32_e32 v14, s26
	ds_read_b128 v[14:17], v14
	s_add_i32 s27, s27, -1
	s_add_i32 s25, s25, 16
	s_add_i32 s26, s26, 16
	s_cmp_eq_u32 s27, 0
	s_waitcnt vmcnt(2) lgkmcnt(0)
	v_mul_f64 v[22:23], v[16:17], v[18:19]
	v_mul_f64 v[18:19], v[14:15], v[18:19]
	s_waitcnt vmcnt(0)
	v_fma_f64 v[14:15], v[14:15], v[20:21], -v[22:23]
	v_fma_f64 v[16:17], v[16:17], v[20:21], v[18:19]
	v_add_f64 v[0:1], v[0:1], -v[14:15]
	v_add_f64 v[2:3], v[2:3], -v[16:17]
	buffer_store_dword v0, v13, s[0:3], 0 offen
	buffer_store_dword v1, v13, s[0:3], 0 offen offset:4
	buffer_store_dword v2, v13, s[0:3], 0 offen offset:8
	;; [unrolled: 1-line block ×3, first 2 shown]
	s_cbranch_scc0 .LBB235_29
; %bb.30:                               ;   in Loop: Header=BB235_27 Depth=3
	s_branch .LBB235_26
.LBB235_31:                             ;   in Loop: Header=BB235_27 Depth=3
                                        ; implicit-def: $vgpr0_vgpr1
                                        ; implicit-def: $vgpr2_vgpr3
                                        ; implicit-def: $sgpr24
	s_cbranch_execz .LBB235_26
; %bb.32:                               ;   in Loop: Header=BB235_27 Depth=3
	buffer_load_dword v0, off, s[0:3], 0
	buffer_load_dword v1, off, s[0:3], 0 offset:4
	buffer_load_dword v2, off, s[0:3], 0 offset:8
	;; [unrolled: 1-line block ×3, first 2 shown]
	s_mov_b32 s24, s18
	s_branch .LBB235_26
.LBB235_33:
	s_mov_b64 s[8:9], 0
.LBB235_34:
	s_and_b64 vcc, exec, s[8:9]
	s_cbranch_vccz .LBB235_54
; %bb.35:
	s_add_i32 s18, s28, -1
	s_add_u32 s6, s10, s6
	s_addc_u32 s7, s11, s7
	s_add_u32 s4, s6, s4
	s_addc_u32 s5, s7, s5
	v_mov_b32_e32 v0, s5
	v_add_co_u32_e32 v1, vcc, s4, v4
	v_addc_co_u32_e32 v0, vcc, v0, v5, vcc
	v_add_co_u32_e32 v4, vcc, 8, v1
	s_lshl_b32 s19, s28, 9
	s_mov_b32 s5, 0
	v_addc_co_u32_e32 v5, vcc, 0, v0, vcc
	s_addk_i32 s19, 0xfe00
	s_mov_b32 s6, s18
	s_mov_b32 s4, s5
	s_branch .LBB235_37
.LBB235_36:                             ;   in Loop: Header=BB235_37 Depth=1
	s_cmp_lt_i32 s6, 0
	s_cselect_b64 s[8:9], -1, 0
	s_add_i32 s4, s4, 1
	s_cmp_eq_u32 s4, 3
	s_cselect_b64 s[10:11], -1, 0
	s_or_b64 s[8:9], s[8:9], s[10:11]
	s_and_b64 vcc, exec, s[8:9]
	s_cbranch_vccnz .LBB235_54
.LBB235_37:                             ; =>This Loop Header: Depth=1
                                        ;     Child Loop BB235_40 Depth 2
                                        ;       Child Loop BB235_41 Depth 3
                                        ;       Child Loop BB235_43 Depth 3
                                        ;         Child Loop BB235_44 Depth 4
                                        ;       Child Loop BB235_48 Depth 3
                                        ;         Child Loop BB235_50 Depth 4
	s_lshl_b64 s[8:9], s[4:5], 2
	s_getpc_b64 s[10:11]
	s_add_u32 s10, s10, __const._ZL30rocblas_trsm_small_left_deviceILi32ELi32ELb0E19rocblas_complex_numIdES1_PKS1_PS1_Ev13rocblas_fill_18rocblas_operation_17rocblas_diagonal_iiT3_T4_lilT5_lili.step_sizes@rel32@lo+4
	s_addc_u32 s11, s11, __const._ZL30rocblas_trsm_small_left_deviceILi32ELi32ELb0E19rocblas_complex_numIdES1_PKS1_PS1_Ev13rocblas_fill_18rocblas_operation_17rocblas_diagonal_iiT3_T4_lilT5_lili.step_sizes@rel32@hi+12
	s_add_u32 s8, s10, s8
	s_addc_u32 s9, s11, s9
	s_load_dword s20, s[8:9], 0x0
	s_waitcnt lgkmcnt(0)
	s_add_i32 s21, s20, -1
	s_cmp_lt_i32 s6, s21
	s_cbranch_scc1 .LBB235_36
; %bb.38:                               ;   in Loop: Header=BB235_37 Depth=1
	s_lshl_b32 s7, s6, 4
	s_add_i32 s23, s19, s7
	s_lshl_b32 s7, s20, 4
	s_max_i32 s22, s20, 1
	s_sub_i32 s24, 0, s7
	s_mul_i32 s25, s6, 0x210
	s_mul_i32 s26, s20, 0xfffffdf0
	s_branch .LBB235_40
.LBB235_39:                             ;   in Loop: Header=BB235_40 Depth=2
	s_sub_i32 s6, s6, s20
	s_add_i32 s23, s23, s24
	s_add_i32 s25, s25, s26
	s_cmp_lt_i32 s6, s21
	s_cbranch_scc1 .LBB235_36
.LBB235_40:                             ;   Parent Loop BB235_37 Depth=1
                                        ; =>  This Loop Header: Depth=2
                                        ;       Child Loop BB235_41 Depth 3
                                        ;       Child Loop BB235_43 Depth 3
                                        ;         Child Loop BB235_44 Depth 4
                                        ;       Child Loop BB235_48 Depth 3
                                        ;         Child Loop BB235_50 Depth 4
	s_ashr_i32 s7, s6, 31
	s_lshl_b64 s[8:9], s[6:7], 4
	v_mov_b32_e32 v1, s9
	v_add_co_u32_e32 v0, vcc, s8, v4
	v_addc_co_u32_e32 v1, vcc, v5, v1, vcc
	s_mov_b32 s8, 0
	s_mov_b32 s9, s22
.LBB235_41:                             ;   Parent Loop BB235_37 Depth=1
                                        ;     Parent Loop BB235_40 Depth=2
                                        ; =>    This Inner Loop Header: Depth=3
	global_load_dwordx4 v[10:13], v[0:1], off offset:-8
	s_add_i32 s9, s9, -1
	v_add_co_u32_e32 v0, vcc, -16, v0
	v_addc_co_u32_e32 v1, vcc, -1, v1, vcc
	s_waitcnt vmcnt(0)
	v_mul_f64 v[2:3], s[14:15], v[12:13]
	v_mul_f64 v[6:7], s[12:13], v[12:13]
	v_mov_b32_e32 v12, s8
	s_add_i32 s8, s8, 16
	s_cmp_eq_u32 s9, 0
	v_fma_f64 v[2:3], s[12:13], v[10:11], -v[2:3]
	v_fma_f64 v[6:7], s[14:15], v[10:11], v[6:7]
	buffer_store_dword v3, v12, s[0:3], 0 offen offset:4
	buffer_store_dword v2, v12, s[0:3], 0 offen
	buffer_store_dword v7, v12, s[0:3], 0 offen offset:12
	buffer_store_dword v6, v12, s[0:3], 0 offen offset:8
	s_cbranch_scc0 .LBB235_41
; %bb.42:                               ;   in Loop: Header=BB235_40 Depth=2
	s_cmp_le_i32 s18, s6
	s_mov_b32 s10, s23
	s_mov_b32 s8, s18
	s_cbranch_scc1 .LBB235_46
.LBB235_43:                             ;   Parent Loop BB235_37 Depth=1
                                        ;     Parent Loop BB235_40 Depth=2
                                        ; =>    This Loop Header: Depth=3
                                        ;         Child Loop BB235_44 Depth 4
	s_ashr_i32 s9, s8, 31
	s_lshl_b64 s[16:17], s[8:9], 4
	v_mov_b32_e32 v1, s17
	v_add_co_u32_e32 v0, vcc, s16, v8
	v_addc_co_u32_e32 v1, vcc, v9, v1, vcc
	global_load_dwordx4 v[0:3], v[0:1], off
	s_mov_b32 s9, 0
	s_mov_b32 s11, s10
	;; [unrolled: 1-line block ×3, first 2 shown]
.LBB235_44:                             ;   Parent Loop BB235_37 Depth=1
                                        ;     Parent Loop BB235_40 Depth=2
                                        ;       Parent Loop BB235_43 Depth=3
                                        ; =>      This Inner Loop Header: Depth=4
	v_mov_b32_e32 v18, s9
	buffer_load_dword v6, v18, s[0:3], 0 offen
	buffer_load_dword v7, v18, s[0:3], 0 offen offset:4
	buffer_load_dword v14, v18, s[0:3], 0 offen offset:8
	buffer_load_dword v15, v18, s[0:3], 0 offen offset:12
	v_mov_b32_e32 v10, s11
	ds_read_b128 v[10:13], v10
	s_add_i32 s16, s16, -1
	s_add_i32 s11, s11, -16
	s_add_i32 s9, s9, 16
	s_cmp_eq_u32 s16, 0
	s_waitcnt vmcnt(4) lgkmcnt(0)
	v_mul_f64 v[16:17], v[2:3], v[12:13]
	v_mul_f64 v[12:13], v[0:1], v[12:13]
	v_fma_f64 v[16:17], v[0:1], v[10:11], -v[16:17]
	v_fma_f64 v[10:11], v[2:3], v[10:11], v[12:13]
	s_waitcnt vmcnt(2)
	v_add_f64 v[6:7], v[6:7], -v[16:17]
	s_waitcnt vmcnt(0)
	v_add_f64 v[10:11], v[14:15], -v[10:11]
	buffer_store_dword v6, v18, s[0:3], 0 offen
	buffer_store_dword v7, v18, s[0:3], 0 offen offset:4
	buffer_store_dword v10, v18, s[0:3], 0 offen offset:8
	;; [unrolled: 1-line block ×3, first 2 shown]
	s_cbranch_scc0 .LBB235_44
; %bb.45:                               ;   in Loop: Header=BB235_43 Depth=3
	s_add_i32 s8, s8, -1
	s_addk_i32 s10, 0xfe00
	s_cmp_le_i32 s8, s6
	s_cbranch_scc0 .LBB235_43
.LBB235_46:                             ;   in Loop: Header=BB235_40 Depth=2
	s_mov_b32 s27, 0
	s_mov_b32 s28, s25
	s_branch .LBB235_48
.LBB235_47:                             ;   in Loop: Header=BB235_48 Depth=3
	s_mulk_i32 s10, 0x210
	v_mov_b32_e32 v6, s10
	ds_read_b128 v[10:13], v6
	s_lshl_b64 s[8:9], s[8:9], 4
	s_lshl_b32 s10, s27, 4
	s_add_i32 s27, s27, 1
	s_add_i32 s28, s28, -16
	s_waitcnt vmcnt(0) lgkmcnt(0)
	v_mul_f64 v[6:7], v[12:13], v[2:3]
	v_mul_f64 v[2:3], v[10:11], v[2:3]
	v_mov_b32_e32 v14, s10
	s_cmp_eq_u32 s27, s22
	v_fma_f64 v[10:11], v[10:11], v[0:1], -v[6:7]
	v_fma_f64 v[12:13], v[12:13], v[0:1], v[2:3]
	v_mov_b32_e32 v6, s9
	v_add_co_u32_e32 v0, vcc, s8, v8
	v_addc_co_u32_e32 v1, vcc, v9, v6, vcc
	buffer_store_dword v11, v14, s[0:3], 0 offen offset:4
	buffer_store_dword v10, v14, s[0:3], 0 offen
	buffer_store_dword v13, v14, s[0:3], 0 offen offset:12
	buffer_store_dword v12, v14, s[0:3], 0 offen offset:8
	global_store_dwordx4 v[0:1], v[10:13], off
	s_cbranch_scc1 .LBB235_39
.LBB235_48:                             ;   Parent Loop BB235_37 Depth=1
                                        ;     Parent Loop BB235_40 Depth=2
                                        ; =>    This Loop Header: Depth=3
                                        ;         Child Loop BB235_50 Depth 4
	s_cmp_lg_u32 s27, 0
	s_cbranch_scc0 .LBB235_52
; %bb.49:                               ;   in Loop: Header=BB235_48 Depth=3
	s_lshl_b32 s8, s27, 4
	v_mov_b32_e32 v6, s8
	buffer_load_dword v0, v6, s[0:3], 0 offen
	buffer_load_dword v1, v6, s[0:3], 0 offen offset:4
	buffer_load_dword v2, v6, s[0:3], 0 offen offset:8
	;; [unrolled: 1-line block ×3, first 2 shown]
	s_mov_b32 s8, 0
	s_mov_b32 s9, s28
	;; [unrolled: 1-line block ×3, first 2 shown]
.LBB235_50:                             ;   Parent Loop BB235_37 Depth=1
                                        ;     Parent Loop BB235_40 Depth=2
                                        ;       Parent Loop BB235_48 Depth=3
                                        ; =>      This Inner Loop Header: Depth=4
	v_mov_b32_e32 v7, s8
	buffer_load_dword v14, v7, s[0:3], 0 offen offset:8
	buffer_load_dword v15, v7, s[0:3], 0 offen offset:12
	buffer_load_dword v16, v7, s[0:3], 0 offen
	buffer_load_dword v17, v7, s[0:3], 0 offen offset:4
	v_mov_b32_e32 v7, s9
	ds_read_b128 v[10:13], v7
	s_add_i32 s10, s10, -1
	s_addk_i32 s9, 0xfe00
	s_add_i32 s8, s8, 16
	s_cmp_eq_u32 s10, 0
	s_waitcnt vmcnt(2) lgkmcnt(0)
	v_mul_f64 v[18:19], v[12:13], v[14:15]
	v_mul_f64 v[14:15], v[10:11], v[14:15]
	s_waitcnt vmcnt(0)
	v_fma_f64 v[10:11], v[10:11], v[16:17], -v[18:19]
	v_fma_f64 v[12:13], v[12:13], v[16:17], v[14:15]
	v_add_f64 v[0:1], v[0:1], -v[10:11]
	v_add_f64 v[2:3], v[2:3], -v[12:13]
	buffer_store_dword v0, v6, s[0:3], 0 offen
	buffer_store_dword v1, v6, s[0:3], 0 offen offset:4
	buffer_store_dword v2, v6, s[0:3], 0 offen offset:8
	;; [unrolled: 1-line block ×3, first 2 shown]
	s_cbranch_scc0 .LBB235_50
; %bb.51:                               ;   in Loop: Header=BB235_48 Depth=3
	s_sub_i32 s10, s6, s27
	s_ashr_i32 s11, s10, 31
	s_mov_b64 s[8:9], s[10:11]
	s_branch .LBB235_47
.LBB235_52:                             ;   in Loop: Header=BB235_48 Depth=3
                                        ; implicit-def: $vgpr0_vgpr1
                                        ; implicit-def: $vgpr2_vgpr3
                                        ; implicit-def: $sgpr10
                                        ; implicit-def: $sgpr8_sgpr9
	s_cbranch_execz .LBB235_47
; %bb.53:                               ;   in Loop: Header=BB235_48 Depth=3
	buffer_load_dword v0, off, s[0:3], 0
	buffer_load_dword v1, off, s[0:3], 0 offset:4
	buffer_load_dword v2, off, s[0:3], 0 offset:8
	;; [unrolled: 1-line block ×3, first 2 shown]
	s_mov_b64 s[8:9], s[6:7]
	s_mov_b32 s10, s6
	s_branch .LBB235_47
.LBB235_54:
	s_endpgm
	.section	.rodata,"a",@progbits
	.p2align	6, 0x0
	.amdhsa_kernel _ZL30rocblas_trsm_small_left_deviceILi32ELi32ELb0E19rocblas_complex_numIdES1_PKS1_PS1_Ev13rocblas_fill_18rocblas_operation_17rocblas_diagonal_iiT3_T4_lilT5_lili
		.amdhsa_group_segment_fixed_size 16384
		.amdhsa_private_segment_fixed_size 528
		.amdhsa_kernarg_size 368
		.amdhsa_user_sgpr_count 6
		.amdhsa_user_sgpr_private_segment_buffer 1
		.amdhsa_user_sgpr_dispatch_ptr 0
		.amdhsa_user_sgpr_queue_ptr 0
		.amdhsa_user_sgpr_kernarg_segment_ptr 1
		.amdhsa_user_sgpr_dispatch_id 0
		.amdhsa_user_sgpr_flat_scratch_init 0
		.amdhsa_user_sgpr_private_segment_size 0
		.amdhsa_uses_dynamic_stack 0
		.amdhsa_system_sgpr_private_segment_wavefront_offset 1
		.amdhsa_system_sgpr_workgroup_id_x 1
		.amdhsa_system_sgpr_workgroup_id_y 0
		.amdhsa_system_sgpr_workgroup_id_z 1
		.amdhsa_system_sgpr_workgroup_info 0
		.amdhsa_system_vgpr_workitem_id 0
		.amdhsa_next_free_vgpr 129
		.amdhsa_next_free_sgpr 98
		.amdhsa_reserve_vcc 1
		.amdhsa_reserve_flat_scratch 0
		.amdhsa_float_round_mode_32 0
		.amdhsa_float_round_mode_16_64 0
		.amdhsa_float_denorm_mode_32 3
		.amdhsa_float_denorm_mode_16_64 3
		.amdhsa_dx10_clamp 1
		.amdhsa_ieee_mode 1
		.amdhsa_fp16_overflow 0
		.amdhsa_exception_fp_ieee_invalid_op 0
		.amdhsa_exception_fp_denorm_src 0
		.amdhsa_exception_fp_ieee_div_zero 0
		.amdhsa_exception_fp_ieee_overflow 0
		.amdhsa_exception_fp_ieee_underflow 0
		.amdhsa_exception_fp_ieee_inexact 0
		.amdhsa_exception_int_div_zero 0
	.end_amdhsa_kernel
	.section	.text._ZL30rocblas_trsm_small_left_deviceILi32ELi32ELb0E19rocblas_complex_numIdES1_PKS1_PS1_Ev13rocblas_fill_18rocblas_operation_17rocblas_diagonal_iiT3_T4_lilT5_lili,"axG",@progbits,_ZL30rocblas_trsm_small_left_deviceILi32ELi32ELb0E19rocblas_complex_numIdES1_PKS1_PS1_Ev13rocblas_fill_18rocblas_operation_17rocblas_diagonal_iiT3_T4_lilT5_lili,comdat
.Lfunc_end235:
	.size	_ZL30rocblas_trsm_small_left_deviceILi32ELi32ELb0E19rocblas_complex_numIdES1_PKS1_PS1_Ev13rocblas_fill_18rocblas_operation_17rocblas_diagonal_iiT3_T4_lilT5_lili, .Lfunc_end235-_ZL30rocblas_trsm_small_left_deviceILi32ELi32ELb0E19rocblas_complex_numIdES1_PKS1_PS1_Ev13rocblas_fill_18rocblas_operation_17rocblas_diagonal_iiT3_T4_lilT5_lili
                                        ; -- End function
	.set _ZL30rocblas_trsm_small_left_deviceILi32ELi32ELb0E19rocblas_complex_numIdES1_PKS1_PS1_Ev13rocblas_fill_18rocblas_operation_17rocblas_diagonal_iiT3_T4_lilT5_lili.num_vgpr, 24
	.set _ZL30rocblas_trsm_small_left_deviceILi32ELi32ELb0E19rocblas_complex_numIdES1_PKS1_PS1_Ev13rocblas_fill_18rocblas_operation_17rocblas_diagonal_iiT3_T4_lilT5_lili.num_agpr, 0
	.set _ZL30rocblas_trsm_small_left_deviceILi32ELi32ELb0E19rocblas_complex_numIdES1_PKS1_PS1_Ev13rocblas_fill_18rocblas_operation_17rocblas_diagonal_iiT3_T4_lilT5_lili.numbered_sgpr, 32
	.set _ZL30rocblas_trsm_small_left_deviceILi32ELi32ELb0E19rocblas_complex_numIdES1_PKS1_PS1_Ev13rocblas_fill_18rocblas_operation_17rocblas_diagonal_iiT3_T4_lilT5_lili.num_named_barrier, 0
	.set _ZL30rocblas_trsm_small_left_deviceILi32ELi32ELb0E19rocblas_complex_numIdES1_PKS1_PS1_Ev13rocblas_fill_18rocblas_operation_17rocblas_diagonal_iiT3_T4_lilT5_lili.private_seg_size, 528
	.set _ZL30rocblas_trsm_small_left_deviceILi32ELi32ELb0E19rocblas_complex_numIdES1_PKS1_PS1_Ev13rocblas_fill_18rocblas_operation_17rocblas_diagonal_iiT3_T4_lilT5_lili.uses_vcc, 1
	.set _ZL30rocblas_trsm_small_left_deviceILi32ELi32ELb0E19rocblas_complex_numIdES1_PKS1_PS1_Ev13rocblas_fill_18rocblas_operation_17rocblas_diagonal_iiT3_T4_lilT5_lili.uses_flat_scratch, 0
	.set _ZL30rocblas_trsm_small_left_deviceILi32ELi32ELb0E19rocblas_complex_numIdES1_PKS1_PS1_Ev13rocblas_fill_18rocblas_operation_17rocblas_diagonal_iiT3_T4_lilT5_lili.has_dyn_sized_stack, 0
	.set _ZL30rocblas_trsm_small_left_deviceILi32ELi32ELb0E19rocblas_complex_numIdES1_PKS1_PS1_Ev13rocblas_fill_18rocblas_operation_17rocblas_diagonal_iiT3_T4_lilT5_lili.has_recursion, 0
	.set _ZL30rocblas_trsm_small_left_deviceILi32ELi32ELb0E19rocblas_complex_numIdES1_PKS1_PS1_Ev13rocblas_fill_18rocblas_operation_17rocblas_diagonal_iiT3_T4_lilT5_lili.has_indirect_call, 0
	.section	.AMDGPU.csdata,"",@progbits
; Kernel info:
; codeLenInByte = 2936
; TotalNumSgprs: 36
; NumVgprs: 24
; ScratchSize: 528
; MemoryBound: 0
; FloatMode: 240
; IeeeMode: 1
; LDSByteSize: 16384 bytes/workgroup (compile time only)
; SGPRBlocks: 12
; VGPRBlocks: 32
; NumSGPRsForWavesPerEU: 102
; NumVGPRsForWavesPerEU: 129
; Occupancy: 1
; WaveLimiterHint : 0
; COMPUTE_PGM_RSRC2:SCRATCH_EN: 1
; COMPUTE_PGM_RSRC2:USER_SGPR: 6
; COMPUTE_PGM_RSRC2:TRAP_HANDLER: 0
; COMPUTE_PGM_RSRC2:TGID_X_EN: 1
; COMPUTE_PGM_RSRC2:TGID_Y_EN: 0
; COMPUTE_PGM_RSRC2:TGID_Z_EN: 1
; COMPUTE_PGM_RSRC2:TIDIG_COMP_CNT: 0
	.section	.text._ZL38rocblas_trsm_small_left_device_sharedBILi32ELi32ELb1E19rocblas_complex_numIdES1_PKS1_PS1_Ev13rocblas_fill_18rocblas_operation_17rocblas_diagonal_iiT3_T4_lilT5_lili,"axG",@progbits,_ZL38rocblas_trsm_small_left_device_sharedBILi32ELi32ELb1E19rocblas_complex_numIdES1_PKS1_PS1_Ev13rocblas_fill_18rocblas_operation_17rocblas_diagonal_iiT3_T4_lilT5_lili,comdat
	.globl	_ZL38rocblas_trsm_small_left_device_sharedBILi32ELi32ELb1E19rocblas_complex_numIdES1_PKS1_PS1_Ev13rocblas_fill_18rocblas_operation_17rocblas_diagonal_iiT3_T4_lilT5_lili ; -- Begin function _ZL38rocblas_trsm_small_left_device_sharedBILi32ELi32ELb1E19rocblas_complex_numIdES1_PKS1_PS1_Ev13rocblas_fill_18rocblas_operation_17rocblas_diagonal_iiT3_T4_lilT5_lili
	.p2align	8
	.type	_ZL38rocblas_trsm_small_left_device_sharedBILi32ELi32ELb1E19rocblas_complex_numIdES1_PKS1_PS1_Ev13rocblas_fill_18rocblas_operation_17rocblas_diagonal_iiT3_T4_lilT5_lili,@function
_ZL38rocblas_trsm_small_left_device_sharedBILi32ELi32ELb1E19rocblas_complex_numIdES1_PKS1_PS1_Ev13rocblas_fill_18rocblas_operation_17rocblas_diagonal_iiT3_T4_lilT5_lili: ; @_ZL38rocblas_trsm_small_left_device_sharedBILi32ELi32ELb1E19rocblas_complex_numIdES1_PKS1_PS1_Ev13rocblas_fill_18rocblas_operation_17rocblas_diagonal_iiT3_T4_lilT5_lili
; %bb.0:
	s_add_u32 s0, s0, s8
	s_load_dwordx4 s[20:23], s[4:5], 0x4
	s_load_dwordx8 s[12:19], s[4:5], 0x18
	s_load_dwordx4 s[8:11], s[4:5], 0x40
	s_load_dwordx2 s[24:25], s[4:5], 0x50
	s_load_dword s29, s[4:5], 0x70
	s_addc_u32 s1, s1, 0
	s_waitcnt lgkmcnt(0)
	s_min_i32 s28, s22, 32
	v_cmp_gt_i32_e32 vcc, s28, v0
	s_and_saveexec_b64 s[26:27], vcc
	s_cbranch_execz .LBB236_11
; %bb.1:
	s_load_dword s30, s[4:5], 0x38
	s_mul_i32 s9, s9, s7
	s_mul_hi_u32 s33, s8, s7
	s_mul_i32 s8, s8, s7
	v_lshlrev_b32_e32 v3, 4, v0
	s_waitcnt lgkmcnt(0)
	s_ashr_i32 s31, s30, 31
	s_cmpk_eq_i32 s20, 0x71
	s_cselect_b64 vcc, -1, 0
	s_add_i32 s9, s33, s9
	s_lshl_b64 s[8:9], s[8:9], 4
	s_lshl_b64 s[18:19], s[18:19], 4
	s_add_u32 s8, s8, s18
	s_addc_u32 s9, s9, s19
	s_add_u32 s8, s16, s8
	s_addc_u32 s9, s17, s9
	v_mov_b32_e32 v1, s9
	v_add_co_u32_e64 v2, s[8:9], s8, v3
	v_addc_co_u32_e64 v4, s[8:9], 0, v1, s[8:9]
	v_add_co_u32_e64 v1, s[8:9], 8, v2
	s_lshl_b64 s[16:17], s[30:31], 4
	v_addc_co_u32_e64 v2, s[8:9], 0, v4, s[8:9]
	v_mov_b32_e32 v4, s17
	v_mov_b32_e32 v5, v3
	s_mov_b32 s17, s28
.LBB236_2:                              ; =>This Inner Loop Header: Depth=1
	global_load_dwordx4 v[6:9], v[1:2], off offset:-8
	s_add_i32 s17, s17, -1
	v_add_co_u32_e64 v1, s[8:9], s16, v1
	v_addc_co_u32_e64 v2, s[8:9], v2, v4, s[8:9]
	s_cmp_eq_u32 s17, 0
	s_waitcnt vmcnt(0)
	v_xor_b32_e32 v10, 0x80000000, v9
	v_cndmask_b32_e32 v9, v9, v10, vcc
	ds_write_b128 v5, v[6:9]
	v_add_u32_e32 v5, 0x200, v5
	s_cbranch_scc0 .LBB236_2
; %bb.3:
	v_lshlrev_b32_e32 v1, 9, v0
	s_cmpk_lg_i32 s21, 0x84
	v_add_u32_e32 v9, v3, v1
	s_cbranch_scc0 .LBB236_9
; %bb.4:
	ds_read_b128 v[1:4], v9
                                        ; implicit-def: $vgpr7_vgpr8
	s_waitcnt lgkmcnt(0)
	v_cmp_ngt_f64_e64 s[8:9], |v[1:2]|, |v[3:4]|
	s_and_saveexec_b64 s[16:17], s[8:9]
	s_xor_b64 s[8:9], exec, s[16:17]
	s_cbranch_execz .LBB236_6
; %bb.5:
	v_div_scale_f64 v[5:6], s[16:17], v[3:4], v[3:4], v[1:2]
	v_rcp_f64_e32 v[7:8], v[5:6]
	v_fma_f64 v[10:11], -v[5:6], v[7:8], 1.0
	v_fma_f64 v[7:8], v[7:8], v[10:11], v[7:8]
	v_div_scale_f64 v[10:11], vcc, v[1:2], v[3:4], v[1:2]
	v_fma_f64 v[12:13], -v[5:6], v[7:8], 1.0
	v_fma_f64 v[7:8], v[7:8], v[12:13], v[7:8]
	v_mul_f64 v[12:13], v[10:11], v[7:8]
	v_fma_f64 v[5:6], -v[5:6], v[12:13], v[10:11]
	v_div_fmas_f64 v[5:6], v[5:6], v[7:8], v[12:13]
	v_div_fixup_f64 v[5:6], v[5:6], v[3:4], v[1:2]
	v_fma_f64 v[1:2], v[1:2], v[5:6], v[3:4]
	v_div_scale_f64 v[3:4], s[16:17], v[1:2], v[1:2], 1.0
	v_rcp_f64_e32 v[7:8], v[3:4]
	v_fma_f64 v[10:11], -v[3:4], v[7:8], 1.0
	v_fma_f64 v[7:8], v[7:8], v[10:11], v[7:8]
	v_div_scale_f64 v[10:11], vcc, 1.0, v[1:2], 1.0
	v_fma_f64 v[12:13], -v[3:4], v[7:8], 1.0
	v_fma_f64 v[7:8], v[7:8], v[12:13], v[7:8]
	v_mul_f64 v[12:13], v[10:11], v[7:8]
	v_fma_f64 v[3:4], -v[3:4], v[12:13], v[10:11]
	v_div_fmas_f64 v[3:4], v[3:4], v[7:8], v[12:13]
	v_add_f64 v[7:8], v[5:6], 0
	v_div_fixup_f64 v[1:2], v[3:4], v[1:2], 1.0
	v_fma_f64 v[3:4], v[5:6], 0, -1.0
	v_mul_f64 v[5:6], v[7:8], v[1:2]
	v_mul_f64 v[7:8], v[3:4], v[1:2]
                                        ; implicit-def: $vgpr1_vgpr2
.LBB236_6:
	s_andn2_saveexec_b64 s[8:9], s[8:9]
	s_cbranch_execz .LBB236_8
; %bb.7:
	v_div_scale_f64 v[5:6], s[16:17], v[1:2], v[1:2], v[3:4]
	v_rcp_f64_e32 v[7:8], v[5:6]
	v_fma_f64 v[10:11], -v[5:6], v[7:8], 1.0
	v_fma_f64 v[7:8], v[7:8], v[10:11], v[7:8]
	v_div_scale_f64 v[10:11], vcc, v[3:4], v[1:2], v[3:4]
	v_fma_f64 v[12:13], -v[5:6], v[7:8], 1.0
	v_fma_f64 v[7:8], v[7:8], v[12:13], v[7:8]
	v_mul_f64 v[12:13], v[10:11], v[7:8]
	v_fma_f64 v[5:6], -v[5:6], v[12:13], v[10:11]
	v_div_fmas_f64 v[5:6], v[5:6], v[7:8], v[12:13]
	v_div_fixup_f64 v[5:6], v[5:6], v[1:2], v[3:4]
	v_fma_f64 v[1:2], v[3:4], v[5:6], v[1:2]
	v_div_scale_f64 v[3:4], s[16:17], v[1:2], v[1:2], 1.0
	v_rcp_f64_e32 v[7:8], v[3:4]
	v_fma_f64 v[10:11], -v[3:4], v[7:8], 1.0
	v_fma_f64 v[7:8], v[7:8], v[10:11], v[7:8]
	v_div_scale_f64 v[10:11], vcc, 1.0, v[1:2], 1.0
	v_fma_f64 v[12:13], -v[3:4], v[7:8], 1.0
	v_fma_f64 v[7:8], v[7:8], v[12:13], v[7:8]
	v_mul_f64 v[12:13], v[10:11], v[7:8]
	v_fma_f64 v[3:4], -v[3:4], v[12:13], v[10:11]
	v_div_fmas_f64 v[3:4], v[3:4], v[7:8], v[12:13]
	v_fma_f64 v[7:8], v[5:6], 0, 1.0
	v_div_fixup_f64 v[1:2], v[3:4], v[1:2], 1.0
	v_add_f64 v[3:4], -v[5:6], 0
	v_mul_f64 v[5:6], v[7:8], v[1:2]
	v_mul_f64 v[7:8], v[3:4], v[1:2]
.LBB236_8:
	s_or_b64 exec, exec, s[8:9]
	s_branch .LBB236_10
.LBB236_9:
	v_mov_b32_e32 v7, 0
	v_mov_b32_e32 v5, 0
	v_mov_b32_e32 v8, 0
	v_mov_b32_e32 v6, 0x3ff00000
.LBB236_10:
	ds_write_b128 v9, v[5:8]
.LBB236_11:
	s_or_b64 exec, exec, s[26:27]
	s_load_dword s21, s[4:5], 0x58
	s_load_dwordx2 s[8:9], s[4:5], 0x60
	s_add_i32 s29, s29, -1
	s_waitcnt lgkmcnt(0)
	s_ashr_i32 s26, s21, 31
	s_mul_i32 s4, s9, s7
	s_mul_hi_u32 s5, s8, s7
	s_mul_i32 s16, s8, s7
	s_lshl_b32 s8, s6, 5
	s_add_i32 s17, s5, s4
	s_sub_i32 s4, s23, s8
	s_cmp_ge_u32 s6, s29
	s_cselect_b32 s4, s4, 32
	s_ashr_i32 s9, s8, 31
	s_cmp_gt_i32 s22, 0
	v_cmp_gt_i32_e64 s[4:5], s4, v0
	s_cselect_b64 s[6:7], -1, 0
	s_and_b64 s[22:23], s[4:5], s[6:7]
	s_and_saveexec_b64 s[18:19], s[22:23]
	s_cbranch_execz .LBB236_14
; %bb.12:
	v_lshlrev_b32_e32 v3, 4, v0
	s_lshl_b64 s[30:31], s[8:9], 4
	s_lshl_b64 s[22:23], s[16:17], 4
	v_mov_b32_e32 v1, s31
	v_add_co_u32_e32 v4, vcc, s30, v3
	s_lshl_b64 s[30:31], s[24:25], 4
	s_add_u32 s9, s10, s30
	s_addc_u32 s27, s11, s31
	s_add_u32 s22, s9, s22
	v_addc_co_u32_e32 v5, vcc, 0, v1, vcc
	s_addc_u32 s23, s27, s23
	v_mov_b32_e32 v1, s22
	v_mov_b32_e32 v2, s23
	v_mad_u64_u32 v[1:2], s[22:23], v4, s21, v[1:2]
	v_mul_lo_u32 v4, v4, s26
	v_mul_lo_u32 v5, v5, s21
	v_add_co_u32_e32 v1, vcc, 8, v1
	v_or_b32_e32 v3, 0x4000, v3
	v_add3_u32 v2, v5, v2, v4
	v_addc_co_u32_e32 v2, vcc, 0, v2, vcc
	s_mov_b32 s9, s28
.LBB236_13:                             ; =>This Inner Loop Header: Depth=1
	global_load_dwordx4 v[4:7], v[1:2], off offset:-8
	s_add_i32 s9, s9, -1
	v_add_co_u32_e32 v1, vcc, 16, v1
	v_addc_co_u32_e32 v2, vcc, 0, v2, vcc
	s_cmp_lg_u32 s9, 0
	s_waitcnt vmcnt(0)
	v_mul_f64 v[8:9], s[14:15], v[6:7]
	v_mul_f64 v[10:11], s[12:13], v[6:7]
	v_fma_f64 v[6:7], s[12:13], v[4:5], -v[8:9]
	v_fma_f64 v[8:9], s[14:15], v[4:5], v[10:11]
	ds_write_b128 v3, v[6:9]
	v_add_u32_e32 v3, 0x200, v3
	s_cbranch_scc1 .LBB236_13
.LBB236_14:
	s_or_b64 exec, exec, s[18:19]
	v_mov_b32_e32 v1, 0x4000
	s_cmpk_eq_i32 s20, 0x6f
	v_lshl_or_b32 v5, v0, 4, v1
	s_mov_b64 s[12:13], -1
	s_waitcnt lgkmcnt(0)
	; wave barrier
	s_cbranch_scc1 .LBB236_35
; %bb.15:
	s_add_i32 s9, s28, -1
	s_lshl_b32 s18, s28, 4
	s_mov_b32 s13, 0
	s_add_i32 s18, s18, -16
	s_mov_b32 s12, s13
	s_mov_b32 s19, s9
	s_branch .LBB236_17
.LBB236_16:                             ;   in Loop: Header=BB236_17 Depth=1
	s_cmp_lt_i32 s19, 0
	s_cselect_b64 s[14:15], -1, 0
	s_add_i32 s12, s12, 1
	s_cmp_eq_u32 s12, 3
	s_cselect_b64 s[22:23], -1, 0
	s_or_b64 s[14:15], s[14:15], s[22:23]
	s_andn2_b64 vcc, exec, s[14:15]
	s_cbranch_vccz .LBB236_34
.LBB236_17:                             ; =>This Loop Header: Depth=1
                                        ;     Child Loop BB236_20 Depth 2
                                        ;       Child Loop BB236_21 Depth 3
                                        ;       Child Loop BB236_23 Depth 3
                                        ;         Child Loop BB236_24 Depth 4
                                        ;       Child Loop BB236_28 Depth 3
                                        ;         Child Loop BB236_30 Depth 4
	s_lshl_b64 s[14:15], s[12:13], 2
	s_getpc_b64 s[22:23]
	s_add_u32 s22, s22, __const._ZL38rocblas_trsm_small_left_device_sharedBILi32ELi32ELb1E19rocblas_complex_numIdES1_PKS1_PS1_Ev13rocblas_fill_18rocblas_operation_17rocblas_diagonal_iiT3_T4_lilT5_lili.step_sizes@rel32@lo+4
	s_addc_u32 s23, s23, __const._ZL38rocblas_trsm_small_left_device_sharedBILi32ELi32ELb1E19rocblas_complex_numIdES1_PKS1_PS1_Ev13rocblas_fill_18rocblas_operation_17rocblas_diagonal_iiT3_T4_lilT5_lili.step_sizes@rel32@hi+12
	s_add_u32 s14, s22, s14
	s_addc_u32 s15, s23, s15
	s_load_dword s20, s[14:15], 0x0
	s_waitcnt lgkmcnt(0)
	s_add_i32 s22, s20, -1
	s_cmp_lt_i32 s19, s22
	s_cbranch_scc1 .LBB236_16
; %bb.18:                               ;   in Loop: Header=BB236_17 Depth=1
	s_lshl_b32 s14, s19, 9
	s_lshl_b32 s15, s20, 9
	s_max_i32 s23, s20, 1
	v_add_u32_e32 v6, s14, v5
	s_sub_i32 s26, 0, s15
	s_add_i32 s27, s18, s14
	s_mul_i32 s29, s19, 0x210
	s_mul_i32 s30, s20, 0xfffffdf0
	s_branch .LBB236_20
.LBB236_19:                             ;   in Loop: Header=BB236_20 Depth=2
	s_sub_i32 s19, s19, s20
	s_add_i32 s27, s27, s26
	s_add_i32 s29, s29, s30
	s_cmp_lt_i32 s19, s22
	v_add_u32_e32 v6, s26, v6
	s_cbranch_scc1 .LBB236_16
.LBB236_20:                             ;   Parent Loop BB236_17 Depth=1
                                        ; =>  This Loop Header: Depth=2
                                        ;       Child Loop BB236_21 Depth 3
                                        ;       Child Loop BB236_23 Depth 3
                                        ;         Child Loop BB236_24 Depth 4
                                        ;       Child Loop BB236_28 Depth 3
                                        ;         Child Loop BB236_30 Depth 4
	s_mov_b32 s14, 0
	v_mov_b32_e32 v1, v6
	s_mov_b32 s15, s23
.LBB236_21:                             ;   Parent Loop BB236_17 Depth=1
                                        ;     Parent Loop BB236_20 Depth=2
                                        ; =>    This Inner Loop Header: Depth=3
	ds_read_b128 v[7:10], v1
	v_mov_b32_e32 v2, s14
	s_add_i32 s15, s15, -1
	s_add_i32 s14, s14, 16
	v_add_u32_e32 v1, 0xfffffe00, v1
	s_cmp_eq_u32 s15, 0
	s_waitcnt lgkmcnt(0)
	buffer_store_dword v10, v2, s[0:3], 0 offen offset:12
	buffer_store_dword v9, v2, s[0:3], 0 offen offset:8
	;; [unrolled: 1-line block ×3, first 2 shown]
	buffer_store_dword v7, v2, s[0:3], 0 offen
	s_cbranch_scc0 .LBB236_21
; %bb.22:                               ;   in Loop: Header=BB236_20 Depth=2
	s_cmp_le_i32 s9, s19
	s_mov_b32 s14, s27
	s_mov_b32 s15, s9
	s_cbranch_scc1 .LBB236_26
.LBB236_23:                             ;   Parent Loop BB236_17 Depth=1
                                        ;     Parent Loop BB236_20 Depth=2
                                        ; =>    This Loop Header: Depth=3
                                        ;         Child Loop BB236_24 Depth 4
	v_lshl_add_u32 v1, s15, 9, v5
	ds_read_b128 v[1:4], v1
	s_mov_b32 s31, 0
	s_mov_b32 s33, s14
	;; [unrolled: 1-line block ×3, first 2 shown]
.LBB236_24:                             ;   Parent Loop BB236_17 Depth=1
                                        ;     Parent Loop BB236_20 Depth=2
                                        ;       Parent Loop BB236_23 Depth=3
                                        ; =>      This Inner Loop Header: Depth=4
	v_mov_b32_e32 v17, s31
	buffer_load_dword v11, v17, s[0:3], 0 offen
	buffer_load_dword v12, v17, s[0:3], 0 offen offset:4
	buffer_load_dword v13, v17, s[0:3], 0 offen offset:8
	;; [unrolled: 1-line block ×3, first 2 shown]
	v_mov_b32_e32 v7, s33
	ds_read_b128 v[7:10], v7
	s_add_i32 s34, s34, -1
	s_addk_i32 s33, 0xfe00
	s_add_i32 s31, s31, 16
	s_cmp_eq_u32 s34, 0
	s_waitcnt lgkmcnt(0)
	v_mul_f64 v[15:16], v[3:4], v[9:10]
	v_mul_f64 v[9:10], v[1:2], v[9:10]
	v_fma_f64 v[15:16], v[1:2], v[7:8], -v[15:16]
	v_fma_f64 v[7:8], v[3:4], v[7:8], v[9:10]
	s_waitcnt vmcnt(2)
	v_add_f64 v[9:10], v[11:12], -v[15:16]
	s_waitcnt vmcnt(0)
	v_add_f64 v[7:8], v[13:14], -v[7:8]
	buffer_store_dword v9, v17, s[0:3], 0 offen
	buffer_store_dword v10, v17, s[0:3], 0 offen offset:4
	buffer_store_dword v7, v17, s[0:3], 0 offen offset:8
	;; [unrolled: 1-line block ×3, first 2 shown]
	s_cbranch_scc0 .LBB236_24
; %bb.25:                               ;   in Loop: Header=BB236_23 Depth=3
	s_add_i32 s15, s15, -1
	s_add_i32 s14, s14, -16
	s_cmp_le_i32 s15, s19
	s_cbranch_scc0 .LBB236_23
.LBB236_26:                             ;   in Loop: Header=BB236_20 Depth=2
	s_lshl_b32 s31, s19, 9
	s_mov_b32 s33, 0
	s_mov_b32 s34, s29
	s_branch .LBB236_28
.LBB236_27:                             ;   in Loop: Header=BB236_28 Depth=3
	s_mul_i32 s14, s36, 0x210
	v_mov_b32_e32 v7, s14
	ds_read_b128 v[7:10], v7
	s_lshl_b32 s14, s33, 4
	s_add_i32 s33, s33, 1
	s_addk_i32 s34, 0xfe00
	s_cmp_eq_u32 s33, s23
	s_waitcnt vmcnt(0) lgkmcnt(0)
	v_mul_f64 v[11:12], v[9:10], v[3:4]
	v_mul_f64 v[3:4], v[7:8], v[3:4]
	v_fma_f64 v[7:8], v[7:8], v[1:2], -v[11:12]
	v_fma_f64 v[9:10], v[9:10], v[1:2], v[3:4]
	v_add_u32_e32 v1, s35, v5
	v_mov_b32_e32 v2, s14
	buffer_store_dword v8, v2, s[0:3], 0 offen offset:4
	buffer_store_dword v7, v2, s[0:3], 0 offen
	buffer_store_dword v10, v2, s[0:3], 0 offen offset:12
	buffer_store_dword v9, v2, s[0:3], 0 offen offset:8
	ds_write_b128 v1, v[7:10]
	s_cbranch_scc1 .LBB236_19
.LBB236_28:                             ;   Parent Loop BB236_17 Depth=1
                                        ;     Parent Loop BB236_20 Depth=2
                                        ; =>    This Loop Header: Depth=3
                                        ;         Child Loop BB236_30 Depth 4
	s_cmp_lg_u32 s33, 0
	s_cbranch_scc0 .LBB236_32
; %bb.29:                               ;   in Loop: Header=BB236_28 Depth=3
	s_lshl_b32 s14, s33, 4
	v_mov_b32_e32 v7, s14
	buffer_load_dword v1, v7, s[0:3], 0 offen
	buffer_load_dword v2, v7, s[0:3], 0 offen offset:4
	buffer_load_dword v3, v7, s[0:3], 0 offen offset:8
	;; [unrolled: 1-line block ×3, first 2 shown]
	s_sub_i32 s36, s19, s33
	s_lshl_b32 s35, s36, 9
	s_mov_b32 s14, 0
	s_mov_b32 s15, s34
	;; [unrolled: 1-line block ×3, first 2 shown]
.LBB236_30:                             ;   Parent Loop BB236_17 Depth=1
                                        ;     Parent Loop BB236_20 Depth=2
                                        ;       Parent Loop BB236_28 Depth=3
                                        ; =>      This Inner Loop Header: Depth=4
	v_mov_b32_e32 v8, s14
	buffer_load_dword v12, v8, s[0:3], 0 offen offset:8
	buffer_load_dword v13, v8, s[0:3], 0 offen offset:12
	buffer_load_dword v14, v8, s[0:3], 0 offen
	buffer_load_dword v15, v8, s[0:3], 0 offen offset:4
	v_mov_b32_e32 v8, s15
	ds_read_b128 v[8:11], v8
	s_add_i32 s37, s37, -1
	s_add_i32 s15, s15, -16
	s_add_i32 s14, s14, 16
	s_cmp_eq_u32 s37, 0
	s_waitcnt vmcnt(2) lgkmcnt(0)
	v_mul_f64 v[16:17], v[10:11], v[12:13]
	v_mul_f64 v[12:13], v[8:9], v[12:13]
	s_waitcnt vmcnt(0)
	v_fma_f64 v[8:9], v[8:9], v[14:15], -v[16:17]
	v_fma_f64 v[10:11], v[10:11], v[14:15], v[12:13]
	v_add_f64 v[1:2], v[1:2], -v[8:9]
	v_add_f64 v[3:4], v[3:4], -v[10:11]
	buffer_store_dword v1, v7, s[0:3], 0 offen
	buffer_store_dword v2, v7, s[0:3], 0 offen offset:4
	buffer_store_dword v3, v7, s[0:3], 0 offen offset:8
	;; [unrolled: 1-line block ×3, first 2 shown]
	s_cbranch_scc0 .LBB236_30
; %bb.31:                               ;   in Loop: Header=BB236_28 Depth=3
	s_branch .LBB236_27
.LBB236_32:                             ;   in Loop: Header=BB236_28 Depth=3
                                        ; implicit-def: $vgpr1_vgpr2
                                        ; implicit-def: $vgpr3_vgpr4
                                        ; implicit-def: $sgpr36
                                        ; implicit-def: $sgpr35
	s_cbranch_execz .LBB236_27
; %bb.33:                               ;   in Loop: Header=BB236_28 Depth=3
	buffer_load_dword v1, off, s[0:3], 0
	buffer_load_dword v2, off, s[0:3], 0 offset:4
	buffer_load_dword v3, off, s[0:3], 0 offset:8
	;; [unrolled: 1-line block ×3, first 2 shown]
	s_mov_b32 s35, s31
	s_mov_b32 s36, s19
	s_branch .LBB236_27
.LBB236_34:
	s_mov_b64 s[12:13], 0
.LBB236_35:
	s_and_b64 vcc, exec, s[12:13]
	s_cbranch_vccz .LBB236_56
; %bb.36:
	v_mov_b32_e32 v1, 0x4000
	s_mov_b32 s13, 0
	v_lshl_or_b32 v6, v0, 4, v1
	s_mov_b32 s12, s13
	s_mov_b32 s9, s13
	s_branch .LBB236_38
.LBB236_37:                             ;   in Loop: Header=BB236_38 Depth=1
	s_cmp_ge_i32 s9, s28
	s_cselect_b64 s[14:15], -1, 0
	s_add_i32 s12, s12, 1
	s_cmp_eq_u32 s12, 3
	s_cselect_b64 s[18:19], -1, 0
	s_or_b64 s[14:15], s[14:15], s[18:19]
	s_and_b64 vcc, exec, s[14:15]
	s_cbranch_vccnz .LBB236_56
.LBB236_38:                             ; =>This Loop Header: Depth=1
                                        ;     Child Loop BB236_41 Depth 2
                                        ;       Child Loop BB236_42 Depth 3
                                        ;       Child Loop BB236_45 Depth 3
                                        ;         Child Loop BB236_46 Depth 4
                                        ;       Child Loop BB236_50 Depth 3
                                        ;         Child Loop BB236_52 Depth 4
	s_lshl_b64 s[14:15], s[12:13], 2
	s_getpc_b64 s[18:19]
	s_add_u32 s18, s18, __const._ZL38rocblas_trsm_small_left_device_sharedBILi32ELi32ELb1E19rocblas_complex_numIdES1_PKS1_PS1_Ev13rocblas_fill_18rocblas_operation_17rocblas_diagonal_iiT3_T4_lilT5_lili.step_sizes@rel32@lo+4
	s_addc_u32 s19, s19, __const._ZL38rocblas_trsm_small_left_device_sharedBILi32ELi32ELb1E19rocblas_complex_numIdES1_PKS1_PS1_Ev13rocblas_fill_18rocblas_operation_17rocblas_diagonal_iiT3_T4_lilT5_lili.step_sizes@rel32@hi+12
	s_add_u32 s14, s18, s14
	s_addc_u32 s15, s19, s15
	s_load_dword s18, s[14:15], 0x0
	s_waitcnt lgkmcnt(0)
	s_add_i32 s19, s18, -1
	s_add_i32 s14, s19, s9
	s_cmp_ge_i32 s14, s28
	s_cbranch_scc1 .LBB236_37
; %bb.39:                               ;   in Loop: Header=BB236_38 Depth=1
	s_max_i32 s20, s18, 1
	v_lshl_add_u32 v7, s9, 9, v6
	s_lshl_b32 s22, s18, 9
	s_lshl_b32 s23, s9, 4
	s_lshl_b32 s26, s18, 4
	s_mul_i32 s27, s9, 0x210
	s_mul_i32 s29, s18, 0x210
	s_branch .LBB236_41
.LBB236_40:                             ;   in Loop: Header=BB236_41 Depth=2
	s_add_i32 s9, s9, s18
	s_add_i32 s14, s19, s9
	;; [unrolled: 1-line block ×4, first 2 shown]
	s_cmp_ge_i32 s14, s28
	v_add_u32_e32 v7, s22, v7
	s_cbranch_scc1 .LBB236_37
.LBB236_41:                             ;   Parent Loop BB236_38 Depth=1
                                        ; =>  This Loop Header: Depth=2
                                        ;       Child Loop BB236_42 Depth 3
                                        ;       Child Loop BB236_45 Depth 3
                                        ;         Child Loop BB236_46 Depth 4
                                        ;       Child Loop BB236_50 Depth 3
                                        ;         Child Loop BB236_52 Depth 4
	s_mov_b32 s14, 0
	v_mov_b32_e32 v1, v7
	s_mov_b32 s15, s20
.LBB236_42:                             ;   Parent Loop BB236_38 Depth=1
                                        ;     Parent Loop BB236_41 Depth=2
                                        ; =>    This Inner Loop Header: Depth=3
	ds_read_b128 v[8:11], v1
	v_mov_b32_e32 v2, s14
	s_add_i32 s15, s15, -1
	s_add_i32 s14, s14, 16
	v_add_u32_e32 v1, 0x200, v1
	s_cmp_eq_u32 s15, 0
	s_waitcnt lgkmcnt(0)
	buffer_store_dword v11, v2, s[0:3], 0 offen offset:12
	buffer_store_dword v10, v2, s[0:3], 0 offen offset:8
	buffer_store_dword v9, v2, s[0:3], 0 offen offset:4
	buffer_store_dword v8, v2, s[0:3], 0 offen
	s_cbranch_scc0 .LBB236_42
; %bb.43:                               ;   in Loop: Header=BB236_41 Depth=2
	s_cmp_lt_i32 s9, 1
	s_cbranch_scc1 .LBB236_48
; %bb.44:                               ;   in Loop: Header=BB236_41 Depth=2
	s_mov_b32 s14, 0
	s_mov_b32 s15, s23
.LBB236_45:                             ;   Parent Loop BB236_38 Depth=1
                                        ;     Parent Loop BB236_41 Depth=2
                                        ; =>    This Loop Header: Depth=3
                                        ;         Child Loop BB236_46 Depth 4
	v_lshl_add_u32 v1, s14, 9, v5
	ds_read_b128 v[1:4], v1
	s_mov_b32 s30, 0
	s_mov_b32 s31, s15
	;; [unrolled: 1-line block ×3, first 2 shown]
.LBB236_46:                             ;   Parent Loop BB236_38 Depth=1
                                        ;     Parent Loop BB236_41 Depth=2
                                        ;       Parent Loop BB236_45 Depth=3
                                        ; =>      This Inner Loop Header: Depth=4
	v_mov_b32_e32 v18, s30
	buffer_load_dword v12, v18, s[0:3], 0 offen
	buffer_load_dword v13, v18, s[0:3], 0 offen offset:4
	buffer_load_dword v14, v18, s[0:3], 0 offen offset:8
	;; [unrolled: 1-line block ×3, first 2 shown]
	v_mov_b32_e32 v8, s31
	ds_read_b128 v[8:11], v8
	s_add_i32 s33, s33, -1
	s_add_i32 s31, s31, 16
	s_add_i32 s30, s30, 16
	s_cmp_eq_u32 s33, 0
	s_waitcnt lgkmcnt(0)
	v_mul_f64 v[16:17], v[3:4], v[10:11]
	v_mul_f64 v[10:11], v[1:2], v[10:11]
	v_fma_f64 v[16:17], v[1:2], v[8:9], -v[16:17]
	v_fma_f64 v[8:9], v[3:4], v[8:9], v[10:11]
	s_waitcnt vmcnt(2)
	v_add_f64 v[10:11], v[12:13], -v[16:17]
	s_waitcnt vmcnt(0)
	v_add_f64 v[8:9], v[14:15], -v[8:9]
	buffer_store_dword v10, v18, s[0:3], 0 offen
	buffer_store_dword v11, v18, s[0:3], 0 offen offset:4
	buffer_store_dword v8, v18, s[0:3], 0 offen offset:8
	;; [unrolled: 1-line block ×3, first 2 shown]
	s_cbranch_scc0 .LBB236_46
; %bb.47:                               ;   in Loop: Header=BB236_45 Depth=3
	s_add_i32 s14, s14, 1
	s_addk_i32 s15, 0x200
	s_cmp_eq_u32 s14, s9
	s_cbranch_scc0 .LBB236_45
.LBB236_48:                             ;   in Loop: Header=BB236_41 Depth=2
	s_mov_b32 s30, 0
	s_mov_b32 s31, s27
	s_branch .LBB236_50
.LBB236_49:                             ;   in Loop: Header=BB236_50 Depth=3
	s_add_i32 s14, s30, s9
	s_mul_i32 s15, s14, 0x210
	v_mov_b32_e32 v8, s15
	ds_read_b128 v[8:11], v8
	s_lshl_b32 s15, s30, 4
	s_add_i32 s30, s30, 1
	s_add_i32 s31, s31, 16
	s_cmp_eq_u32 s30, s20
	s_waitcnt vmcnt(0) lgkmcnt(0)
	v_mul_f64 v[12:13], v[10:11], v[3:4]
	v_mul_f64 v[3:4], v[8:9], v[3:4]
	v_fma_f64 v[8:9], v[8:9], v[1:2], -v[12:13]
	v_fma_f64 v[10:11], v[10:11], v[1:2], v[3:4]
	v_mov_b32_e32 v1, s15
	v_lshl_add_u32 v2, s14, 9, v5
	buffer_store_dword v9, v1, s[0:3], 0 offen offset:4
	buffer_store_dword v8, v1, s[0:3], 0 offen
	buffer_store_dword v11, v1, s[0:3], 0 offen offset:12
	buffer_store_dword v10, v1, s[0:3], 0 offen offset:8
	ds_write_b128 v2, v[8:11]
	s_cbranch_scc1 .LBB236_40
.LBB236_50:                             ;   Parent Loop BB236_38 Depth=1
                                        ;     Parent Loop BB236_41 Depth=2
                                        ; =>    This Loop Header: Depth=3
                                        ;         Child Loop BB236_52 Depth 4
	s_cmp_lg_u32 s30, 0
	s_cbranch_scc0 .LBB236_54
; %bb.51:                               ;   in Loop: Header=BB236_50 Depth=3
	s_lshl_b32 s14, s30, 4
	v_mov_b32_e32 v8, s14
	buffer_load_dword v1, v8, s[0:3], 0 offen
	buffer_load_dword v2, v8, s[0:3], 0 offen offset:4
	buffer_load_dword v3, v8, s[0:3], 0 offen offset:8
	;; [unrolled: 1-line block ×3, first 2 shown]
	s_mov_b32 s14, 0
	s_mov_b32 s15, s31
	;; [unrolled: 1-line block ×3, first 2 shown]
.LBB236_52:                             ;   Parent Loop BB236_38 Depth=1
                                        ;     Parent Loop BB236_41 Depth=2
                                        ;       Parent Loop BB236_50 Depth=3
                                        ; =>      This Inner Loop Header: Depth=4
	v_mov_b32_e32 v9, s14
	buffer_load_dword v13, v9, s[0:3], 0 offen offset:8
	buffer_load_dword v14, v9, s[0:3], 0 offen offset:12
	buffer_load_dword v15, v9, s[0:3], 0 offen
	buffer_load_dword v16, v9, s[0:3], 0 offen offset:4
	v_mov_b32_e32 v9, s15
	ds_read_b128 v[9:12], v9
	s_add_i32 s33, s33, -1
	s_addk_i32 s15, 0x200
	s_add_i32 s14, s14, 16
	s_cmp_eq_u32 s33, 0
	s_waitcnt vmcnt(2) lgkmcnt(0)
	v_mul_f64 v[17:18], v[11:12], v[13:14]
	v_mul_f64 v[13:14], v[9:10], v[13:14]
	s_waitcnt vmcnt(0)
	v_fma_f64 v[9:10], v[9:10], v[15:16], -v[17:18]
	v_fma_f64 v[11:12], v[11:12], v[15:16], v[13:14]
	v_add_f64 v[1:2], v[1:2], -v[9:10]
	v_add_f64 v[3:4], v[3:4], -v[11:12]
	buffer_store_dword v1, v8, s[0:3], 0 offen
	buffer_store_dword v2, v8, s[0:3], 0 offen offset:4
	buffer_store_dword v3, v8, s[0:3], 0 offen offset:8
	;; [unrolled: 1-line block ×3, first 2 shown]
	s_cbranch_scc0 .LBB236_52
; %bb.53:                               ;   in Loop: Header=BB236_50 Depth=3
	s_branch .LBB236_49
.LBB236_54:                             ;   in Loop: Header=BB236_50 Depth=3
                                        ; implicit-def: $vgpr1_vgpr2
                                        ; implicit-def: $vgpr3_vgpr4
	s_cbranch_execz .LBB236_49
; %bb.55:                               ;   in Loop: Header=BB236_50 Depth=3
	buffer_load_dword v1, off, s[0:3], 0
	buffer_load_dword v2, off, s[0:3], 0 offset:4
	buffer_load_dword v3, off, s[0:3], 0 offset:8
	;; [unrolled: 1-line block ×3, first 2 shown]
	s_branch .LBB236_49
.LBB236_56:
	s_waitcnt lgkmcnt(0)
	; wave barrier
	s_and_saveexec_b64 s[12:13], s[4:5]
	s_cbranch_execz .LBB236_60
; %bb.57:
	s_andn2_b64 vcc, exec, s[6:7]
	s_cbranch_vccnz .LBB236_60
; %bb.58:
	s_lshl_b64 s[4:5], s[16:17], 4
	s_add_u32 s6, s10, s4
	s_addc_u32 s7, s11, s5
	s_lshl_b64 s[4:5], s[24:25], 4
	s_add_u32 s9, s6, s4
	s_addc_u32 s10, s7, s5
	v_mad_i64_i32 v[1:2], s[6:7], s21, v0, 0
	s_mul_hi_i32 s5, s21, s8
	s_mul_i32 s4, s21, s8
	s_lshl_b64 s[4:5], s[4:5], 4
	s_add_u32 s4, s9, s4
	v_lshlrev_b64 v[1:2], 4, v[1:2]
	s_addc_u32 s5, s10, s5
	v_mov_b32_e32 v3, s5
	v_add_co_u32_e32 v1, vcc, s4, v1
	v_addc_co_u32_e32 v2, vcc, v3, v2, vcc
	v_mov_b32_e32 v3, 0x4000
	v_lshl_or_b32 v0, v0, 4, v3
.LBB236_59:                             ; =>This Inner Loop Header: Depth=1
	ds_read2_b64 v[3:6], v0 offset1:1
	s_add_i32 s28, s28, -1
	v_add_u32_e32 v0, 0x200, v0
	s_cmp_lg_u32 s28, 0
	s_waitcnt lgkmcnt(0)
	global_store_dwordx4 v[1:2], v[3:6], off
	v_add_co_u32_e32 v1, vcc, 16, v1
	v_addc_co_u32_e32 v2, vcc, 0, v2, vcc
	s_cbranch_scc1 .LBB236_59
.LBB236_60:
	s_endpgm
	.section	.rodata,"a",@progbits
	.p2align	6, 0x0
	.amdhsa_kernel _ZL38rocblas_trsm_small_left_device_sharedBILi32ELi32ELb1E19rocblas_complex_numIdES1_PKS1_PS1_Ev13rocblas_fill_18rocblas_operation_17rocblas_diagonal_iiT3_T4_lilT5_lili
		.amdhsa_group_segment_fixed_size 32768
		.amdhsa_private_segment_fixed_size 528
		.amdhsa_kernarg_size 368
		.amdhsa_user_sgpr_count 6
		.amdhsa_user_sgpr_private_segment_buffer 1
		.amdhsa_user_sgpr_dispatch_ptr 0
		.amdhsa_user_sgpr_queue_ptr 0
		.amdhsa_user_sgpr_kernarg_segment_ptr 1
		.amdhsa_user_sgpr_dispatch_id 0
		.amdhsa_user_sgpr_flat_scratch_init 0
		.amdhsa_user_sgpr_private_segment_size 0
		.amdhsa_uses_dynamic_stack 0
		.amdhsa_system_sgpr_private_segment_wavefront_offset 1
		.amdhsa_system_sgpr_workgroup_id_x 1
		.amdhsa_system_sgpr_workgroup_id_y 0
		.amdhsa_system_sgpr_workgroup_id_z 1
		.amdhsa_system_sgpr_workgroup_info 0
		.amdhsa_system_vgpr_workitem_id 0
		.amdhsa_next_free_vgpr 129
		.amdhsa_next_free_sgpr 98
		.amdhsa_reserve_vcc 1
		.amdhsa_reserve_flat_scratch 0
		.amdhsa_float_round_mode_32 0
		.amdhsa_float_round_mode_16_64 0
		.amdhsa_float_denorm_mode_32 3
		.amdhsa_float_denorm_mode_16_64 3
		.amdhsa_dx10_clamp 1
		.amdhsa_ieee_mode 1
		.amdhsa_fp16_overflow 0
		.amdhsa_exception_fp_ieee_invalid_op 0
		.amdhsa_exception_fp_denorm_src 0
		.amdhsa_exception_fp_ieee_div_zero 0
		.amdhsa_exception_fp_ieee_overflow 0
		.amdhsa_exception_fp_ieee_underflow 0
		.amdhsa_exception_fp_ieee_inexact 0
		.amdhsa_exception_int_div_zero 0
	.end_amdhsa_kernel
	.section	.text._ZL38rocblas_trsm_small_left_device_sharedBILi32ELi32ELb1E19rocblas_complex_numIdES1_PKS1_PS1_Ev13rocblas_fill_18rocblas_operation_17rocblas_diagonal_iiT3_T4_lilT5_lili,"axG",@progbits,_ZL38rocblas_trsm_small_left_device_sharedBILi32ELi32ELb1E19rocblas_complex_numIdES1_PKS1_PS1_Ev13rocblas_fill_18rocblas_operation_17rocblas_diagonal_iiT3_T4_lilT5_lili,comdat
.Lfunc_end236:
	.size	_ZL38rocblas_trsm_small_left_device_sharedBILi32ELi32ELb1E19rocblas_complex_numIdES1_PKS1_PS1_Ev13rocblas_fill_18rocblas_operation_17rocblas_diagonal_iiT3_T4_lilT5_lili, .Lfunc_end236-_ZL38rocblas_trsm_small_left_device_sharedBILi32ELi32ELb1E19rocblas_complex_numIdES1_PKS1_PS1_Ev13rocblas_fill_18rocblas_operation_17rocblas_diagonal_iiT3_T4_lilT5_lili
                                        ; -- End function
	.set _ZL38rocblas_trsm_small_left_device_sharedBILi32ELi32ELb1E19rocblas_complex_numIdES1_PKS1_PS1_Ev13rocblas_fill_18rocblas_operation_17rocblas_diagonal_iiT3_T4_lilT5_lili.num_vgpr, 19
	.set _ZL38rocblas_trsm_small_left_device_sharedBILi32ELi32ELb1E19rocblas_complex_numIdES1_PKS1_PS1_Ev13rocblas_fill_18rocblas_operation_17rocblas_diagonal_iiT3_T4_lilT5_lili.num_agpr, 0
	.set _ZL38rocblas_trsm_small_left_device_sharedBILi32ELi32ELb1E19rocblas_complex_numIdES1_PKS1_PS1_Ev13rocblas_fill_18rocblas_operation_17rocblas_diagonal_iiT3_T4_lilT5_lili.numbered_sgpr, 38
	.set _ZL38rocblas_trsm_small_left_device_sharedBILi32ELi32ELb1E19rocblas_complex_numIdES1_PKS1_PS1_Ev13rocblas_fill_18rocblas_operation_17rocblas_diagonal_iiT3_T4_lilT5_lili.num_named_barrier, 0
	.set _ZL38rocblas_trsm_small_left_device_sharedBILi32ELi32ELb1E19rocblas_complex_numIdES1_PKS1_PS1_Ev13rocblas_fill_18rocblas_operation_17rocblas_diagonal_iiT3_T4_lilT5_lili.private_seg_size, 528
	.set _ZL38rocblas_trsm_small_left_device_sharedBILi32ELi32ELb1E19rocblas_complex_numIdES1_PKS1_PS1_Ev13rocblas_fill_18rocblas_operation_17rocblas_diagonal_iiT3_T4_lilT5_lili.uses_vcc, 1
	.set _ZL38rocblas_trsm_small_left_device_sharedBILi32ELi32ELb1E19rocblas_complex_numIdES1_PKS1_PS1_Ev13rocblas_fill_18rocblas_operation_17rocblas_diagonal_iiT3_T4_lilT5_lili.uses_flat_scratch, 0
	.set _ZL38rocblas_trsm_small_left_device_sharedBILi32ELi32ELb1E19rocblas_complex_numIdES1_PKS1_PS1_Ev13rocblas_fill_18rocblas_operation_17rocblas_diagonal_iiT3_T4_lilT5_lili.has_dyn_sized_stack, 0
	.set _ZL38rocblas_trsm_small_left_device_sharedBILi32ELi32ELb1E19rocblas_complex_numIdES1_PKS1_PS1_Ev13rocblas_fill_18rocblas_operation_17rocblas_diagonal_iiT3_T4_lilT5_lili.has_recursion, 0
	.set _ZL38rocblas_trsm_small_left_device_sharedBILi32ELi32ELb1E19rocblas_complex_numIdES1_PKS1_PS1_Ev13rocblas_fill_18rocblas_operation_17rocblas_diagonal_iiT3_T4_lilT5_lili.has_indirect_call, 0
	.section	.AMDGPU.csdata,"",@progbits
; Kernel info:
; codeLenInByte = 3060
; TotalNumSgprs: 42
; NumVgprs: 19
; ScratchSize: 528
; MemoryBound: 0
; FloatMode: 240
; IeeeMode: 1
; LDSByteSize: 32768 bytes/workgroup (compile time only)
; SGPRBlocks: 12
; VGPRBlocks: 32
; NumSGPRsForWavesPerEU: 102
; NumVGPRsForWavesPerEU: 129
; Occupancy: 1
; WaveLimiterHint : 0
; COMPUTE_PGM_RSRC2:SCRATCH_EN: 1
; COMPUTE_PGM_RSRC2:USER_SGPR: 6
; COMPUTE_PGM_RSRC2:TRAP_HANDLER: 0
; COMPUTE_PGM_RSRC2:TGID_X_EN: 1
; COMPUTE_PGM_RSRC2:TGID_Y_EN: 0
; COMPUTE_PGM_RSRC2:TGID_Z_EN: 1
; COMPUTE_PGM_RSRC2:TIDIG_COMP_CNT: 0
	.section	.text._ZL30rocblas_trsm_small_left_deviceILi32ELi32ELb1E19rocblas_complex_numIdES1_PKS1_PS1_Ev13rocblas_fill_18rocblas_operation_17rocblas_diagonal_iiT3_T4_lilT5_lili,"axG",@progbits,_ZL30rocblas_trsm_small_left_deviceILi32ELi32ELb1E19rocblas_complex_numIdES1_PKS1_PS1_Ev13rocblas_fill_18rocblas_operation_17rocblas_diagonal_iiT3_T4_lilT5_lili,comdat
	.globl	_ZL30rocblas_trsm_small_left_deviceILi32ELi32ELb1E19rocblas_complex_numIdES1_PKS1_PS1_Ev13rocblas_fill_18rocblas_operation_17rocblas_diagonal_iiT3_T4_lilT5_lili ; -- Begin function _ZL30rocblas_trsm_small_left_deviceILi32ELi32ELb1E19rocblas_complex_numIdES1_PKS1_PS1_Ev13rocblas_fill_18rocblas_operation_17rocblas_diagonal_iiT3_T4_lilT5_lili
	.p2align	8
	.type	_ZL30rocblas_trsm_small_left_deviceILi32ELi32ELb1E19rocblas_complex_numIdES1_PKS1_PS1_Ev13rocblas_fill_18rocblas_operation_17rocblas_diagonal_iiT3_T4_lilT5_lili,@function
_ZL30rocblas_trsm_small_left_deviceILi32ELi32ELb1E19rocblas_complex_numIdES1_PKS1_PS1_Ev13rocblas_fill_18rocblas_operation_17rocblas_diagonal_iiT3_T4_lilT5_lili: ; @_ZL30rocblas_trsm_small_left_deviceILi32ELi32ELb1E19rocblas_complex_numIdES1_PKS1_PS1_Ev13rocblas_fill_18rocblas_operation_17rocblas_diagonal_iiT3_T4_lilT5_lili
; %bb.0:
	s_add_u32 s0, s0, s8
	s_load_dwordx4 s[20:23], s[4:5], 0x4
	s_load_dwordx8 s[12:19], s[4:5], 0x18
	s_load_dwordx4 s[8:11], s[4:5], 0x40
	s_load_dwordx2 s[24:25], s[4:5], 0x50
	s_load_dword s29, s[4:5], 0x70
	s_addc_u32 s1, s1, 0
	s_waitcnt lgkmcnt(0)
	s_min_i32 s28, s22, 32
	v_cmp_gt_i32_e32 vcc, s28, v0
	s_and_saveexec_b64 s[26:27], vcc
	s_cbranch_execz .LBB237_11
; %bb.1:
	s_load_dword s30, s[4:5], 0x38
	s_mul_i32 s9, s9, s7
	s_mul_hi_u32 s22, s8, s7
	s_mul_i32 s8, s8, s7
	v_lshlrev_b32_e32 v3, 4, v0
	s_waitcnt lgkmcnt(0)
	s_ashr_i32 s31, s30, 31
	s_cmpk_eq_i32 s20, 0x71
	s_cselect_b64 vcc, -1, 0
	s_add_i32 s9, s22, s9
	s_lshl_b64 s[8:9], s[8:9], 4
	s_lshl_b64 s[18:19], s[18:19], 4
	s_add_u32 s8, s8, s18
	s_addc_u32 s9, s9, s19
	s_add_u32 s8, s16, s8
	s_addc_u32 s9, s17, s9
	v_mov_b32_e32 v1, s9
	v_add_co_u32_e64 v2, s[8:9], s8, v3
	v_addc_co_u32_e64 v4, s[8:9], 0, v1, s[8:9]
	v_add_co_u32_e64 v1, s[8:9], 8, v2
	s_lshl_b64 s[16:17], s[30:31], 4
	v_addc_co_u32_e64 v2, s[8:9], 0, v4, s[8:9]
	v_mov_b32_e32 v4, s17
	v_mov_b32_e32 v5, v3
	s_mov_b32 s17, s28
.LBB237_2:                              ; =>This Inner Loop Header: Depth=1
	global_load_dwordx4 v[6:9], v[1:2], off offset:-8
	s_add_i32 s17, s17, -1
	v_add_co_u32_e64 v1, s[8:9], s16, v1
	v_addc_co_u32_e64 v2, s[8:9], v2, v4, s[8:9]
	s_cmp_eq_u32 s17, 0
	s_waitcnt vmcnt(0)
	v_xor_b32_e32 v10, 0x80000000, v9
	v_cndmask_b32_e32 v9, v9, v10, vcc
	ds_write_b128 v5, v[6:9]
	v_add_u32_e32 v5, 0x200, v5
	s_cbranch_scc0 .LBB237_2
; %bb.3:
	v_lshlrev_b32_e32 v1, 9, v0
	s_cmpk_lg_i32 s21, 0x84
	v_add_u32_e32 v9, v3, v1
	s_cbranch_scc0 .LBB237_9
; %bb.4:
	ds_read_b128 v[1:4], v9
                                        ; implicit-def: $vgpr7_vgpr8
	s_waitcnt lgkmcnt(0)
	v_cmp_ngt_f64_e64 s[8:9], |v[1:2]|, |v[3:4]|
	s_and_saveexec_b64 s[16:17], s[8:9]
	s_xor_b64 s[8:9], exec, s[16:17]
	s_cbranch_execz .LBB237_6
; %bb.5:
	v_div_scale_f64 v[5:6], s[16:17], v[3:4], v[3:4], v[1:2]
	v_rcp_f64_e32 v[7:8], v[5:6]
	v_fma_f64 v[10:11], -v[5:6], v[7:8], 1.0
	v_fma_f64 v[7:8], v[7:8], v[10:11], v[7:8]
	v_div_scale_f64 v[10:11], vcc, v[1:2], v[3:4], v[1:2]
	v_fma_f64 v[12:13], -v[5:6], v[7:8], 1.0
	v_fma_f64 v[7:8], v[7:8], v[12:13], v[7:8]
	v_mul_f64 v[12:13], v[10:11], v[7:8]
	v_fma_f64 v[5:6], -v[5:6], v[12:13], v[10:11]
	v_div_fmas_f64 v[5:6], v[5:6], v[7:8], v[12:13]
	v_div_fixup_f64 v[5:6], v[5:6], v[3:4], v[1:2]
	v_fma_f64 v[1:2], v[1:2], v[5:6], v[3:4]
	v_div_scale_f64 v[3:4], s[16:17], v[1:2], v[1:2], 1.0
	v_rcp_f64_e32 v[7:8], v[3:4]
	v_fma_f64 v[10:11], -v[3:4], v[7:8], 1.0
	v_fma_f64 v[7:8], v[7:8], v[10:11], v[7:8]
	v_div_scale_f64 v[10:11], vcc, 1.0, v[1:2], 1.0
	v_fma_f64 v[12:13], -v[3:4], v[7:8], 1.0
	v_fma_f64 v[7:8], v[7:8], v[12:13], v[7:8]
	v_mul_f64 v[12:13], v[10:11], v[7:8]
	v_fma_f64 v[3:4], -v[3:4], v[12:13], v[10:11]
	v_div_fmas_f64 v[3:4], v[3:4], v[7:8], v[12:13]
	v_add_f64 v[7:8], v[5:6], 0
	v_div_fixup_f64 v[1:2], v[3:4], v[1:2], 1.0
	v_fma_f64 v[3:4], v[5:6], 0, -1.0
	v_mul_f64 v[5:6], v[7:8], v[1:2]
	v_mul_f64 v[7:8], v[3:4], v[1:2]
                                        ; implicit-def: $vgpr1_vgpr2
.LBB237_6:
	s_andn2_saveexec_b64 s[8:9], s[8:9]
	s_cbranch_execz .LBB237_8
; %bb.7:
	v_div_scale_f64 v[5:6], s[16:17], v[1:2], v[1:2], v[3:4]
	v_rcp_f64_e32 v[7:8], v[5:6]
	v_fma_f64 v[10:11], -v[5:6], v[7:8], 1.0
	v_fma_f64 v[7:8], v[7:8], v[10:11], v[7:8]
	v_div_scale_f64 v[10:11], vcc, v[3:4], v[1:2], v[3:4]
	v_fma_f64 v[12:13], -v[5:6], v[7:8], 1.0
	v_fma_f64 v[7:8], v[7:8], v[12:13], v[7:8]
	v_mul_f64 v[12:13], v[10:11], v[7:8]
	v_fma_f64 v[5:6], -v[5:6], v[12:13], v[10:11]
	v_div_fmas_f64 v[5:6], v[5:6], v[7:8], v[12:13]
	v_div_fixup_f64 v[5:6], v[5:6], v[1:2], v[3:4]
	v_fma_f64 v[1:2], v[3:4], v[5:6], v[1:2]
	v_div_scale_f64 v[3:4], s[16:17], v[1:2], v[1:2], 1.0
	v_rcp_f64_e32 v[7:8], v[3:4]
	v_fma_f64 v[10:11], -v[3:4], v[7:8], 1.0
	v_fma_f64 v[7:8], v[7:8], v[10:11], v[7:8]
	v_div_scale_f64 v[10:11], vcc, 1.0, v[1:2], 1.0
	v_fma_f64 v[12:13], -v[3:4], v[7:8], 1.0
	v_fma_f64 v[7:8], v[7:8], v[12:13], v[7:8]
	v_mul_f64 v[12:13], v[10:11], v[7:8]
	v_fma_f64 v[3:4], -v[3:4], v[12:13], v[10:11]
	v_div_fmas_f64 v[3:4], v[3:4], v[7:8], v[12:13]
	v_fma_f64 v[7:8], v[5:6], 0, 1.0
	v_div_fixup_f64 v[1:2], v[3:4], v[1:2], 1.0
	v_add_f64 v[3:4], -v[5:6], 0
	v_mul_f64 v[5:6], v[7:8], v[1:2]
	v_mul_f64 v[7:8], v[3:4], v[1:2]
.LBB237_8:
	s_or_b64 exec, exec, s[8:9]
	s_branch .LBB237_10
.LBB237_9:
	v_mov_b32_e32 v7, 0
	v_mov_b32_e32 v5, 0
	;; [unrolled: 1-line block ×4, first 2 shown]
.LBB237_10:
	ds_write_b128 v9, v[5:8]
.LBB237_11:
	s_or_b64 exec, exec, s[26:27]
	s_lshl_b32 s8, s6, 5
	s_add_i32 s29, s29, -1
	s_sub_i32 s9, s23, s8
	s_cmp_ge_u32 s6, s29
	s_cselect_b32 s6, s9, 32
	v_cmp_gt_i32_e32 vcc, s6, v0
	s_waitcnt lgkmcnt(0)
	; wave barrier
	s_and_saveexec_b64 s[16:17], vcc
	s_cbranch_execz .LBB237_54
; %bb.12:
	s_load_dwordx2 s[16:17], s[4:5], 0x60
	s_load_dword s6, s[4:5], 0x58
	v_add_u32_e32 v0, s8, v0
	s_waitcnt lgkmcnt(0)
	s_mul_i32 s5, s17, s7
	s_mul_hi_u32 s8, s16, s7
	s_mul_i32 s4, s16, s7
	s_add_i32 s5, s8, s5
	v_mad_i64_i32 v[0:1], s[6:7], s6, v0, 0
	s_lshl_b64 s[4:5], s[4:5], 4
	s_add_u32 s8, s10, s4
	s_addc_u32 s9, s11, s5
	s_lshl_b64 s[6:7], s[24:25], 4
	s_add_u32 s8, s8, s6
	v_lshlrev_b64 v[4:5], 4, v[0:1]
	s_addc_u32 s9, s9, s7
	v_mov_b32_e32 v0, s9
	v_add_co_u32_e32 v6, vcc, s8, v4
	v_addc_co_u32_e32 v7, vcc, v0, v5, vcc
	s_cmpk_eq_i32 s20, 0x6f
	s_mov_b64 s[8:9], -1
	s_cbranch_scc1 .LBB237_33
; %bb.13:
	s_add_i32 s24, s28, -1
	s_add_u32 s8, s10, s6
	s_addc_u32 s9, s11, s7
	s_add_u32 s8, s8, s4
	s_addc_u32 s9, s9, s5
	v_mov_b32_e32 v0, s9
	v_add_co_u32_e32 v1, vcc, s8, v4
	v_addc_co_u32_e32 v0, vcc, v0, v5, vcc
	v_add_co_u32_e32 v8, vcc, 8, v1
	s_lshl_b32 s25, s28, 4
	s_mov_b32 s9, 0
	v_addc_co_u32_e32 v9, vcc, 0, v0, vcc
	s_add_i32 s25, s25, -16
	s_mov_b32 s8, s9
	s_mov_b32 s16, s24
	s_branch .LBB237_15
.LBB237_14:                             ;   in Loop: Header=BB237_15 Depth=1
	s_cmp_lt_i32 s16, 0
	s_cselect_b64 s[18:19], -1, 0
	s_add_i32 s8, s8, 1
	s_cmp_eq_u32 s8, 3
	s_cselect_b64 s[20:21], -1, 0
	s_or_b64 s[18:19], s[18:19], s[20:21]
	s_andn2_b64 vcc, exec, s[18:19]
	s_cbranch_vccz .LBB237_32
.LBB237_15:                             ; =>This Loop Header: Depth=1
                                        ;     Child Loop BB237_18 Depth 2
                                        ;       Child Loop BB237_19 Depth 3
                                        ;       Child Loop BB237_21 Depth 3
                                        ;         Child Loop BB237_22 Depth 4
                                        ;       Child Loop BB237_26 Depth 3
                                        ;         Child Loop BB237_28 Depth 4
	s_lshl_b64 s[18:19], s[8:9], 2
	s_getpc_b64 s[20:21]
	s_add_u32 s20, s20, __const._ZL30rocblas_trsm_small_left_deviceILi32ELi32ELb1E19rocblas_complex_numIdES1_PKS1_PS1_Ev13rocblas_fill_18rocblas_operation_17rocblas_diagonal_iiT3_T4_lilT5_lili.step_sizes@rel32@lo+4
	s_addc_u32 s21, s21, __const._ZL30rocblas_trsm_small_left_deviceILi32ELi32ELb1E19rocblas_complex_numIdES1_PKS1_PS1_Ev13rocblas_fill_18rocblas_operation_17rocblas_diagonal_iiT3_T4_lilT5_lili.step_sizes@rel32@hi+12
	s_add_u32 s18, s20, s18
	s_addc_u32 s19, s21, s19
	s_load_dword s26, s[18:19], 0x0
	s_waitcnt lgkmcnt(0)
	s_add_i32 s27, s26, -1
	s_cmp_lt_i32 s16, s27
	s_cbranch_scc1 .LBB237_14
; %bb.16:                               ;   in Loop: Header=BB237_15 Depth=1
	s_lshl_b32 s17, s16, 9
	s_add_i32 s30, s25, s17
	s_lshl_b32 s17, s26, 9
	s_max_i32 s29, s26, 1
	s_sub_i32 s31, 0, s17
	s_mul_i32 s33, s16, 0x210
	s_mul_i32 s34, s26, 0xfffffdf0
	s_branch .LBB237_18
.LBB237_17:                             ;   in Loop: Header=BB237_18 Depth=2
	s_sub_i32 s16, s16, s26
	s_add_i32 s30, s30, s31
	s_add_i32 s33, s33, s34
	s_cmp_lt_i32 s16, s27
	s_cbranch_scc1 .LBB237_14
.LBB237_18:                             ;   Parent Loop BB237_15 Depth=1
                                        ; =>  This Loop Header: Depth=2
                                        ;       Child Loop BB237_19 Depth 3
                                        ;       Child Loop BB237_21 Depth 3
                                        ;         Child Loop BB237_22 Depth 4
                                        ;       Child Loop BB237_26 Depth 3
                                        ;         Child Loop BB237_28 Depth 4
	s_ashr_i32 s17, s16, 31
	s_lshl_b64 s[18:19], s[16:17], 4
	v_mov_b32_e32 v1, s19
	v_add_co_u32_e32 v0, vcc, s18, v8
	v_addc_co_u32_e32 v1, vcc, v9, v1, vcc
	s_mov_b32 s18, 0
	s_mov_b32 s19, s29
.LBB237_19:                             ;   Parent Loop BB237_15 Depth=1
                                        ;     Parent Loop BB237_18 Depth=2
                                        ; =>    This Inner Loop Header: Depth=3
	global_load_dwordx4 v[10:13], v[0:1], off offset:-8
	v_mov_b32_e32 v14, s18
	s_add_i32 s19, s19, -1
	v_add_co_u32_e32 v0, vcc, -16, v0
	s_add_i32 s18, s18, 16
	v_addc_co_u32_e32 v1, vcc, -1, v1, vcc
	s_cmp_eq_u32 s19, 0
	s_waitcnt vmcnt(0)
	v_mul_f64 v[2:3], s[14:15], v[12:13]
	v_mul_f64 v[12:13], s[12:13], v[12:13]
	v_fma_f64 v[2:3], s[12:13], v[10:11], -v[2:3]
	v_fma_f64 v[10:11], s[14:15], v[10:11], v[12:13]
	buffer_store_dword v3, v14, s[0:3], 0 offen offset:4
	buffer_store_dword v2, v14, s[0:3], 0 offen
	buffer_store_dword v11, v14, s[0:3], 0 offen offset:12
	buffer_store_dword v10, v14, s[0:3], 0 offen offset:8
	s_cbranch_scc0 .LBB237_19
; %bb.20:                               ;   in Loop: Header=BB237_18 Depth=2
	s_cmp_le_i32 s24, s16
	s_mov_b32 s20, s30
	s_mov_b32 s18, s24
	s_cbranch_scc1 .LBB237_24
.LBB237_21:                             ;   Parent Loop BB237_15 Depth=1
                                        ;     Parent Loop BB237_18 Depth=2
                                        ; =>    This Loop Header: Depth=3
                                        ;         Child Loop BB237_22 Depth 4
	s_ashr_i32 s19, s18, 31
	s_lshl_b64 s[22:23], s[18:19], 4
	v_mov_b32_e32 v1, s23
	v_add_co_u32_e32 v0, vcc, s22, v6
	v_addc_co_u32_e32 v1, vcc, v7, v1, vcc
	global_load_dwordx4 v[0:3], v[0:1], off
	s_mov_b32 s19, 0
	s_mov_b32 s21, s20
	;; [unrolled: 1-line block ×3, first 2 shown]
.LBB237_22:                             ;   Parent Loop BB237_15 Depth=1
                                        ;     Parent Loop BB237_18 Depth=2
                                        ;       Parent Loop BB237_21 Depth=3
                                        ; =>      This Inner Loop Header: Depth=4
	v_mov_b32_e32 v20, s19
	buffer_load_dword v14, v20, s[0:3], 0 offen
	buffer_load_dword v15, v20, s[0:3], 0 offen offset:4
	buffer_load_dword v16, v20, s[0:3], 0 offen offset:8
	;; [unrolled: 1-line block ×3, first 2 shown]
	v_mov_b32_e32 v10, s21
	ds_read_b128 v[10:13], v10
	s_add_i32 s22, s22, -1
	s_addk_i32 s21, 0xfe00
	s_add_i32 s19, s19, 16
	s_cmp_eq_u32 s22, 0
	s_waitcnt vmcnt(4) lgkmcnt(0)
	v_mul_f64 v[18:19], v[2:3], v[12:13]
	v_mul_f64 v[12:13], v[0:1], v[12:13]
	v_fma_f64 v[18:19], v[0:1], v[10:11], -v[18:19]
	v_fma_f64 v[10:11], v[2:3], v[10:11], v[12:13]
	s_waitcnt vmcnt(2)
	v_add_f64 v[12:13], v[14:15], -v[18:19]
	s_waitcnt vmcnt(0)
	v_add_f64 v[10:11], v[16:17], -v[10:11]
	buffer_store_dword v12, v20, s[0:3], 0 offen
	buffer_store_dword v13, v20, s[0:3], 0 offen offset:4
	buffer_store_dword v10, v20, s[0:3], 0 offen offset:8
	;; [unrolled: 1-line block ×3, first 2 shown]
	s_cbranch_scc0 .LBB237_22
; %bb.23:                               ;   in Loop: Header=BB237_21 Depth=3
	s_add_i32 s18, s18, -1
	s_add_i32 s20, s20, -16
	s_cmp_le_i32 s18, s16
	s_cbranch_scc0 .LBB237_21
.LBB237_24:                             ;   in Loop: Header=BB237_18 Depth=2
	s_mov_b32 s35, 0
	s_mov_b32 s36, s33
	s_branch .LBB237_26
.LBB237_25:                             ;   in Loop: Header=BB237_26 Depth=3
	s_mulk_i32 s20, 0x210
	v_mov_b32_e32 v10, s20
	ds_read_b128 v[10:13], v10
	s_lshl_b64 s[18:19], s[18:19], 4
	s_lshl_b32 s20, s35, 4
	s_add_i32 s35, s35, 1
	s_addk_i32 s36, 0xfe00
	s_waitcnt vmcnt(0) lgkmcnt(0)
	v_mul_f64 v[14:15], v[12:13], v[2:3]
	v_mul_f64 v[2:3], v[10:11], v[2:3]
	v_mov_b32_e32 v16, s20
	s_cmp_eq_u32 s35, s29
	v_fma_f64 v[10:11], v[10:11], v[0:1], -v[14:15]
	v_fma_f64 v[12:13], v[12:13], v[0:1], v[2:3]
	v_mov_b32_e32 v14, s19
	v_add_co_u32_e32 v0, vcc, s18, v6
	v_addc_co_u32_e32 v1, vcc, v7, v14, vcc
	buffer_store_dword v11, v16, s[0:3], 0 offen offset:4
	buffer_store_dword v10, v16, s[0:3], 0 offen
	buffer_store_dword v13, v16, s[0:3], 0 offen offset:12
	buffer_store_dword v12, v16, s[0:3], 0 offen offset:8
	global_store_dwordx4 v[0:1], v[10:13], off
	s_cbranch_scc1 .LBB237_17
.LBB237_26:                             ;   Parent Loop BB237_15 Depth=1
                                        ;     Parent Loop BB237_18 Depth=2
                                        ; =>    This Loop Header: Depth=3
                                        ;         Child Loop BB237_28 Depth 4
	s_cmp_lg_u32 s35, 0
	s_cbranch_scc0 .LBB237_30
; %bb.27:                               ;   in Loop: Header=BB237_26 Depth=3
	s_lshl_b32 s18, s35, 4
	v_mov_b32_e32 v10, s18
	buffer_load_dword v0, v10, s[0:3], 0 offen
	buffer_load_dword v1, v10, s[0:3], 0 offen offset:4
	buffer_load_dword v2, v10, s[0:3], 0 offen offset:8
	buffer_load_dword v3, v10, s[0:3], 0 offen offset:12
	s_mov_b32 s18, 0
	s_mov_b32 s19, s36
	;; [unrolled: 1-line block ×3, first 2 shown]
.LBB237_28:                             ;   Parent Loop BB237_15 Depth=1
                                        ;     Parent Loop BB237_18 Depth=2
                                        ;       Parent Loop BB237_26 Depth=3
                                        ; =>      This Inner Loop Header: Depth=4
	v_mov_b32_e32 v11, s18
	buffer_load_dword v15, v11, s[0:3], 0 offen offset:8
	buffer_load_dword v16, v11, s[0:3], 0 offen offset:12
	buffer_load_dword v17, v11, s[0:3], 0 offen
	buffer_load_dword v18, v11, s[0:3], 0 offen offset:4
	v_mov_b32_e32 v11, s19
	ds_read_b128 v[11:14], v11
	s_add_i32 s20, s20, -1
	s_add_i32 s19, s19, -16
	s_add_i32 s18, s18, 16
	s_cmp_eq_u32 s20, 0
	s_waitcnt vmcnt(2) lgkmcnt(0)
	v_mul_f64 v[19:20], v[13:14], v[15:16]
	v_mul_f64 v[15:16], v[11:12], v[15:16]
	s_waitcnt vmcnt(0)
	v_fma_f64 v[11:12], v[11:12], v[17:18], -v[19:20]
	v_fma_f64 v[13:14], v[13:14], v[17:18], v[15:16]
	v_add_f64 v[0:1], v[0:1], -v[11:12]
	v_add_f64 v[2:3], v[2:3], -v[13:14]
	buffer_store_dword v0, v10, s[0:3], 0 offen
	buffer_store_dword v1, v10, s[0:3], 0 offen offset:4
	buffer_store_dword v2, v10, s[0:3], 0 offen offset:8
	;; [unrolled: 1-line block ×3, first 2 shown]
	s_cbranch_scc0 .LBB237_28
; %bb.29:                               ;   in Loop: Header=BB237_26 Depth=3
	s_sub_i32 s20, s16, s35
	s_ashr_i32 s21, s20, 31
	s_mov_b64 s[18:19], s[20:21]
	s_branch .LBB237_25
.LBB237_30:                             ;   in Loop: Header=BB237_26 Depth=3
                                        ; implicit-def: $vgpr0_vgpr1
                                        ; implicit-def: $vgpr2_vgpr3
                                        ; implicit-def: $sgpr20
                                        ; implicit-def: $sgpr18_sgpr19
	s_cbranch_execz .LBB237_25
; %bb.31:                               ;   in Loop: Header=BB237_26 Depth=3
	buffer_load_dword v0, off, s[0:3], 0
	buffer_load_dword v1, off, s[0:3], 0 offset:4
	buffer_load_dword v2, off, s[0:3], 0 offset:8
	;; [unrolled: 1-line block ×3, first 2 shown]
	s_mov_b64 s[18:19], s[16:17]
	s_mov_b32 s20, s16
	s_branch .LBB237_25
.LBB237_32:
	s_mov_b64 s[8:9], 0
.LBB237_33:
	s_and_b64 vcc, exec, s[8:9]
	s_cbranch_vccz .LBB237_54
; %bb.34:
	s_add_u32 s6, s10, s6
	s_addc_u32 s7, s11, s7
	s_add_u32 s4, s6, s4
	s_addc_u32 s5, s7, s5
	v_mov_b32_e32 v0, s5
	v_add_co_u32_e32 v1, vcc, s4, v4
	v_addc_co_u32_e32 v0, vcc, v0, v5, vcc
	v_add_co_u32_e32 v8, vcc, 8, v1
	s_mov_b32 s5, 0
	v_addc_co_u32_e32 v9, vcc, 0, v0, vcc
	s_mov_b32 s6, s5
	s_mov_b32 s8, s5
	s_branch .LBB237_36
.LBB237_35:                             ;   in Loop: Header=BB237_36 Depth=1
	s_cmp_ge_i32 s6, s28
	s_cselect_b64 s[10:11], -1, 0
	s_add_i32 s8, s8, 1
	s_cmp_eq_u32 s8, 3
	s_cselect_b64 s[16:17], -1, 0
	s_or_b64 s[10:11], s[10:11], s[16:17]
	s_and_b64 vcc, exec, s[10:11]
	s_cbranch_vccnz .LBB237_54
.LBB237_36:                             ; =>This Loop Header: Depth=1
                                        ;     Child Loop BB237_39 Depth 2
                                        ;       Child Loop BB237_40 Depth 3
                                        ;       Child Loop BB237_43 Depth 3
                                        ;         Child Loop BB237_44 Depth 4
                                        ;       Child Loop BB237_48 Depth 3
                                        ;         Child Loop BB237_50 Depth 4
	s_mov_b32 s9, s5
	s_lshl_b64 s[10:11], s[8:9], 2
	s_getpc_b64 s[16:17]
	s_add_u32 s16, s16, __const._ZL30rocblas_trsm_small_left_deviceILi32ELi32ELb1E19rocblas_complex_numIdES1_PKS1_PS1_Ev13rocblas_fill_18rocblas_operation_17rocblas_diagonal_iiT3_T4_lilT5_lili.step_sizes@rel32@lo+4
	s_addc_u32 s17, s17, __const._ZL30rocblas_trsm_small_left_deviceILi32ELi32ELb1E19rocblas_complex_numIdES1_PKS1_PS1_Ev13rocblas_fill_18rocblas_operation_17rocblas_diagonal_iiT3_T4_lilT5_lili.step_sizes@rel32@hi+12
	s_add_u32 s10, s16, s10
	s_addc_u32 s11, s17, s11
	s_load_dword s10, s[10:11], 0x0
	s_waitcnt lgkmcnt(0)
	s_add_i32 s9, s10, -1
	s_add_i32 s4, s9, s6
	s_cmp_ge_i32 s4, s28
	s_cbranch_scc1 .LBB237_35
; %bb.37:                               ;   in Loop: Header=BB237_36 Depth=1
	s_ashr_i32 s7, s6, 31
	s_lshl_b64 s[16:17], s[6:7], 4
	s_ashr_i32 s11, s10, 31
	v_mov_b32_e32 v0, s17
	v_add_co_u32_e32 v4, vcc, s16, v8
	s_lshl_b64 s[16:17], s[10:11], 4
	s_max_i32 s20, s10, 1
	v_addc_co_u32_e32 v5, vcc, v9, v0, vcc
	s_lshl_b32 s7, s6, 4
	s_lshl_b32 s11, s10, 4
	s_mul_i32 s21, s6, 0x210
	s_mul_i32 s22, s10, 0x210
	v_mov_b32_e32 v10, s17
	s_branch .LBB237_39
.LBB237_38:                             ;   in Loop: Header=BB237_39 Depth=2
	s_add_i32 s6, s6, s10
	s_add_i32 s4, s9, s6
	;; [unrolled: 1-line block ×4, first 2 shown]
	v_add_co_u32_e32 v4, vcc, s16, v4
	s_cmp_ge_i32 s4, s28
	v_addc_co_u32_e32 v5, vcc, v5, v10, vcc
	s_cbranch_scc1 .LBB237_35
.LBB237_39:                             ;   Parent Loop BB237_36 Depth=1
                                        ; =>  This Loop Header: Depth=2
                                        ;       Child Loop BB237_40 Depth 3
                                        ;       Child Loop BB237_43 Depth 3
                                        ;         Child Loop BB237_44 Depth 4
                                        ;       Child Loop BB237_48 Depth 3
                                        ;         Child Loop BB237_50 Depth 4
	v_mov_b32_e32 v0, v4
	s_mov_b32 s4, 0
	v_mov_b32_e32 v1, v5
	s_mov_b32 s17, s20
.LBB237_40:                             ;   Parent Loop BB237_36 Depth=1
                                        ;     Parent Loop BB237_39 Depth=2
                                        ; =>    This Inner Loop Header: Depth=3
	global_load_dwordx4 v[11:14], v[0:1], off offset:-8
	v_mov_b32_e32 v15, s4
	s_add_i32 s17, s17, -1
	v_add_co_u32_e32 v0, vcc, 16, v0
	s_add_i32 s4, s4, 16
	v_addc_co_u32_e32 v1, vcc, 0, v1, vcc
	s_cmp_eq_u32 s17, 0
	s_waitcnt vmcnt(0)
	v_mul_f64 v[2:3], s[14:15], v[13:14]
	v_mul_f64 v[13:14], s[12:13], v[13:14]
	v_fma_f64 v[2:3], s[12:13], v[11:12], -v[2:3]
	v_fma_f64 v[11:12], s[14:15], v[11:12], v[13:14]
	buffer_store_dword v3, v15, s[0:3], 0 offen offset:4
	buffer_store_dword v2, v15, s[0:3], 0 offen
	buffer_store_dword v12, v15, s[0:3], 0 offen offset:12
	buffer_store_dword v11, v15, s[0:3], 0 offen offset:8
	s_cbranch_scc0 .LBB237_40
; %bb.41:                               ;   in Loop: Header=BB237_39 Depth=2
	s_cmp_lt_i32 s6, 1
	s_cbranch_scc1 .LBB237_46
; %bb.42:                               ;   in Loop: Header=BB237_39 Depth=2
	s_mov_b32 s4, 0
	s_mov_b32 s17, s7
.LBB237_43:                             ;   Parent Loop BB237_36 Depth=1
                                        ;     Parent Loop BB237_39 Depth=2
                                        ; =>    This Loop Header: Depth=3
                                        ;         Child Loop BB237_44 Depth 4
	s_lshl_b64 s[18:19], s[4:5], 4
	v_mov_b32_e32 v1, s19
	v_add_co_u32_e32 v0, vcc, s18, v6
	v_addc_co_u32_e32 v1, vcc, v7, v1, vcc
	global_load_dwordx4 v[0:3], v[0:1], off
	s_mov_b32 s18, 0
	s_mov_b32 s19, s17
	s_mov_b32 s23, s20
.LBB237_44:                             ;   Parent Loop BB237_36 Depth=1
                                        ;     Parent Loop BB237_39 Depth=2
                                        ;       Parent Loop BB237_43 Depth=3
                                        ; =>      This Inner Loop Header: Depth=4
	v_mov_b32_e32 v21, s18
	buffer_load_dword v15, v21, s[0:3], 0 offen
	buffer_load_dword v16, v21, s[0:3], 0 offen offset:4
	buffer_load_dword v17, v21, s[0:3], 0 offen offset:8
	;; [unrolled: 1-line block ×3, first 2 shown]
	v_mov_b32_e32 v11, s19
	ds_read_b128 v[11:14], v11
	s_add_i32 s23, s23, -1
	s_add_i32 s19, s19, 16
	s_add_i32 s18, s18, 16
	s_cmp_eq_u32 s23, 0
	s_waitcnt vmcnt(4) lgkmcnt(0)
	v_mul_f64 v[19:20], v[2:3], v[13:14]
	v_mul_f64 v[13:14], v[0:1], v[13:14]
	v_fma_f64 v[19:20], v[0:1], v[11:12], -v[19:20]
	v_fma_f64 v[11:12], v[2:3], v[11:12], v[13:14]
	s_waitcnt vmcnt(2)
	v_add_f64 v[13:14], v[15:16], -v[19:20]
	s_waitcnt vmcnt(0)
	v_add_f64 v[11:12], v[17:18], -v[11:12]
	buffer_store_dword v13, v21, s[0:3], 0 offen
	buffer_store_dword v14, v21, s[0:3], 0 offen offset:4
	buffer_store_dword v11, v21, s[0:3], 0 offen offset:8
	;; [unrolled: 1-line block ×3, first 2 shown]
	s_cbranch_scc0 .LBB237_44
; %bb.45:                               ;   in Loop: Header=BB237_43 Depth=3
	s_add_i32 s4, s4, 1
	s_addk_i32 s17, 0x200
	s_cmp_eq_u32 s4, s6
	s_cbranch_scc0 .LBB237_43
.LBB237_46:                             ;   in Loop: Header=BB237_39 Depth=2
	s_mov_b32 s4, 0
	s_mov_b32 s17, s21
	s_branch .LBB237_48
.LBB237_47:                             ;   in Loop: Header=BB237_48 Depth=3
	s_add_i32 s18, s4, s6
	s_mul_i32 s19, s18, 0x210
	v_mov_b32_e32 v11, s19
	ds_read_b128 v[11:14], v11
	s_lshl_b32 s19, s4, 4
	v_mov_b32_e32 v17, s19
	s_ashr_i32 s19, s18, 31
	s_lshl_b64 s[18:19], s[18:19], 4
	s_waitcnt vmcnt(0) lgkmcnt(0)
	v_mul_f64 v[15:16], v[13:14], v[2:3]
	v_mul_f64 v[2:3], v[11:12], v[2:3]
	s_add_i32 s4, s4, 1
	s_add_i32 s17, s17, 16
	s_cmp_eq_u32 s4, s20
	v_fma_f64 v[11:12], v[11:12], v[0:1], -v[15:16]
	v_fma_f64 v[13:14], v[13:14], v[0:1], v[2:3]
	v_mov_b32_e32 v15, s19
	v_add_co_u32_e32 v0, vcc, s18, v6
	v_addc_co_u32_e32 v1, vcc, v7, v15, vcc
	buffer_store_dword v12, v17, s[0:3], 0 offen offset:4
	buffer_store_dword v11, v17, s[0:3], 0 offen
	buffer_store_dword v14, v17, s[0:3], 0 offen offset:12
	buffer_store_dword v13, v17, s[0:3], 0 offen offset:8
	global_store_dwordx4 v[0:1], v[11:14], off
	s_cbranch_scc1 .LBB237_38
.LBB237_48:                             ;   Parent Loop BB237_36 Depth=1
                                        ;     Parent Loop BB237_39 Depth=2
                                        ; =>    This Loop Header: Depth=3
                                        ;         Child Loop BB237_50 Depth 4
	s_cmp_lg_u32 s4, 0
	s_cbranch_scc0 .LBB237_52
; %bb.49:                               ;   in Loop: Header=BB237_48 Depth=3
	s_lshl_b32 s18, s4, 4
	v_mov_b32_e32 v11, s18
	buffer_load_dword v0, v11, s[0:3], 0 offen
	buffer_load_dword v1, v11, s[0:3], 0 offen offset:4
	buffer_load_dword v2, v11, s[0:3], 0 offen offset:8
	;; [unrolled: 1-line block ×3, first 2 shown]
	s_mov_b32 s18, 0
	s_mov_b32 s19, s17
	;; [unrolled: 1-line block ×3, first 2 shown]
.LBB237_50:                             ;   Parent Loop BB237_36 Depth=1
                                        ;     Parent Loop BB237_39 Depth=2
                                        ;       Parent Loop BB237_48 Depth=3
                                        ; =>      This Inner Loop Header: Depth=4
	v_mov_b32_e32 v12, s18
	buffer_load_dword v16, v12, s[0:3], 0 offen offset:8
	buffer_load_dword v17, v12, s[0:3], 0 offen offset:12
	buffer_load_dword v18, v12, s[0:3], 0 offen
	buffer_load_dword v19, v12, s[0:3], 0 offen offset:4
	v_mov_b32_e32 v12, s19
	ds_read_b128 v[12:15], v12
	s_add_i32 s23, s23, -1
	s_addk_i32 s19, 0x200
	s_add_i32 s18, s18, 16
	s_cmp_eq_u32 s23, 0
	s_waitcnt vmcnt(2) lgkmcnt(0)
	v_mul_f64 v[20:21], v[14:15], v[16:17]
	v_mul_f64 v[16:17], v[12:13], v[16:17]
	s_waitcnt vmcnt(0)
	v_fma_f64 v[12:13], v[12:13], v[18:19], -v[20:21]
	v_fma_f64 v[14:15], v[14:15], v[18:19], v[16:17]
	v_add_f64 v[0:1], v[0:1], -v[12:13]
	v_add_f64 v[2:3], v[2:3], -v[14:15]
	buffer_store_dword v0, v11, s[0:3], 0 offen
	buffer_store_dword v1, v11, s[0:3], 0 offen offset:4
	buffer_store_dword v2, v11, s[0:3], 0 offen offset:8
	;; [unrolled: 1-line block ×3, first 2 shown]
	s_cbranch_scc0 .LBB237_50
; %bb.51:                               ;   in Loop: Header=BB237_48 Depth=3
	s_branch .LBB237_47
.LBB237_52:                             ;   in Loop: Header=BB237_48 Depth=3
                                        ; implicit-def: $vgpr0_vgpr1
                                        ; implicit-def: $vgpr2_vgpr3
	s_cbranch_execz .LBB237_47
; %bb.53:                               ;   in Loop: Header=BB237_48 Depth=3
	buffer_load_dword v0, off, s[0:3], 0
	buffer_load_dword v1, off, s[0:3], 0 offset:4
	buffer_load_dword v2, off, s[0:3], 0 offset:8
	;; [unrolled: 1-line block ×3, first 2 shown]
	s_branch .LBB237_47
.LBB237_54:
	s_endpgm
	.section	.rodata,"a",@progbits
	.p2align	6, 0x0
	.amdhsa_kernel _ZL30rocblas_trsm_small_left_deviceILi32ELi32ELb1E19rocblas_complex_numIdES1_PKS1_PS1_Ev13rocblas_fill_18rocblas_operation_17rocblas_diagonal_iiT3_T4_lilT5_lili
		.amdhsa_group_segment_fixed_size 16384
		.amdhsa_private_segment_fixed_size 528
		.amdhsa_kernarg_size 368
		.amdhsa_user_sgpr_count 6
		.amdhsa_user_sgpr_private_segment_buffer 1
		.amdhsa_user_sgpr_dispatch_ptr 0
		.amdhsa_user_sgpr_queue_ptr 0
		.amdhsa_user_sgpr_kernarg_segment_ptr 1
		.amdhsa_user_sgpr_dispatch_id 0
		.amdhsa_user_sgpr_flat_scratch_init 0
		.amdhsa_user_sgpr_private_segment_size 0
		.amdhsa_uses_dynamic_stack 0
		.amdhsa_system_sgpr_private_segment_wavefront_offset 1
		.amdhsa_system_sgpr_workgroup_id_x 1
		.amdhsa_system_sgpr_workgroup_id_y 0
		.amdhsa_system_sgpr_workgroup_id_z 1
		.amdhsa_system_sgpr_workgroup_info 0
		.amdhsa_system_vgpr_workitem_id 0
		.amdhsa_next_free_vgpr 129
		.amdhsa_next_free_sgpr 98
		.amdhsa_reserve_vcc 1
		.amdhsa_reserve_flat_scratch 0
		.amdhsa_float_round_mode_32 0
		.amdhsa_float_round_mode_16_64 0
		.amdhsa_float_denorm_mode_32 3
		.amdhsa_float_denorm_mode_16_64 3
		.amdhsa_dx10_clamp 1
		.amdhsa_ieee_mode 1
		.amdhsa_fp16_overflow 0
		.amdhsa_exception_fp_ieee_invalid_op 0
		.amdhsa_exception_fp_denorm_src 0
		.amdhsa_exception_fp_ieee_div_zero 0
		.amdhsa_exception_fp_ieee_overflow 0
		.amdhsa_exception_fp_ieee_underflow 0
		.amdhsa_exception_fp_ieee_inexact 0
		.amdhsa_exception_int_div_zero 0
	.end_amdhsa_kernel
	.section	.text._ZL30rocblas_trsm_small_left_deviceILi32ELi32ELb1E19rocblas_complex_numIdES1_PKS1_PS1_Ev13rocblas_fill_18rocblas_operation_17rocblas_diagonal_iiT3_T4_lilT5_lili,"axG",@progbits,_ZL30rocblas_trsm_small_left_deviceILi32ELi32ELb1E19rocblas_complex_numIdES1_PKS1_PS1_Ev13rocblas_fill_18rocblas_operation_17rocblas_diagonal_iiT3_T4_lilT5_lili,comdat
.Lfunc_end237:
	.size	_ZL30rocblas_trsm_small_left_deviceILi32ELi32ELb1E19rocblas_complex_numIdES1_PKS1_PS1_Ev13rocblas_fill_18rocblas_operation_17rocblas_diagonal_iiT3_T4_lilT5_lili, .Lfunc_end237-_ZL30rocblas_trsm_small_left_deviceILi32ELi32ELb1E19rocblas_complex_numIdES1_PKS1_PS1_Ev13rocblas_fill_18rocblas_operation_17rocblas_diagonal_iiT3_T4_lilT5_lili
                                        ; -- End function
	.set _ZL30rocblas_trsm_small_left_deviceILi32ELi32ELb1E19rocblas_complex_numIdES1_PKS1_PS1_Ev13rocblas_fill_18rocblas_operation_17rocblas_diagonal_iiT3_T4_lilT5_lili.num_vgpr, 22
	.set _ZL30rocblas_trsm_small_left_deviceILi32ELi32ELb1E19rocblas_complex_numIdES1_PKS1_PS1_Ev13rocblas_fill_18rocblas_operation_17rocblas_diagonal_iiT3_T4_lilT5_lili.num_agpr, 0
	.set _ZL30rocblas_trsm_small_left_deviceILi32ELi32ELb1E19rocblas_complex_numIdES1_PKS1_PS1_Ev13rocblas_fill_18rocblas_operation_17rocblas_diagonal_iiT3_T4_lilT5_lili.numbered_sgpr, 37
	.set _ZL30rocblas_trsm_small_left_deviceILi32ELi32ELb1E19rocblas_complex_numIdES1_PKS1_PS1_Ev13rocblas_fill_18rocblas_operation_17rocblas_diagonal_iiT3_T4_lilT5_lili.num_named_barrier, 0
	.set _ZL30rocblas_trsm_small_left_deviceILi32ELi32ELb1E19rocblas_complex_numIdES1_PKS1_PS1_Ev13rocblas_fill_18rocblas_operation_17rocblas_diagonal_iiT3_T4_lilT5_lili.private_seg_size, 528
	.set _ZL30rocblas_trsm_small_left_deviceILi32ELi32ELb1E19rocblas_complex_numIdES1_PKS1_PS1_Ev13rocblas_fill_18rocblas_operation_17rocblas_diagonal_iiT3_T4_lilT5_lili.uses_vcc, 1
	.set _ZL30rocblas_trsm_small_left_deviceILi32ELi32ELb1E19rocblas_complex_numIdES1_PKS1_PS1_Ev13rocblas_fill_18rocblas_operation_17rocblas_diagonal_iiT3_T4_lilT5_lili.uses_flat_scratch, 0
	.set _ZL30rocblas_trsm_small_left_deviceILi32ELi32ELb1E19rocblas_complex_numIdES1_PKS1_PS1_Ev13rocblas_fill_18rocblas_operation_17rocblas_diagonal_iiT3_T4_lilT5_lili.has_dyn_sized_stack, 0
	.set _ZL30rocblas_trsm_small_left_deviceILi32ELi32ELb1E19rocblas_complex_numIdES1_PKS1_PS1_Ev13rocblas_fill_18rocblas_operation_17rocblas_diagonal_iiT3_T4_lilT5_lili.has_recursion, 0
	.set _ZL30rocblas_trsm_small_left_deviceILi32ELi32ELb1E19rocblas_complex_numIdES1_PKS1_PS1_Ev13rocblas_fill_18rocblas_operation_17rocblas_diagonal_iiT3_T4_lilT5_lili.has_indirect_call, 0
	.section	.AMDGPU.csdata,"",@progbits
; Kernel info:
; codeLenInByte = 2932
; TotalNumSgprs: 41
; NumVgprs: 22
; ScratchSize: 528
; MemoryBound: 0
; FloatMode: 240
; IeeeMode: 1
; LDSByteSize: 16384 bytes/workgroup (compile time only)
; SGPRBlocks: 12
; VGPRBlocks: 32
; NumSGPRsForWavesPerEU: 102
; NumVGPRsForWavesPerEU: 129
; Occupancy: 1
; WaveLimiterHint : 0
; COMPUTE_PGM_RSRC2:SCRATCH_EN: 1
; COMPUTE_PGM_RSRC2:USER_SGPR: 6
; COMPUTE_PGM_RSRC2:TRAP_HANDLER: 0
; COMPUTE_PGM_RSRC2:TGID_X_EN: 1
; COMPUTE_PGM_RSRC2:TGID_Y_EN: 0
; COMPUTE_PGM_RSRC2:TGID_Z_EN: 1
; COMPUTE_PGM_RSRC2:TIDIG_COMP_CNT: 0
	.section	.text._ZL31rocblas_trsm_small_right_deviceI19rocblas_complex_numIdES1_PKS1_PS1_Li32EEv13rocblas_fill_18rocblas_operation_17rocblas_diagonal_iiT0_T1_lilT2_lili,"axG",@progbits,_ZL31rocblas_trsm_small_right_deviceI19rocblas_complex_numIdES1_PKS1_PS1_Li32EEv13rocblas_fill_18rocblas_operation_17rocblas_diagonal_iiT0_T1_lilT2_lili,comdat
	.globl	_ZL31rocblas_trsm_small_right_deviceI19rocblas_complex_numIdES1_PKS1_PS1_Li32EEv13rocblas_fill_18rocblas_operation_17rocblas_diagonal_iiT0_T1_lilT2_lili ; -- Begin function _ZL31rocblas_trsm_small_right_deviceI19rocblas_complex_numIdES1_PKS1_PS1_Li32EEv13rocblas_fill_18rocblas_operation_17rocblas_diagonal_iiT0_T1_lilT2_lili
	.p2align	8
	.type	_ZL31rocblas_trsm_small_right_deviceI19rocblas_complex_numIdES1_PKS1_PS1_Li32EEv13rocblas_fill_18rocblas_operation_17rocblas_diagonal_iiT0_T1_lilT2_lili,@function
_ZL31rocblas_trsm_small_right_deviceI19rocblas_complex_numIdES1_PKS1_PS1_Li32EEv13rocblas_fill_18rocblas_operation_17rocblas_diagonal_iiT0_T1_lilT2_lili: ; @_ZL31rocblas_trsm_small_right_deviceI19rocblas_complex_numIdES1_PKS1_PS1_Li32EEv13rocblas_fill_18rocblas_operation_17rocblas_diagonal_iiT0_T1_lilT2_lili
; %bb.0:
	s_load_dwordx4 s[16:19], s[4:5], 0x0
	s_load_dword s24, s[4:5], 0x10
	s_load_dwordx8 s[8:15], s[4:5], 0x18
	s_load_dwordx2 s[20:21], s[4:5], 0x50
	s_load_dwordx4 s[0:3], s[4:5], 0x40
	s_waitcnt lgkmcnt(0)
	s_min_i32 s25, s24, 32
	v_cmp_gt_i32_e32 vcc, s25, v0
	s_and_saveexec_b64 s[22:23], vcc
	s_cbranch_execz .LBB238_5
; %bb.1:
	s_load_dword s26, s[4:5], 0x38
	s_mul_i32 s1, s1, s7
	s_mul_hi_u32 s28, s0, s7
	s_mul_i32 s0, s0, s7
	v_lshlrev_b32_e32 v3, 4, v0
	s_waitcnt lgkmcnt(0)
	s_ashr_i32 s27, s26, 31
	s_cmpk_eq_i32 s17, 0x71
	s_cselect_b64 vcc, -1, 0
	s_add_i32 s1, s28, s1
	s_lshl_b64 s[0:1], s[0:1], 4
	s_lshl_b64 s[14:15], s[14:15], 4
	s_add_u32 s0, s0, s14
	s_addc_u32 s1, s1, s15
	s_add_u32 s0, s12, s0
	s_addc_u32 s1, s13, s1
	v_mov_b32_e32 v1, s1
	v_add_co_u32_e64 v2, s[0:1], s0, v3
	v_addc_co_u32_e64 v4, s[0:1], 0, v1, s[0:1]
	v_add_co_u32_e64 v1, s[0:1], 8, v2
	s_lshl_b64 s[12:13], s[26:27], 4
	v_addc_co_u32_e64 v2, s[0:1], 0, v4, s[0:1]
	v_mov_b32_e32 v4, s13
	v_mov_b32_e32 v5, v3
	s_mov_b32 s13, s25
.LBB238_2:                              ; =>This Inner Loop Header: Depth=1
	global_load_dwordx4 v[6:9], v[1:2], off offset:-8
	s_add_i32 s13, s13, -1
	v_add_co_u32_e64 v1, s[0:1], s12, v1
	v_addc_co_u32_e64 v2, s[0:1], v2, v4, s[0:1]
	s_cmp_eq_u32 s13, 0
	s_waitcnt vmcnt(0)
	v_xor_b32_e32 v10, 0x80000000, v9
	v_cndmask_b32_e32 v9, v9, v10, vcc
	ds_write_b128 v5, v[6:9]
	v_add_u32_e32 v5, 0x200, v5
	s_cbranch_scc0 .LBB238_2
; %bb.3:
	s_cmpk_eq_i32 s18, 0x84
	s_cbranch_scc0 .LBB238_5
; %bb.4:
	v_mov_b32_e32 v1, 0
	v_lshl_or_b32 v5, v0, 9, v3
	v_mov_b32_e32 v2, 0x3ff00000
	v_mov_b32_e32 v3, v1
	;; [unrolled: 1-line block ×3, first 2 shown]
	ds_write_b128 v5, v[1:4]
.LBB238_5:
	s_or_b64 exec, exec, s[22:23]
	s_load_dword s0, s[4:5], 0x70
	s_load_dwordx2 s[14:15], s[4:5], 0x60
	s_load_dword s12, s[4:5], 0x58
	s_waitcnt lgkmcnt(0)
	s_add_i32 s0, s0, -1
	s_mul_i32 s1, s15, s7
	s_mul_hi_u32 s5, s14, s7
	s_add_i32 s5, s5, s1
	s_lshl_b32 s1, s6, 5
	s_sub_i32 s1, s19, s1
	s_cmp_ge_u32 s6, s0
	s_mul_i32 s4, s14, s7
	s_cselect_b32 s0, s1, 32
	s_ashr_i32 s7, s6, 31
	s_lshl_b64 s[6:7], s[6:7], 9
	v_cmp_gt_i32_e64 s[0:1], s0, v0
	s_and_saveexec_b64 s[14:15], s[0:1]
	s_cbranch_execz .LBB238_9
; %bb.6:
	s_cmp_lt_i32 s24, 1
	s_cbranch_scc1 .LBB238_9
; %bb.7:
	s_ashr_i32 s13, s12, 31
	s_lshl_b64 s[18:19], s[4:5], 4
	s_add_u32 s22, s18, s6
	s_addc_u32 s23, s19, s7
	s_lshl_b64 s[18:19], s[20:21], 4
	s_add_u32 s18, s22, s18
	s_addc_u32 s19, s23, s19
	s_add_u32 s18, s2, s18
	v_lshlrev_b32_e32 v3, 4, v0
	s_addc_u32 s19, s3, s19
	v_mov_b32_e32 v1, s19
	v_add_co_u32_e32 v2, vcc, s18, v3
	v_addc_co_u32_e32 v4, vcc, 0, v1, vcc
	v_add_co_u32_e32 v1, vcc, 8, v2
	s_lshl_b64 s[18:19], s[12:13], 4
	v_addc_co_u32_e32 v2, vcc, 0, v4, vcc
	v_or_b32_e32 v3, 0x4000, v3
	v_mov_b32_e32 v4, s19
	s_mov_b32 s13, s24
.LBB238_8:                              ; =>This Inner Loop Header: Depth=1
	global_load_dwordx4 v[5:8], v[1:2], off offset:-8
	s_add_i32 s13, s13, -1
	v_add_co_u32_e32 v1, vcc, s18, v1
	v_addc_co_u32_e32 v2, vcc, v2, v4, vcc
	s_cmp_lg_u32 s13, 0
	s_waitcnt vmcnt(0)
	v_mul_f64 v[9:10], s[10:11], v[7:8]
	v_mul_f64 v[11:12], s[8:9], v[7:8]
	v_fma_f64 v[7:8], s[8:9], v[5:6], -v[9:10]
	v_fma_f64 v[9:10], s[10:11], v[5:6], v[11:12]
	ds_write_b128 v3, v[7:10]
	v_add_u32_e32 v3, 0x200, v3
	s_cbranch_scc1 .LBB238_8
.LBB238_9:
	s_or_b64 exec, exec, s[14:15]
	s_cmpk_eq_i32 s17, 0x6f
	s_cselect_b64 s[8:9], -1, 0
	s_cmpk_lg_i32 s16, 0x79
	s_cselect_b64 s[10:11], -1, 0
	s_cmpk_eq_i32 s16, 0x79
	s_cselect_b64 s[14:15], -1, 0
	s_and_b64 s[14:15], s[14:15], s[8:9]
	s_andn2_b64 vcc, exec, s[14:15]
	s_mov_b64 s[14:15], -1
	s_waitcnt lgkmcnt(0)
	; wave barrier
	s_cbranch_vccz .LBB238_110
; %bb.10:
	s_cmpk_lg_i32 s16, 0x7a
	s_cselect_b64 s[16:17], -1, 0
	s_xor_b64 s[8:9], s[8:9], -1
	s_add_i32 s13, s25, -1
	s_or_b64 s[16:17], s[16:17], s[8:9]
	v_mov_b32_e32 v1, 0x4000
	s_cmp_gt_i32 s24, 3
	v_lshl_or_b32 v25, v0, 4, v1
	s_cselect_b64 s[8:9], -1, 0
	s_and_b64 vcc, exec, s[16:17]
	s_cbranch_vccz .LBB238_77
; %bb.11:
	s_andn2_b64 vcc, exec, s[10:11]
	s_mov_b64 s[10:11], -1
	s_cbranch_vccnz .LBB238_44
; %bb.12:
	s_andn2_b64 vcc, exec, s[8:9]
	s_mov_b32 s16, 0
	s_cbranch_vccnz .LBB238_34
; %bb.13:
	v_mov_b32_e32 v1, 0x4000
	v_lshl_or_b32 v26, v0, 4, v1
	s_mov_b32 s14, 0
	s_mov_b32 s15, 0
.LBB238_14:                             ; =>This Loop Header: Depth=1
                                        ;     Child Loop BB238_15 Depth 2
	s_lshl_b32 s10, s15, 9
	s_or_b32 s16, s15, 2
	v_add_u32_e32 v30, s10, v25
	s_or_b32 s18, s15, 1
	v_lshl_add_u32 v28, s16, 9, v25
	s_or_b32 s11, s10, 0x600
	v_lshl_add_u32 v29, s18, 9, v25
	ds_read_b128 v[17:20], v30
	ds_read_b128 v[13:16], v29
	v_add_u32_e32 v27, s11, v25
	ds_read_b128 v[5:8], v28
	ds_read_b128 v[1:4], v27
	s_cmp_eq_u32 s15, 0
	v_mov_b32_e32 v9, v26
	s_mov_b32 s11, s14
	s_mov_b32 s17, s15
	s_cbranch_scc1 .LBB238_16
.LBB238_15:                             ;   Parent Loop BB238_14 Depth=1
                                        ; =>  This Inner Loop Header: Depth=2
	v_mov_b32_e32 v10, s11
	ds_read_b128 v[21:24], v9
	ds_read_b128 v[31:34], v10
	ds_read_b128 v[35:38], v10 offset:16
	ds_read_b128 v[39:42], v10 offset:32
	;; [unrolled: 1-line block ×3, first 2 shown]
	s_add_i32 s17, s17, -1
	s_addk_i32 s11, 0x200
	s_cmp_eq_u32 s17, 0
	s_waitcnt lgkmcnt(3)
	v_mul_f64 v[10:11], v[23:24], v[33:34]
	v_mul_f64 v[33:34], v[21:22], v[33:34]
	s_waitcnt lgkmcnt(2)
	v_mul_f64 v[47:48], v[23:24], v[37:38]
	v_mul_f64 v[37:38], v[21:22], v[37:38]
	;; [unrolled: 3-line block ×4, first 2 shown]
	v_fma_f64 v[10:11], v[21:22], v[31:32], -v[10:11]
	v_fma_f64 v[31:32], v[23:24], v[31:32], v[33:34]
	v_fma_f64 v[33:34], v[21:22], v[35:36], -v[47:48]
	v_fma_f64 v[35:36], v[23:24], v[35:36], v[37:38]
	v_fma_f64 v[37:38], v[21:22], v[39:40], -v[49:50]
	v_fma_f64 v[39:40], v[23:24], v[39:40], v[41:42]
	v_fma_f64 v[21:22], v[21:22], v[43:44], -v[51:52]
	v_fma_f64 v[23:24], v[23:24], v[43:44], v[45:46]
	v_add_f64 v[17:18], v[17:18], -v[10:11]
	v_add_f64 v[19:20], v[19:20], -v[31:32]
	;; [unrolled: 1-line block ×8, first 2 shown]
	v_add_u32_e32 v9, 0x200, v9
	s_cbranch_scc0 .LBB238_15
.LBB238_16:                             ;   in Loop: Header=BB238_14 Depth=1
	s_lshl_b32 s17, s15, 4
	s_add_i32 s19, s17, s10
	v_mov_b32_e32 v9, s19
	ds_read_b128 v[21:24], v9
	s_mov_b64 s[10:11], -1
                                        ; implicit-def: $vgpr11_vgpr12
	s_waitcnt lgkmcnt(0)
	v_cmp_ngt_f64_e64 s[22:23], |v[21:22]|, |v[23:24]|
	s_and_b64 vcc, exec, s[22:23]
	s_cbranch_vccz .LBB238_18
; %bb.17:                               ;   in Loop: Header=BB238_14 Depth=1
	v_div_scale_f64 v[9:10], s[10:11], v[23:24], v[23:24], v[21:22]
	v_rcp_f64_e32 v[11:12], v[9:10]
	v_fma_f64 v[31:32], -v[9:10], v[11:12], 1.0
	v_fma_f64 v[11:12], v[11:12], v[31:32], v[11:12]
	v_div_scale_f64 v[31:32], vcc, v[21:22], v[23:24], v[21:22]
	v_fma_f64 v[33:34], -v[9:10], v[11:12], 1.0
	v_fma_f64 v[11:12], v[11:12], v[33:34], v[11:12]
	v_mul_f64 v[33:34], v[31:32], v[11:12]
	v_fma_f64 v[9:10], -v[9:10], v[33:34], v[31:32]
	v_div_fmas_f64 v[9:10], v[9:10], v[11:12], v[33:34]
	v_div_fixup_f64 v[9:10], v[9:10], v[23:24], v[21:22]
	v_fma_f64 v[11:12], v[21:22], v[9:10], v[23:24]
	v_div_scale_f64 v[31:32], s[10:11], v[11:12], v[11:12], 1.0
	s_mov_b64 s[10:11], 0
	v_rcp_f64_e32 v[33:34], v[31:32]
	v_fma_f64 v[35:36], -v[31:32], v[33:34], 1.0
	v_fma_f64 v[33:34], v[33:34], v[35:36], v[33:34]
	v_div_scale_f64 v[35:36], vcc, 1.0, v[11:12], 1.0
	v_fma_f64 v[37:38], -v[31:32], v[33:34], 1.0
	v_fma_f64 v[33:34], v[33:34], v[37:38], v[33:34]
	v_mul_f64 v[37:38], v[35:36], v[33:34]
	v_fma_f64 v[31:32], -v[31:32], v[37:38], v[35:36]
	v_div_fmas_f64 v[31:32], v[31:32], v[33:34], v[37:38]
	v_fma_f64 v[33:34], v[17:18], v[9:10], v[19:20]
	v_div_fixup_f64 v[11:12], v[31:32], v[11:12], 1.0
	v_fma_f64 v[31:32], v[19:20], v[9:10], -v[17:18]
	v_mul_f64 v[9:10], v[33:34], v[11:12]
	v_mul_f64 v[11:12], v[31:32], v[11:12]
.LBB238_18:                             ;   in Loop: Header=BB238_14 Depth=1
	s_andn2_b64 vcc, exec, s[10:11]
	s_cbranch_vccnz .LBB238_20
; %bb.19:                               ;   in Loop: Header=BB238_14 Depth=1
	v_div_scale_f64 v[9:10], s[10:11], v[21:22], v[21:22], v[23:24]
	v_rcp_f64_e32 v[11:12], v[9:10]
	v_fma_f64 v[31:32], -v[9:10], v[11:12], 1.0
	v_fma_f64 v[11:12], v[11:12], v[31:32], v[11:12]
	v_div_scale_f64 v[31:32], vcc, v[23:24], v[21:22], v[23:24]
	v_fma_f64 v[33:34], -v[9:10], v[11:12], 1.0
	v_fma_f64 v[11:12], v[11:12], v[33:34], v[11:12]
	v_mul_f64 v[33:34], v[31:32], v[11:12]
	v_fma_f64 v[9:10], -v[9:10], v[33:34], v[31:32]
	v_div_fmas_f64 v[9:10], v[9:10], v[11:12], v[33:34]
	v_div_fixup_f64 v[9:10], v[9:10], v[21:22], v[23:24]
	v_fma_f64 v[11:12], v[23:24], v[9:10], v[21:22]
	v_div_scale_f64 v[21:22], s[10:11], v[11:12], v[11:12], 1.0
	v_rcp_f64_e32 v[23:24], v[21:22]
	v_fma_f64 v[31:32], -v[21:22], v[23:24], 1.0
	v_fma_f64 v[23:24], v[23:24], v[31:32], v[23:24]
	v_div_scale_f64 v[31:32], vcc, 1.0, v[11:12], 1.0
	v_fma_f64 v[33:34], -v[21:22], v[23:24], 1.0
	v_fma_f64 v[23:24], v[23:24], v[33:34], v[23:24]
	v_mul_f64 v[33:34], v[31:32], v[23:24]
	v_fma_f64 v[21:22], -v[21:22], v[33:34], v[31:32]
	v_div_fmas_f64 v[21:22], v[21:22], v[23:24], v[33:34]
	v_fma_f64 v[23:24], v[19:20], v[9:10], v[17:18]
	v_fma_f64 v[17:18], -v[17:18], v[9:10], v[19:20]
	v_div_fixup_f64 v[11:12], v[21:22], v[11:12], 1.0
	v_mul_f64 v[9:10], v[23:24], v[11:12]
	v_mul_f64 v[11:12], v[17:18], v[11:12]
.LBB238_20:                             ;   in Loop: Header=BB238_14 Depth=1
	v_mov_b32_e32 v17, s19
	ds_read_b128 v[21:24], v17 offset:16
	ds_read_b128 v[17:20], v17 offset:528
	s_mov_b64 s[10:11], -1
	ds_write_b128 v30, v[9:12]
	s_waitcnt lgkmcnt(2)
	v_mul_f64 v[31:32], v[11:12], v[23:24]
	v_mul_f64 v[23:24], v[9:10], v[23:24]
	s_waitcnt lgkmcnt(1)
	v_cmp_ngt_f64_e64 s[22:23], |v[17:18]|, |v[19:20]|
	v_fma_f64 v[31:32], v[9:10], v[21:22], -v[31:32]
	v_fma_f64 v[23:24], v[11:12], v[21:22], v[23:24]
	s_and_b64 vcc, exec, s[22:23]
	v_add_f64 v[21:22], v[13:14], -v[31:32]
	v_add_f64 v[23:24], v[15:16], -v[23:24]
                                        ; implicit-def: $vgpr15_vgpr16
	s_cbranch_vccz .LBB238_22
; %bb.21:                               ;   in Loop: Header=BB238_14 Depth=1
	v_div_scale_f64 v[13:14], s[10:11], v[19:20], v[19:20], v[17:18]
	v_rcp_f64_e32 v[15:16], v[13:14]
	v_fma_f64 v[30:31], -v[13:14], v[15:16], 1.0
	v_fma_f64 v[15:16], v[15:16], v[30:31], v[15:16]
	v_div_scale_f64 v[30:31], vcc, v[17:18], v[19:20], v[17:18]
	v_fma_f64 v[32:33], -v[13:14], v[15:16], 1.0
	v_fma_f64 v[15:16], v[15:16], v[32:33], v[15:16]
	v_mul_f64 v[32:33], v[30:31], v[15:16]
	v_fma_f64 v[13:14], -v[13:14], v[32:33], v[30:31]
	v_div_fmas_f64 v[13:14], v[13:14], v[15:16], v[32:33]
	v_div_fixup_f64 v[13:14], v[13:14], v[19:20], v[17:18]
	v_fma_f64 v[15:16], v[17:18], v[13:14], v[19:20]
	v_div_scale_f64 v[30:31], s[10:11], v[15:16], v[15:16], 1.0
	s_mov_b64 s[10:11], 0
	v_rcp_f64_e32 v[32:33], v[30:31]
	v_fma_f64 v[34:35], -v[30:31], v[32:33], 1.0
	v_fma_f64 v[32:33], v[32:33], v[34:35], v[32:33]
	v_div_scale_f64 v[34:35], vcc, 1.0, v[15:16], 1.0
	v_fma_f64 v[36:37], -v[30:31], v[32:33], 1.0
	v_fma_f64 v[32:33], v[32:33], v[36:37], v[32:33]
	v_mul_f64 v[36:37], v[34:35], v[32:33]
	v_fma_f64 v[30:31], -v[30:31], v[36:37], v[34:35]
	v_div_fmas_f64 v[30:31], v[30:31], v[32:33], v[36:37]
	v_fma_f64 v[32:33], v[13:14], v[21:22], v[23:24]
	v_div_fixup_f64 v[15:16], v[30:31], v[15:16], 1.0
	v_fma_f64 v[30:31], v[13:14], v[23:24], -v[21:22]
	v_mul_f64 v[13:14], v[32:33], v[15:16]
	v_mul_f64 v[15:16], v[30:31], v[15:16]
.LBB238_22:                             ;   in Loop: Header=BB238_14 Depth=1
	s_andn2_b64 vcc, exec, s[10:11]
	s_cbranch_vccnz .LBB238_24
; %bb.23:                               ;   in Loop: Header=BB238_14 Depth=1
	v_div_scale_f64 v[13:14], s[10:11], v[17:18], v[17:18], v[19:20]
	v_rcp_f64_e32 v[15:16], v[13:14]
	v_fma_f64 v[30:31], -v[13:14], v[15:16], 1.0
	v_fma_f64 v[15:16], v[15:16], v[30:31], v[15:16]
	v_div_scale_f64 v[30:31], vcc, v[19:20], v[17:18], v[19:20]
	v_fma_f64 v[32:33], -v[13:14], v[15:16], 1.0
	v_fma_f64 v[15:16], v[15:16], v[32:33], v[15:16]
	v_mul_f64 v[32:33], v[30:31], v[15:16]
	v_fma_f64 v[13:14], -v[13:14], v[32:33], v[30:31]
	v_div_fmas_f64 v[13:14], v[13:14], v[15:16], v[32:33]
	v_div_fixup_f64 v[13:14], v[13:14], v[17:18], v[19:20]
	v_fma_f64 v[15:16], v[19:20], v[13:14], v[17:18]
	v_div_scale_f64 v[17:18], s[10:11], v[15:16], v[15:16], 1.0
	v_rcp_f64_e32 v[19:20], v[17:18]
	v_fma_f64 v[30:31], -v[17:18], v[19:20], 1.0
	v_fma_f64 v[19:20], v[19:20], v[30:31], v[19:20]
	v_div_scale_f64 v[30:31], vcc, 1.0, v[15:16], 1.0
	v_fma_f64 v[32:33], -v[17:18], v[19:20], 1.0
	v_fma_f64 v[19:20], v[19:20], v[32:33], v[19:20]
	v_mul_f64 v[32:33], v[30:31], v[19:20]
	v_fma_f64 v[17:18], -v[17:18], v[32:33], v[30:31]
	v_div_fmas_f64 v[17:18], v[17:18], v[19:20], v[32:33]
	v_fma_f64 v[19:20], v[13:14], v[23:24], v[21:22]
	v_div_fixup_f64 v[15:16], v[17:18], v[15:16], 1.0
	v_fma_f64 v[17:18], -v[13:14], v[21:22], v[23:24]
	v_mul_f64 v[13:14], v[19:20], v[15:16]
	v_mul_f64 v[15:16], v[17:18], v[15:16]
.LBB238_24:                             ;   in Loop: Header=BB238_14 Depth=1
	v_mov_b32_e32 v21, s19
	ds_read_b128 v[17:20], v21 offset:32
	s_add_i32 s22, s19, 0x210
	s_lshl_b32 s10, s18, 4
	s_sub_i32 s18, s22, s10
	s_add_i32 s18, s18, s17
	v_mov_b32_e32 v30, s18
	ds_read_b128 v[30:33], v30 offset:32
	s_waitcnt lgkmcnt(1)
	v_mul_f64 v[34:35], v[11:12], v[19:20]
	v_mul_f64 v[19:20], v[9:10], v[19:20]
	ds_read_b128 v[21:24], v21 offset:1056
	s_mov_b64 s[10:11], -1
	s_waitcnt lgkmcnt(1)
	v_mul_f64 v[36:37], v[15:16], v[32:33]
	v_mul_f64 v[32:33], v[13:14], v[32:33]
	ds_write_b128 v29, v[13:16]
	s_waitcnt lgkmcnt(1)
	v_cmp_ngt_f64_e64 s[26:27], |v[21:22]|, |v[23:24]|
	v_fma_f64 v[34:35], v[9:10], v[17:18], -v[34:35]
	v_fma_f64 v[17:18], v[11:12], v[17:18], v[19:20]
	v_fma_f64 v[19:20], v[13:14], v[30:31], -v[36:37]
	v_fma_f64 v[30:31], v[15:16], v[30:31], v[32:33]
	s_and_b64 vcc, exec, s[26:27]
	v_add_f64 v[5:6], v[5:6], -v[34:35]
	v_add_f64 v[7:8], v[7:8], -v[17:18]
	;; [unrolled: 1-line block ×4, first 2 shown]
                                        ; implicit-def: $vgpr19_vgpr20
	s_cbranch_vccz .LBB238_26
; %bb.25:                               ;   in Loop: Header=BB238_14 Depth=1
	v_div_scale_f64 v[17:18], s[10:11], v[23:24], v[23:24], v[21:22]
	v_rcp_f64_e32 v[19:20], v[17:18]
	v_fma_f64 v[29:30], -v[17:18], v[19:20], 1.0
	v_fma_f64 v[19:20], v[19:20], v[29:30], v[19:20]
	v_div_scale_f64 v[29:30], vcc, v[21:22], v[23:24], v[21:22]
	v_fma_f64 v[31:32], -v[17:18], v[19:20], 1.0
	v_fma_f64 v[19:20], v[19:20], v[31:32], v[19:20]
	v_mul_f64 v[31:32], v[29:30], v[19:20]
	v_fma_f64 v[17:18], -v[17:18], v[31:32], v[29:30]
	v_div_fmas_f64 v[17:18], v[17:18], v[19:20], v[31:32]
	v_div_fixup_f64 v[17:18], v[17:18], v[23:24], v[21:22]
	v_fma_f64 v[19:20], v[21:22], v[17:18], v[23:24]
	v_div_scale_f64 v[29:30], s[10:11], v[19:20], v[19:20], 1.0
	s_mov_b64 s[10:11], 0
	v_rcp_f64_e32 v[31:32], v[29:30]
	v_fma_f64 v[33:34], -v[29:30], v[31:32], 1.0
	v_fma_f64 v[31:32], v[31:32], v[33:34], v[31:32]
	v_div_scale_f64 v[33:34], vcc, 1.0, v[19:20], 1.0
	v_fma_f64 v[35:36], -v[29:30], v[31:32], 1.0
	v_fma_f64 v[31:32], v[31:32], v[35:36], v[31:32]
	v_mul_f64 v[35:36], v[33:34], v[31:32]
	v_fma_f64 v[29:30], -v[29:30], v[35:36], v[33:34]
	v_div_fmas_f64 v[29:30], v[29:30], v[31:32], v[35:36]
	v_fma_f64 v[31:32], v[17:18], v[5:6], v[7:8]
	v_div_fixup_f64 v[19:20], v[29:30], v[19:20], 1.0
	v_fma_f64 v[29:30], v[17:18], v[7:8], -v[5:6]
	v_mul_f64 v[17:18], v[31:32], v[19:20]
	v_mul_f64 v[19:20], v[29:30], v[19:20]
.LBB238_26:                             ;   in Loop: Header=BB238_14 Depth=1
	s_andn2_b64 vcc, exec, s[10:11]
	s_cbranch_vccnz .LBB238_28
; %bb.27:                               ;   in Loop: Header=BB238_14 Depth=1
	v_div_scale_f64 v[17:18], s[10:11], v[21:22], v[21:22], v[23:24]
	v_rcp_f64_e32 v[19:20], v[17:18]
	v_fma_f64 v[29:30], -v[17:18], v[19:20], 1.0
	v_fma_f64 v[19:20], v[19:20], v[29:30], v[19:20]
	v_div_scale_f64 v[29:30], vcc, v[23:24], v[21:22], v[23:24]
	v_fma_f64 v[31:32], -v[17:18], v[19:20], 1.0
	v_fma_f64 v[19:20], v[19:20], v[31:32], v[19:20]
	v_mul_f64 v[31:32], v[29:30], v[19:20]
	v_fma_f64 v[17:18], -v[17:18], v[31:32], v[29:30]
	v_div_fmas_f64 v[17:18], v[17:18], v[19:20], v[31:32]
	v_div_fixup_f64 v[17:18], v[17:18], v[21:22], v[23:24]
	v_fma_f64 v[19:20], v[23:24], v[17:18], v[21:22]
	v_div_scale_f64 v[21:22], s[10:11], v[19:20], v[19:20], 1.0
	v_rcp_f64_e32 v[23:24], v[21:22]
	v_fma_f64 v[29:30], -v[21:22], v[23:24], 1.0
	v_fma_f64 v[23:24], v[23:24], v[29:30], v[23:24]
	v_div_scale_f64 v[29:30], vcc, 1.0, v[19:20], 1.0
	v_fma_f64 v[31:32], -v[21:22], v[23:24], 1.0
	v_fma_f64 v[23:24], v[23:24], v[31:32], v[23:24]
	v_mul_f64 v[31:32], v[29:30], v[23:24]
	v_fma_f64 v[21:22], -v[21:22], v[31:32], v[29:30]
	v_div_fmas_f64 v[21:22], v[21:22], v[23:24], v[31:32]
	v_fma_f64 v[23:24], v[17:18], v[7:8], v[5:6]
	v_fma_f64 v[5:6], -v[17:18], v[5:6], v[7:8]
	v_div_fixup_f64 v[19:20], v[21:22], v[19:20], 1.0
	v_mul_f64 v[17:18], v[23:24], v[19:20]
	v_mul_f64 v[19:20], v[5:6], v[19:20]
.LBB238_28:                             ;   in Loop: Header=BB238_14 Depth=1
	v_mov_b32_e32 v5, s19
	ds_read_b128 v[21:24], v5 offset:48
	v_mov_b32_e32 v6, s18
	ds_read_b128 v[29:32], v6 offset:48
	ds_read_b128 v[5:8], v5 offset:1584
	s_lshl_b32 s10, s16, 4
	s_sub_i32 s10, s22, s10
	s_waitcnt lgkmcnt(2)
	v_mul_f64 v[37:38], v[11:12], v[23:24]
	v_mul_f64 v[23:24], v[9:10], v[23:24]
	s_waitcnt lgkmcnt(1)
	v_mul_f64 v[39:40], v[15:16], v[31:32]
	v_mul_f64 v[31:32], v[13:14], v[31:32]
	s_add_i32 s10, s10, s17
	v_mov_b32_e32 v33, s10
	ds_read_b128 v[33:36], v33 offset:576
	s_waitcnt lgkmcnt(1)
	v_cmp_ngt_f64_e64 s[16:17], |v[5:6]|, |v[7:8]|
	v_fma_f64 v[9:10], v[9:10], v[21:22], -v[37:38]
	v_fma_f64 v[11:12], v[11:12], v[21:22], v[23:24]
	v_fma_f64 v[13:14], v[13:14], v[29:30], -v[39:40]
	s_waitcnt lgkmcnt(0)
	v_mul_f64 v[21:22], v[19:20], v[35:36]
	v_mul_f64 v[23:24], v[17:18], v[35:36]
	v_fma_f64 v[15:16], v[15:16], v[29:30], v[31:32]
	s_mov_b64 s[10:11], -1
	s_and_b64 vcc, exec, s[16:17]
	v_add_f64 v[1:2], v[1:2], -v[9:10]
	v_add_f64 v[3:4], v[3:4], -v[11:12]
	ds_write_b128 v28, v[17:20]
	v_fma_f64 v[9:10], v[17:18], v[33:34], -v[21:22]
	v_fma_f64 v[11:12], v[19:20], v[33:34], v[23:24]
	v_add_f64 v[1:2], v[1:2], -v[13:14]
	v_add_f64 v[3:4], v[3:4], -v[15:16]
	;; [unrolled: 1-line block ×4, first 2 shown]
                                        ; implicit-def: $vgpr3_vgpr4
	s_cbranch_vccz .LBB238_30
; %bb.29:                               ;   in Loop: Header=BB238_14 Depth=1
	v_div_scale_f64 v[1:2], s[10:11], v[7:8], v[7:8], v[5:6]
	v_rcp_f64_e32 v[3:4], v[1:2]
	v_fma_f64 v[13:14], -v[1:2], v[3:4], 1.0
	v_fma_f64 v[3:4], v[3:4], v[13:14], v[3:4]
	v_div_scale_f64 v[13:14], vcc, v[5:6], v[7:8], v[5:6]
	v_fma_f64 v[15:16], -v[1:2], v[3:4], 1.0
	v_fma_f64 v[3:4], v[3:4], v[15:16], v[3:4]
	v_mul_f64 v[15:16], v[13:14], v[3:4]
	v_fma_f64 v[1:2], -v[1:2], v[15:16], v[13:14]
	v_div_fmas_f64 v[1:2], v[1:2], v[3:4], v[15:16]
	v_div_fixup_f64 v[1:2], v[1:2], v[7:8], v[5:6]
	v_fma_f64 v[3:4], v[5:6], v[1:2], v[7:8]
	v_div_scale_f64 v[13:14], s[10:11], v[3:4], v[3:4], 1.0
	s_mov_b64 s[10:11], 0
	v_rcp_f64_e32 v[15:16], v[13:14]
	v_fma_f64 v[17:18], -v[13:14], v[15:16], 1.0
	v_fma_f64 v[15:16], v[15:16], v[17:18], v[15:16]
	v_div_scale_f64 v[17:18], vcc, 1.0, v[3:4], 1.0
	v_fma_f64 v[19:20], -v[13:14], v[15:16], 1.0
	v_fma_f64 v[15:16], v[15:16], v[19:20], v[15:16]
	v_mul_f64 v[19:20], v[17:18], v[15:16]
	v_fma_f64 v[13:14], -v[13:14], v[19:20], v[17:18]
	v_div_fmas_f64 v[13:14], v[13:14], v[15:16], v[19:20]
	v_fma_f64 v[15:16], v[1:2], v[9:10], v[11:12]
	v_div_fixup_f64 v[3:4], v[13:14], v[3:4], 1.0
	v_fma_f64 v[13:14], v[1:2], v[11:12], -v[9:10]
	v_mul_f64 v[1:2], v[15:16], v[3:4]
	v_mul_f64 v[3:4], v[13:14], v[3:4]
.LBB238_30:                             ;   in Loop: Header=BB238_14 Depth=1
	s_andn2_b64 vcc, exec, s[10:11]
	s_cbranch_vccnz .LBB238_32
; %bb.31:                               ;   in Loop: Header=BB238_14 Depth=1
	v_div_scale_f64 v[1:2], s[10:11], v[5:6], v[5:6], v[7:8]
	v_rcp_f64_e32 v[3:4], v[1:2]
	v_fma_f64 v[13:14], -v[1:2], v[3:4], 1.0
	v_fma_f64 v[3:4], v[3:4], v[13:14], v[3:4]
	v_div_scale_f64 v[13:14], vcc, v[7:8], v[5:6], v[7:8]
	v_fma_f64 v[15:16], -v[1:2], v[3:4], 1.0
	v_fma_f64 v[3:4], v[3:4], v[15:16], v[3:4]
	v_mul_f64 v[15:16], v[13:14], v[3:4]
	v_fma_f64 v[1:2], -v[1:2], v[15:16], v[13:14]
	v_div_fmas_f64 v[1:2], v[1:2], v[3:4], v[15:16]
	v_div_fixup_f64 v[1:2], v[1:2], v[5:6], v[7:8]
	v_fma_f64 v[3:4], v[7:8], v[1:2], v[5:6]
	v_div_scale_f64 v[5:6], s[10:11], v[3:4], v[3:4], 1.0
	v_rcp_f64_e32 v[7:8], v[5:6]
	v_fma_f64 v[13:14], -v[5:6], v[7:8], 1.0
	v_fma_f64 v[7:8], v[7:8], v[13:14], v[7:8]
	v_div_scale_f64 v[13:14], vcc, 1.0, v[3:4], 1.0
	v_fma_f64 v[15:16], -v[5:6], v[7:8], 1.0
	v_fma_f64 v[7:8], v[7:8], v[15:16], v[7:8]
	v_mul_f64 v[15:16], v[13:14], v[7:8]
	v_fma_f64 v[5:6], -v[5:6], v[15:16], v[13:14]
	v_div_fmas_f64 v[5:6], v[5:6], v[7:8], v[15:16]
	v_fma_f64 v[7:8], v[1:2], v[11:12], v[9:10]
	v_div_fixup_f64 v[3:4], v[5:6], v[3:4], 1.0
	v_fma_f64 v[5:6], -v[1:2], v[9:10], v[11:12]
	v_mul_f64 v[1:2], v[7:8], v[3:4]
	v_mul_f64 v[3:4], v[5:6], v[3:4]
.LBB238_32:                             ;   in Loop: Header=BB238_14 Depth=1
	s_add_i32 s16, s15, 4
	s_add_i32 s10, s15, 7
	;; [unrolled: 1-line block ×3, first 2 shown]
	s_cmp_ge_i32 s10, s25
	ds_write_b128 v27, v[1:4]
	s_cbranch_scc1 .LBB238_34
; %bb.33:                               ;   in Loop: Header=BB238_14 Depth=1
	s_mov_b32 s15, s16
	s_branch .LBB238_14
.LBB238_34:
	s_cmp_ge_i32 s16, s25
	s_cbranch_scc1 .LBB238_43
; %bb.35:
	v_mov_b32_e32 v1, 0x4000
	s_lshl_b32 s14, s16, 4
	v_lshl_or_b32 v13, v0, 4, v1
	s_branch .LBB238_37
.LBB238_36:                             ;   in Loop: Header=BB238_37 Depth=1
	s_add_i32 s16, s16, 1
	s_add_i32 s14, s14, 16
	s_cmp_ge_i32 s16, s25
	ds_write_b128 v14, v[9:12]
	s_cbranch_scc1 .LBB238_43
.LBB238_37:                             ; =>This Loop Header: Depth=1
                                        ;     Child Loop BB238_38 Depth 2
	s_lshl_b32 s10, s16, 9
	v_add_u32_e32 v14, s10, v25
	ds_read_b128 v[1:4], v14
	s_cmp_eq_u32 s16, 0
	v_mov_b32_e32 v5, v13
	s_mov_b32 s11, s14
	s_mov_b32 s15, s16
	s_cbranch_scc1 .LBB238_39
.LBB238_38:                             ;   Parent Loop BB238_37 Depth=1
                                        ; =>  This Inner Loop Header: Depth=2
	v_mov_b32_e32 v10, s11
	ds_read_b128 v[6:9], v5
	ds_read_b128 v[15:18], v10
	s_add_i32 s15, s15, -1
	s_addk_i32 s11, 0x200
	s_cmp_eq_u32 s15, 0
	v_add_u32_e32 v5, 0x200, v5
	s_waitcnt lgkmcnt(0)
	v_mul_f64 v[10:11], v[17:18], v[8:9]
	v_mul_f64 v[8:9], v[15:16], v[8:9]
	v_fma_f64 v[10:11], v[15:16], v[6:7], -v[10:11]
	v_fma_f64 v[6:7], v[17:18], v[6:7], v[8:9]
	v_add_f64 v[1:2], v[1:2], -v[10:11]
	v_add_f64 v[3:4], v[3:4], -v[6:7]
	s_cbranch_scc0 .LBB238_38
.LBB238_39:                             ;   in Loop: Header=BB238_37 Depth=1
	s_lshl_b32 s11, s16, 4
	s_add_i32 s10, s11, s10
	v_mov_b32_e32 v5, s10
	ds_read_b128 v[5:8], v5
	s_mov_b64 s[10:11], -1
                                        ; implicit-def: $vgpr9_vgpr10
	s_waitcnt lgkmcnt(0)
	v_cmp_ngt_f64_e64 s[18:19], |v[5:6]|, |v[7:8]|
	s_and_b64 vcc, exec, s[18:19]
	s_cbranch_vccz .LBB238_41
; %bb.40:                               ;   in Loop: Header=BB238_37 Depth=1
	v_div_scale_f64 v[9:10], s[10:11], v[7:8], v[7:8], v[5:6]
	v_rcp_f64_e32 v[11:12], v[9:10]
	v_fma_f64 v[15:16], -v[9:10], v[11:12], 1.0
	v_fma_f64 v[11:12], v[11:12], v[15:16], v[11:12]
	v_div_scale_f64 v[15:16], vcc, v[5:6], v[7:8], v[5:6]
	v_fma_f64 v[17:18], -v[9:10], v[11:12], 1.0
	v_fma_f64 v[11:12], v[11:12], v[17:18], v[11:12]
	v_mul_f64 v[17:18], v[15:16], v[11:12]
	v_fma_f64 v[9:10], -v[9:10], v[17:18], v[15:16]
	v_div_fmas_f64 v[9:10], v[9:10], v[11:12], v[17:18]
	v_div_fixup_f64 v[9:10], v[9:10], v[7:8], v[5:6]
	v_fma_f64 v[11:12], v[5:6], v[9:10], v[7:8]
	v_div_scale_f64 v[15:16], s[10:11], v[11:12], v[11:12], 1.0
	s_mov_b64 s[10:11], 0
	v_rcp_f64_e32 v[17:18], v[15:16]
	v_fma_f64 v[19:20], -v[15:16], v[17:18], 1.0
	v_fma_f64 v[17:18], v[17:18], v[19:20], v[17:18]
	v_div_scale_f64 v[19:20], vcc, 1.0, v[11:12], 1.0
	v_fma_f64 v[21:22], -v[15:16], v[17:18], 1.0
	v_fma_f64 v[17:18], v[17:18], v[21:22], v[17:18]
	v_mul_f64 v[21:22], v[19:20], v[17:18]
	v_fma_f64 v[15:16], -v[15:16], v[21:22], v[19:20]
	v_div_fmas_f64 v[15:16], v[15:16], v[17:18], v[21:22]
	v_fma_f64 v[17:18], v[1:2], v[9:10], v[3:4]
	v_div_fixup_f64 v[11:12], v[15:16], v[11:12], 1.0
	v_fma_f64 v[15:16], v[3:4], v[9:10], -v[1:2]
	v_mul_f64 v[9:10], v[17:18], v[11:12]
	v_mul_f64 v[11:12], v[15:16], v[11:12]
.LBB238_41:                             ;   in Loop: Header=BB238_37 Depth=1
	s_andn2_b64 vcc, exec, s[10:11]
	s_cbranch_vccnz .LBB238_36
; %bb.42:                               ;   in Loop: Header=BB238_37 Depth=1
	v_div_scale_f64 v[9:10], s[10:11], v[5:6], v[5:6], v[7:8]
	v_rcp_f64_e32 v[11:12], v[9:10]
	v_fma_f64 v[15:16], -v[9:10], v[11:12], 1.0
	v_fma_f64 v[11:12], v[11:12], v[15:16], v[11:12]
	v_div_scale_f64 v[15:16], vcc, v[7:8], v[5:6], v[7:8]
	v_fma_f64 v[17:18], -v[9:10], v[11:12], 1.0
	v_fma_f64 v[11:12], v[11:12], v[17:18], v[11:12]
	v_mul_f64 v[17:18], v[15:16], v[11:12]
	v_fma_f64 v[9:10], -v[9:10], v[17:18], v[15:16]
	v_div_fmas_f64 v[9:10], v[9:10], v[11:12], v[17:18]
	v_div_fixup_f64 v[9:10], v[9:10], v[5:6], v[7:8]
	v_fma_f64 v[5:6], v[7:8], v[9:10], v[5:6]
	v_div_scale_f64 v[7:8], s[10:11], v[5:6], v[5:6], 1.0
	v_rcp_f64_e32 v[11:12], v[7:8]
	v_fma_f64 v[15:16], -v[7:8], v[11:12], 1.0
	v_fma_f64 v[11:12], v[11:12], v[15:16], v[11:12]
	v_div_scale_f64 v[15:16], vcc, 1.0, v[5:6], 1.0
	v_fma_f64 v[17:18], -v[7:8], v[11:12], 1.0
	v_fma_f64 v[11:12], v[11:12], v[17:18], v[11:12]
	v_mul_f64 v[17:18], v[15:16], v[11:12]
	v_fma_f64 v[7:8], -v[7:8], v[17:18], v[15:16]
	v_div_fmas_f64 v[7:8], v[7:8], v[11:12], v[17:18]
	v_fma_f64 v[11:12], v[3:4], v[9:10], v[1:2]
	v_fma_f64 v[1:2], -v[1:2], v[9:10], v[3:4]
	v_div_fixup_f64 v[5:6], v[7:8], v[5:6], 1.0
	v_mul_f64 v[9:10], v[11:12], v[5:6]
	v_mul_f64 v[11:12], v[1:2], v[5:6]
	s_branch .LBB238_36
.LBB238_43:
	s_mov_b64 s[10:11], 0
.LBB238_44:
	s_and_b64 vcc, exec, s[10:11]
	s_cbranch_vccz .LBB238_76
; %bb.45:
	s_andn2_b64 vcc, exec, s[8:9]
	s_mov_b32 s16, s13
	s_cbranch_vccnz .LBB238_67
; %bb.46:
	v_lshlrev_b32_e32 v1, 4, v0
	s_mul_i32 s10, s25, 0x210
	v_lshl_or_b32 v1, s25, 9, v1
	s_add_i32 s14, s10, 0xfffffdc0
	v_add_u32_e32 v26, 0x3e00, v1
	s_mov_b32 s15, s13
.LBB238_47:                             ; =>This Loop Header: Depth=1
                                        ;     Child Loop BB238_48 Depth 2
	s_add_i32 s18, s15, -2
	s_add_i32 s16, s15, -3
	v_lshl_add_u32 v30, s15, 9, v25
	s_add_i32 s17, s15, -1
	v_lshl_add_u32 v28, s18, 9, v25
	s_lshl_b32 s10, s16, 9
	v_lshl_add_u32 v29, s17, 9, v25
	ds_read_b128 v[17:20], v30
	ds_read_b128 v[13:16], v29
	v_add_u32_e32 v27, s10, v25
	ds_read_b128 v[5:8], v28
	ds_read_b128 v[1:4], v27
	s_cmp_le_i32 s13, s15
	v_mov_b32_e32 v9, v26
	s_mov_b32 s10, s14
	s_mov_b32 s11, s13
	s_cbranch_scc1 .LBB238_49
.LBB238_48:                             ;   Parent Loop BB238_47 Depth=1
                                        ; =>  This Inner Loop Header: Depth=2
	v_mov_b32_e32 v10, s10
	ds_read_b128 v[21:24], v9
	ds_read_b128 v[31:34], v10 offset:48
	ds_read_b128 v[35:38], v10 offset:32
	ds_read_b128 v[39:42], v10
	ds_read_b128 v[43:46], v10 offset:16
	s_add_i32 s11, s11, -1
	s_addk_i32 s10, 0xfe00
	s_cmp_le_i32 s11, s15
	s_waitcnt lgkmcnt(3)
	v_mul_f64 v[10:11], v[23:24], v[33:34]
	v_mul_f64 v[33:34], v[21:22], v[33:34]
	s_waitcnt lgkmcnt(2)
	v_mul_f64 v[47:48], v[23:24], v[37:38]
	v_mul_f64 v[37:38], v[21:22], v[37:38]
	;; [unrolled: 3-line block ×3, first 2 shown]
	v_mul_f64 v[51:52], v[23:24], v[41:42]
	v_mul_f64 v[41:42], v[21:22], v[41:42]
	v_fma_f64 v[10:11], v[21:22], v[31:32], -v[10:11]
	v_fma_f64 v[31:32], v[23:24], v[31:32], v[33:34]
	v_fma_f64 v[33:34], v[21:22], v[35:36], -v[47:48]
	v_fma_f64 v[35:36], v[23:24], v[35:36], v[37:38]
	v_fma_f64 v[37:38], v[21:22], v[43:44], -v[49:50]
	v_fma_f64 v[43:44], v[23:24], v[43:44], v[45:46]
	v_fma_f64 v[21:22], v[21:22], v[39:40], -v[51:52]
	v_fma_f64 v[23:24], v[23:24], v[39:40], v[41:42]
	v_add_f64 v[17:18], v[17:18], -v[10:11]
	v_add_f64 v[19:20], v[19:20], -v[31:32]
	;; [unrolled: 1-line block ×8, first 2 shown]
	v_add_u32_e32 v9, 0xfffffe00, v9
	s_cbranch_scc0 .LBB238_48
.LBB238_49:                             ;   in Loop: Header=BB238_47 Depth=1
	s_lshl_b32 s22, s15, 4
	s_lshl_b32 s10, s15, 9
	s_add_i32 s19, s22, s10
	v_mov_b32_e32 v9, s19
	ds_read_b128 v[21:24], v9
	s_mov_b64 s[10:11], -1
                                        ; implicit-def: $vgpr11_vgpr12
	s_waitcnt lgkmcnt(0)
	v_cmp_ngt_f64_e64 s[26:27], |v[21:22]|, |v[23:24]|
	s_and_b64 vcc, exec, s[26:27]
	s_cbranch_vccz .LBB238_51
; %bb.50:                               ;   in Loop: Header=BB238_47 Depth=1
	v_div_scale_f64 v[9:10], s[10:11], v[23:24], v[23:24], v[21:22]
	v_rcp_f64_e32 v[11:12], v[9:10]
	v_fma_f64 v[31:32], -v[9:10], v[11:12], 1.0
	v_fma_f64 v[11:12], v[11:12], v[31:32], v[11:12]
	v_div_scale_f64 v[31:32], vcc, v[21:22], v[23:24], v[21:22]
	v_fma_f64 v[33:34], -v[9:10], v[11:12], 1.0
	v_fma_f64 v[11:12], v[11:12], v[33:34], v[11:12]
	v_mul_f64 v[33:34], v[31:32], v[11:12]
	v_fma_f64 v[9:10], -v[9:10], v[33:34], v[31:32]
	v_div_fmas_f64 v[9:10], v[9:10], v[11:12], v[33:34]
	v_div_fixup_f64 v[9:10], v[9:10], v[23:24], v[21:22]
	v_fma_f64 v[11:12], v[21:22], v[9:10], v[23:24]
	v_div_scale_f64 v[31:32], s[10:11], v[11:12], v[11:12], 1.0
	s_mov_b64 s[10:11], 0
	v_rcp_f64_e32 v[33:34], v[31:32]
	v_fma_f64 v[35:36], -v[31:32], v[33:34], 1.0
	v_fma_f64 v[33:34], v[33:34], v[35:36], v[33:34]
	v_div_scale_f64 v[35:36], vcc, 1.0, v[11:12], 1.0
	v_fma_f64 v[37:38], -v[31:32], v[33:34], 1.0
	v_fma_f64 v[33:34], v[33:34], v[37:38], v[33:34]
	v_mul_f64 v[37:38], v[35:36], v[33:34]
	v_fma_f64 v[31:32], -v[31:32], v[37:38], v[35:36]
	v_div_fmas_f64 v[31:32], v[31:32], v[33:34], v[37:38]
	v_fma_f64 v[33:34], v[17:18], v[9:10], v[19:20]
	v_div_fixup_f64 v[11:12], v[31:32], v[11:12], 1.0
	v_fma_f64 v[31:32], v[19:20], v[9:10], -v[17:18]
	v_mul_f64 v[9:10], v[33:34], v[11:12]
	v_mul_f64 v[11:12], v[31:32], v[11:12]
.LBB238_51:                             ;   in Loop: Header=BB238_47 Depth=1
	s_andn2_b64 vcc, exec, s[10:11]
	s_cbranch_vccnz .LBB238_53
; %bb.52:                               ;   in Loop: Header=BB238_47 Depth=1
	v_div_scale_f64 v[9:10], s[10:11], v[21:22], v[21:22], v[23:24]
	v_rcp_f64_e32 v[11:12], v[9:10]
	v_fma_f64 v[31:32], -v[9:10], v[11:12], 1.0
	v_fma_f64 v[11:12], v[11:12], v[31:32], v[11:12]
	v_div_scale_f64 v[31:32], vcc, v[23:24], v[21:22], v[23:24]
	v_fma_f64 v[33:34], -v[9:10], v[11:12], 1.0
	v_fma_f64 v[11:12], v[11:12], v[33:34], v[11:12]
	v_mul_f64 v[33:34], v[31:32], v[11:12]
	v_fma_f64 v[9:10], -v[9:10], v[33:34], v[31:32]
	v_div_fmas_f64 v[9:10], v[9:10], v[11:12], v[33:34]
	v_div_fixup_f64 v[9:10], v[9:10], v[21:22], v[23:24]
	v_fma_f64 v[11:12], v[23:24], v[9:10], v[21:22]
	v_div_scale_f64 v[21:22], s[10:11], v[11:12], v[11:12], 1.0
	v_rcp_f64_e32 v[23:24], v[21:22]
	v_fma_f64 v[31:32], -v[21:22], v[23:24], 1.0
	v_fma_f64 v[23:24], v[23:24], v[31:32], v[23:24]
	v_div_scale_f64 v[31:32], vcc, 1.0, v[11:12], 1.0
	v_fma_f64 v[33:34], -v[21:22], v[23:24], 1.0
	v_fma_f64 v[23:24], v[23:24], v[33:34], v[23:24]
	v_mul_f64 v[33:34], v[31:32], v[23:24]
	v_fma_f64 v[21:22], -v[21:22], v[33:34], v[31:32]
	v_div_fmas_f64 v[21:22], v[21:22], v[23:24], v[33:34]
	v_fma_f64 v[23:24], v[19:20], v[9:10], v[17:18]
	v_fma_f64 v[17:18], -v[17:18], v[9:10], v[19:20]
	v_div_fixup_f64 v[11:12], v[21:22], v[11:12], 1.0
	v_mul_f64 v[9:10], v[23:24], v[11:12]
	v_mul_f64 v[11:12], v[17:18], v[11:12]
.LBB238_53:                             ;   in Loop: Header=BB238_47 Depth=1
	s_add_i32 s11, s19, -16
	v_mov_b32_e32 v17, s11
	ds_read_b128 v[21:24], v17
	s_lshl_b32 s10, s17, 9
	s_add_i32 s23, s22, s10
	s_add_i32 s23, s23, -16
	v_mov_b32_e32 v17, s23
	s_waitcnt lgkmcnt(0)
	v_mul_f64 v[31:32], v[11:12], v[23:24]
	v_mul_f64 v[23:24], v[9:10], v[23:24]
	ds_read_b128 v[17:20], v17
	s_mov_b64 s[10:11], -1
	ds_write_b128 v30, v[9:12]
	s_waitcnt lgkmcnt(1)
	v_cmp_ngt_f64_e64 s[26:27], |v[17:18]|, |v[19:20]|
	v_fma_f64 v[31:32], v[9:10], v[21:22], -v[31:32]
	v_fma_f64 v[23:24], v[11:12], v[21:22], v[23:24]
	s_and_b64 vcc, exec, s[26:27]
	v_add_f64 v[21:22], v[13:14], -v[31:32]
	v_add_f64 v[23:24], v[15:16], -v[23:24]
                                        ; implicit-def: $vgpr15_vgpr16
	s_cbranch_vccz .LBB238_55
; %bb.54:                               ;   in Loop: Header=BB238_47 Depth=1
	v_div_scale_f64 v[13:14], s[10:11], v[19:20], v[19:20], v[17:18]
	v_rcp_f64_e32 v[15:16], v[13:14]
	v_fma_f64 v[30:31], -v[13:14], v[15:16], 1.0
	v_fma_f64 v[15:16], v[15:16], v[30:31], v[15:16]
	v_div_scale_f64 v[30:31], vcc, v[17:18], v[19:20], v[17:18]
	v_fma_f64 v[32:33], -v[13:14], v[15:16], 1.0
	v_fma_f64 v[15:16], v[15:16], v[32:33], v[15:16]
	v_mul_f64 v[32:33], v[30:31], v[15:16]
	v_fma_f64 v[13:14], -v[13:14], v[32:33], v[30:31]
	v_div_fmas_f64 v[13:14], v[13:14], v[15:16], v[32:33]
	v_div_fixup_f64 v[13:14], v[13:14], v[19:20], v[17:18]
	v_fma_f64 v[15:16], v[17:18], v[13:14], v[19:20]
	v_div_scale_f64 v[30:31], s[10:11], v[15:16], v[15:16], 1.0
	s_mov_b64 s[10:11], 0
	v_rcp_f64_e32 v[32:33], v[30:31]
	v_fma_f64 v[34:35], -v[30:31], v[32:33], 1.0
	v_fma_f64 v[32:33], v[32:33], v[34:35], v[32:33]
	v_div_scale_f64 v[34:35], vcc, 1.0, v[15:16], 1.0
	v_fma_f64 v[36:37], -v[30:31], v[32:33], 1.0
	v_fma_f64 v[32:33], v[32:33], v[36:37], v[32:33]
	v_mul_f64 v[36:37], v[34:35], v[32:33]
	v_fma_f64 v[30:31], -v[30:31], v[36:37], v[34:35]
	v_div_fmas_f64 v[30:31], v[30:31], v[32:33], v[36:37]
	v_fma_f64 v[32:33], v[13:14], v[21:22], v[23:24]
	v_div_fixup_f64 v[15:16], v[30:31], v[15:16], 1.0
	v_fma_f64 v[30:31], v[13:14], v[23:24], -v[21:22]
	v_mul_f64 v[13:14], v[32:33], v[15:16]
	v_mul_f64 v[15:16], v[30:31], v[15:16]
.LBB238_55:                             ;   in Loop: Header=BB238_47 Depth=1
	s_andn2_b64 vcc, exec, s[10:11]
	s_cbranch_vccnz .LBB238_57
; %bb.56:                               ;   in Loop: Header=BB238_47 Depth=1
	v_div_scale_f64 v[13:14], s[10:11], v[17:18], v[17:18], v[19:20]
	v_rcp_f64_e32 v[15:16], v[13:14]
	v_fma_f64 v[30:31], -v[13:14], v[15:16], 1.0
	v_fma_f64 v[15:16], v[15:16], v[30:31], v[15:16]
	v_div_scale_f64 v[30:31], vcc, v[19:20], v[17:18], v[19:20]
	v_fma_f64 v[32:33], -v[13:14], v[15:16], 1.0
	v_fma_f64 v[15:16], v[15:16], v[32:33], v[15:16]
	v_mul_f64 v[32:33], v[30:31], v[15:16]
	v_fma_f64 v[13:14], -v[13:14], v[32:33], v[30:31]
	v_div_fmas_f64 v[13:14], v[13:14], v[15:16], v[32:33]
	v_div_fixup_f64 v[13:14], v[13:14], v[17:18], v[19:20]
	v_fma_f64 v[15:16], v[19:20], v[13:14], v[17:18]
	v_div_scale_f64 v[17:18], s[10:11], v[15:16], v[15:16], 1.0
	v_rcp_f64_e32 v[19:20], v[17:18]
	v_fma_f64 v[30:31], -v[17:18], v[19:20], 1.0
	v_fma_f64 v[19:20], v[19:20], v[30:31], v[19:20]
	v_div_scale_f64 v[30:31], vcc, 1.0, v[15:16], 1.0
	v_fma_f64 v[32:33], -v[17:18], v[19:20], 1.0
	v_fma_f64 v[19:20], v[19:20], v[32:33], v[19:20]
	v_mul_f64 v[32:33], v[30:31], v[19:20]
	v_fma_f64 v[17:18], -v[17:18], v[32:33], v[30:31]
	v_div_fmas_f64 v[17:18], v[17:18], v[19:20], v[32:33]
	v_fma_f64 v[19:20], v[13:14], v[23:24], v[21:22]
	v_div_fixup_f64 v[15:16], v[17:18], v[15:16], 1.0
	v_fma_f64 v[17:18], -v[13:14], v[21:22], v[23:24]
	v_mul_f64 v[13:14], v[19:20], v[15:16]
	v_mul_f64 v[15:16], v[17:18], v[15:16]
.LBB238_57:                             ;   in Loop: Header=BB238_47 Depth=1
	s_sub_i32 s10, s19, 32
	v_mov_b32_e32 v17, s10
	ds_read_b128 v[17:20], v17
	s_lshl_b32 s10, s17, 4
	s_sub_i32 s23, s23, s10
	s_lshl_b32 s17, s18, 4
	s_add_i32 s10, s23, s17
	v_mov_b32_e32 v21, s10
	ds_read_b128 v[21:24], v21
	s_waitcnt lgkmcnt(1)
	v_mul_f64 v[30:31], v[11:12], v[19:20]
	v_mul_f64 v[19:20], v[9:10], v[19:20]
	s_lshl_b32 s10, s18, 9
	s_add_i32 s22, s22, s10
	s_waitcnt lgkmcnt(0)
	v_mul_f64 v[32:33], v[15:16], v[23:24]
	v_mul_f64 v[23:24], v[13:14], v[23:24]
	s_sub_i32 s18, s22, 32
	s_mov_b64 s[10:11], -1
	v_fma_f64 v[30:31], v[9:10], v[17:18], -v[30:31]
	v_fma_f64 v[34:35], v[11:12], v[17:18], v[19:20]
	v_mov_b32_e32 v17, s18
	ds_read_b128 v[17:20], v17
	v_fma_f64 v[32:33], v[13:14], v[21:22], -v[32:33]
	v_fma_f64 v[23:24], v[15:16], v[21:22], v[23:24]
	ds_write_b128 v29, v[13:16]
	v_add_f64 v[5:6], v[5:6], -v[30:31]
	v_add_f64 v[7:8], v[7:8], -v[34:35]
	s_waitcnt lgkmcnt(1)
	v_cmp_ngt_f64_e64 s[26:27], |v[17:18]|, |v[19:20]|
	v_add_f64 v[21:22], v[5:6], -v[32:33]
	v_add_f64 v[23:24], v[7:8], -v[23:24]
	s_and_b64 vcc, exec, s[26:27]
                                        ; implicit-def: $vgpr7_vgpr8
	s_cbranch_vccz .LBB238_59
; %bb.58:                               ;   in Loop: Header=BB238_47 Depth=1
	v_div_scale_f64 v[5:6], s[10:11], v[19:20], v[19:20], v[17:18]
	v_rcp_f64_e32 v[7:8], v[5:6]
	v_fma_f64 v[29:30], -v[5:6], v[7:8], 1.0
	v_fma_f64 v[7:8], v[7:8], v[29:30], v[7:8]
	v_div_scale_f64 v[29:30], vcc, v[17:18], v[19:20], v[17:18]
	v_fma_f64 v[31:32], -v[5:6], v[7:8], 1.0
	v_fma_f64 v[7:8], v[7:8], v[31:32], v[7:8]
	v_mul_f64 v[31:32], v[29:30], v[7:8]
	v_fma_f64 v[5:6], -v[5:6], v[31:32], v[29:30]
	v_div_fmas_f64 v[5:6], v[5:6], v[7:8], v[31:32]
	v_div_fixup_f64 v[5:6], v[5:6], v[19:20], v[17:18]
	v_fma_f64 v[7:8], v[17:18], v[5:6], v[19:20]
	v_div_scale_f64 v[29:30], s[10:11], v[7:8], v[7:8], 1.0
	s_mov_b64 s[10:11], 0
	v_rcp_f64_e32 v[31:32], v[29:30]
	v_fma_f64 v[33:34], -v[29:30], v[31:32], 1.0
	v_fma_f64 v[31:32], v[31:32], v[33:34], v[31:32]
	v_div_scale_f64 v[33:34], vcc, 1.0, v[7:8], 1.0
	v_fma_f64 v[35:36], -v[29:30], v[31:32], 1.0
	v_fma_f64 v[31:32], v[31:32], v[35:36], v[31:32]
	v_mul_f64 v[35:36], v[33:34], v[31:32]
	v_fma_f64 v[29:30], -v[29:30], v[35:36], v[33:34]
	v_div_fmas_f64 v[29:30], v[29:30], v[31:32], v[35:36]
	v_fma_f64 v[31:32], v[5:6], v[21:22], v[23:24]
	v_div_fixup_f64 v[7:8], v[29:30], v[7:8], 1.0
	v_fma_f64 v[29:30], v[5:6], v[23:24], -v[21:22]
	v_mul_f64 v[5:6], v[31:32], v[7:8]
	v_mul_f64 v[7:8], v[29:30], v[7:8]
.LBB238_59:                             ;   in Loop: Header=BB238_47 Depth=1
	s_andn2_b64 vcc, exec, s[10:11]
	s_cbranch_vccnz .LBB238_61
; %bb.60:                               ;   in Loop: Header=BB238_47 Depth=1
	v_div_scale_f64 v[5:6], s[10:11], v[17:18], v[17:18], v[19:20]
	v_rcp_f64_e32 v[7:8], v[5:6]
	v_fma_f64 v[29:30], -v[5:6], v[7:8], 1.0
	v_fma_f64 v[7:8], v[7:8], v[29:30], v[7:8]
	v_div_scale_f64 v[29:30], vcc, v[19:20], v[17:18], v[19:20]
	v_fma_f64 v[31:32], -v[5:6], v[7:8], 1.0
	v_fma_f64 v[7:8], v[7:8], v[31:32], v[7:8]
	v_mul_f64 v[31:32], v[29:30], v[7:8]
	v_fma_f64 v[5:6], -v[5:6], v[31:32], v[29:30]
	v_div_fmas_f64 v[5:6], v[5:6], v[7:8], v[31:32]
	v_div_fixup_f64 v[5:6], v[5:6], v[17:18], v[19:20]
	v_fma_f64 v[7:8], v[19:20], v[5:6], v[17:18]
	v_div_scale_f64 v[17:18], s[10:11], v[7:8], v[7:8], 1.0
	v_rcp_f64_e32 v[19:20], v[17:18]
	v_fma_f64 v[29:30], -v[17:18], v[19:20], 1.0
	v_fma_f64 v[19:20], v[19:20], v[29:30], v[19:20]
	v_div_scale_f64 v[29:30], vcc, 1.0, v[7:8], 1.0
	v_fma_f64 v[31:32], -v[17:18], v[19:20], 1.0
	v_fma_f64 v[19:20], v[19:20], v[31:32], v[19:20]
	v_mul_f64 v[31:32], v[29:30], v[19:20]
	v_fma_f64 v[17:18], -v[17:18], v[31:32], v[29:30]
	v_div_fmas_f64 v[17:18], v[17:18], v[19:20], v[31:32]
	v_fma_f64 v[19:20], v[5:6], v[23:24], v[21:22]
	v_div_fixup_f64 v[7:8], v[17:18], v[7:8], 1.0
	v_fma_f64 v[17:18], -v[5:6], v[21:22], v[23:24]
	v_mul_f64 v[5:6], v[19:20], v[7:8]
	v_mul_f64 v[7:8], v[17:18], v[7:8]
.LBB238_61:                             ;   in Loop: Header=BB238_47 Depth=1
	s_sub_i32 s10, s19, 48
	v_mov_b32_e32 v17, s10
	ds_read_b128 v[17:20], v17
	s_lshl_b32 s10, s16, 4
	s_add_i32 s11, s23, s10
	v_mov_b32_e32 v21, s11
	s_sub_i32 s11, s18, s17
	s_add_i32 s10, s11, s10
	v_mov_b32_e32 v29, s10
	ds_read_b128 v[29:32], v29
	s_waitcnt lgkmcnt(1)
	v_mul_f64 v[33:34], v[11:12], v[19:20]
	v_mul_f64 v[19:20], v[9:10], v[19:20]
	ds_read_b128 v[21:24], v21
	s_add_i32 s16, s18, 0xfffffdf0
	s_mov_b64 s[10:11], -1
	ds_write_b128 v28, v[5:8]
	v_fma_f64 v[33:34], v[9:10], v[17:18], -v[33:34]
	v_mov_b32_e32 v9, s16
	v_fma_f64 v[17:18], v[11:12], v[17:18], v[19:20]
	ds_read_b128 v[9:12], v9
	s_waitcnt lgkmcnt(2)
	v_mul_f64 v[35:36], v[15:16], v[23:24]
	v_mul_f64 v[23:24], v[13:14], v[23:24]
	;; [unrolled: 1-line block ×4, first 2 shown]
	v_add_f64 v[1:2], v[1:2], -v[33:34]
	s_waitcnt lgkmcnt(0)
	v_cmp_ngt_f64_e64 s[16:17], |v[9:10]|, |v[11:12]|
	v_add_f64 v[3:4], v[3:4], -v[17:18]
	v_fma_f64 v[13:14], v[13:14], v[21:22], -v[35:36]
	v_fma_f64 v[15:16], v[15:16], v[21:22], v[23:24]
	v_fma_f64 v[17:18], v[5:6], v[29:30], -v[19:20]
	v_fma_f64 v[19:20], v[7:8], v[29:30], v[31:32]
	s_and_b64 vcc, exec, s[16:17]
	v_add_f64 v[1:2], v[1:2], -v[13:14]
	v_add_f64 v[3:4], v[3:4], -v[15:16]
	v_add_f64 v[13:14], v[1:2], -v[17:18]
	v_add_f64 v[15:16], v[3:4], -v[19:20]
                                        ; implicit-def: $vgpr3_vgpr4
	s_cbranch_vccz .LBB238_63
; %bb.62:                               ;   in Loop: Header=BB238_47 Depth=1
	v_div_scale_f64 v[1:2], s[10:11], v[11:12], v[11:12], v[9:10]
	v_rcp_f64_e32 v[3:4], v[1:2]
	v_fma_f64 v[5:6], -v[1:2], v[3:4], 1.0
	v_fma_f64 v[3:4], v[3:4], v[5:6], v[3:4]
	v_div_scale_f64 v[5:6], vcc, v[9:10], v[11:12], v[9:10]
	v_fma_f64 v[7:8], -v[1:2], v[3:4], 1.0
	v_fma_f64 v[3:4], v[3:4], v[7:8], v[3:4]
	v_mul_f64 v[7:8], v[5:6], v[3:4]
	v_fma_f64 v[1:2], -v[1:2], v[7:8], v[5:6]
	v_div_fmas_f64 v[1:2], v[1:2], v[3:4], v[7:8]
	v_div_fixup_f64 v[1:2], v[1:2], v[11:12], v[9:10]
	v_fma_f64 v[3:4], v[9:10], v[1:2], v[11:12]
	v_div_scale_f64 v[5:6], s[10:11], v[3:4], v[3:4], 1.0
	s_mov_b64 s[10:11], 0
	v_rcp_f64_e32 v[7:8], v[5:6]
	v_fma_f64 v[17:18], -v[5:6], v[7:8], 1.0
	v_fma_f64 v[7:8], v[7:8], v[17:18], v[7:8]
	v_div_scale_f64 v[17:18], vcc, 1.0, v[3:4], 1.0
	v_fma_f64 v[19:20], -v[5:6], v[7:8], 1.0
	v_fma_f64 v[7:8], v[7:8], v[19:20], v[7:8]
	v_mul_f64 v[19:20], v[17:18], v[7:8]
	v_fma_f64 v[5:6], -v[5:6], v[19:20], v[17:18]
	v_div_fmas_f64 v[5:6], v[5:6], v[7:8], v[19:20]
	v_fma_f64 v[7:8], v[1:2], v[13:14], v[15:16]
	v_div_fixup_f64 v[3:4], v[5:6], v[3:4], 1.0
	v_fma_f64 v[5:6], v[1:2], v[15:16], -v[13:14]
	v_mul_f64 v[1:2], v[7:8], v[3:4]
	v_mul_f64 v[3:4], v[5:6], v[3:4]
.LBB238_63:                             ;   in Loop: Header=BB238_47 Depth=1
	s_andn2_b64 vcc, exec, s[10:11]
	s_cbranch_vccnz .LBB238_65
; %bb.64:                               ;   in Loop: Header=BB238_47 Depth=1
	v_div_scale_f64 v[1:2], s[10:11], v[9:10], v[9:10], v[11:12]
	v_rcp_f64_e32 v[3:4], v[1:2]
	v_fma_f64 v[5:6], -v[1:2], v[3:4], 1.0
	v_fma_f64 v[3:4], v[3:4], v[5:6], v[3:4]
	v_div_scale_f64 v[5:6], vcc, v[11:12], v[9:10], v[11:12]
	v_fma_f64 v[7:8], -v[1:2], v[3:4], 1.0
	v_fma_f64 v[3:4], v[3:4], v[7:8], v[3:4]
	v_mul_f64 v[7:8], v[5:6], v[3:4]
	v_fma_f64 v[1:2], -v[1:2], v[7:8], v[5:6]
	v_div_fmas_f64 v[1:2], v[1:2], v[3:4], v[7:8]
	v_div_fixup_f64 v[1:2], v[1:2], v[9:10], v[11:12]
	v_fma_f64 v[3:4], v[11:12], v[1:2], v[9:10]
	v_div_scale_f64 v[5:6], s[10:11], v[3:4], v[3:4], 1.0
	v_rcp_f64_e32 v[7:8], v[5:6]
	v_fma_f64 v[9:10], -v[5:6], v[7:8], 1.0
	v_fma_f64 v[7:8], v[7:8], v[9:10], v[7:8]
	v_div_scale_f64 v[9:10], vcc, 1.0, v[3:4], 1.0
	v_fma_f64 v[11:12], -v[5:6], v[7:8], 1.0
	v_fma_f64 v[7:8], v[7:8], v[11:12], v[7:8]
	v_mul_f64 v[11:12], v[9:10], v[7:8]
	v_fma_f64 v[5:6], -v[5:6], v[11:12], v[9:10]
	v_div_fmas_f64 v[5:6], v[5:6], v[7:8], v[11:12]
	v_fma_f64 v[7:8], v[1:2], v[15:16], v[13:14]
	v_div_fixup_f64 v[3:4], v[5:6], v[3:4], 1.0
	v_fma_f64 v[5:6], -v[1:2], v[13:14], v[15:16]
	v_mul_f64 v[1:2], v[7:8], v[3:4]
	v_mul_f64 v[3:4], v[5:6], v[3:4]
.LBB238_65:                             ;   in Loop: Header=BB238_47 Depth=1
	s_add_i32 s16, s15, -4
	s_sub_i32 s14, s14, 64
	s_cmp_lt_i32 s15, 7
	ds_write_b128 v27, v[1:4]
	s_cbranch_scc1 .LBB238_67
; %bb.66:                               ;   in Loop: Header=BB238_47 Depth=1
	s_mov_b32 s15, s16
	s_branch .LBB238_47
.LBB238_67:
	s_cmp_lt_i32 s16, 0
	s_cbranch_scc1 .LBB238_76
; %bb.68:
	s_lshl_b32 s10, s25, 9
	s_lshl_b32 s11, s16, 4
	s_add_i32 s11, s10, s11
	v_lshl_or_b32 v1, v0, 4, s10
	s_add_i32 s14, s11, 0xfffffe00
	v_add_u32_e32 v13, 0x3e00, v1
	s_branch .LBB238_70
.LBB238_69:                             ;   in Loop: Header=BB238_70 Depth=1
	v_sub_co_u32_e64 v1, s[10:11], s16, 1
	v_readfirstlane_b32 s16, v1
	s_add_i32 s14, s14, -16
	s_and_b64 vcc, exec, s[10:11]
	ds_write_b128 v14, v[9:12]
	s_cbranch_vccnz .LBB238_76
.LBB238_70:                             ; =>This Loop Header: Depth=1
                                        ;     Child Loop BB238_71 Depth 2
	s_lshl_b32 s10, s16, 9
	v_add_u32_e32 v14, s10, v25
	ds_read_b128 v[1:4], v14
	s_cmp_le_i32 s13, s16
	v_mov_b32_e32 v5, v13
	s_mov_b32 s11, s14
	s_mov_b32 s15, s13
	s_cbranch_scc1 .LBB238_72
.LBB238_71:                             ;   Parent Loop BB238_70 Depth=1
                                        ; =>  This Inner Loop Header: Depth=2
	v_mov_b32_e32 v10, s11
	ds_read_b128 v[6:9], v5
	ds_read_b128 v[15:18], v10
	s_add_i32 s15, s15, -1
	s_addk_i32 s11, 0xfe00
	s_cmp_le_u32 s15, s16
	v_add_u32_e32 v5, 0xfffffe00, v5
	s_waitcnt lgkmcnt(0)
	v_mul_f64 v[10:11], v[17:18], v[8:9]
	v_mul_f64 v[8:9], v[15:16], v[8:9]
	v_fma_f64 v[10:11], v[15:16], v[6:7], -v[10:11]
	v_fma_f64 v[6:7], v[17:18], v[6:7], v[8:9]
	v_add_f64 v[1:2], v[1:2], -v[10:11]
	v_add_f64 v[3:4], v[3:4], -v[6:7]
	s_cbranch_scc0 .LBB238_71
.LBB238_72:                             ;   in Loop: Header=BB238_70 Depth=1
	s_lshl_b32 s11, s16, 4
	s_add_i32 s10, s11, s10
	v_mov_b32_e32 v5, s10
	ds_read_b128 v[5:8], v5
	s_mov_b64 s[10:11], -1
                                        ; implicit-def: $vgpr9_vgpr10
	s_waitcnt lgkmcnt(0)
	v_cmp_ngt_f64_e64 s[18:19], |v[5:6]|, |v[7:8]|
	s_and_b64 vcc, exec, s[18:19]
	s_cbranch_vccz .LBB238_74
; %bb.73:                               ;   in Loop: Header=BB238_70 Depth=1
	v_div_scale_f64 v[9:10], s[10:11], v[7:8], v[7:8], v[5:6]
	v_rcp_f64_e32 v[11:12], v[9:10]
	v_fma_f64 v[15:16], -v[9:10], v[11:12], 1.0
	v_fma_f64 v[11:12], v[11:12], v[15:16], v[11:12]
	v_div_scale_f64 v[15:16], vcc, v[5:6], v[7:8], v[5:6]
	v_fma_f64 v[17:18], -v[9:10], v[11:12], 1.0
	v_fma_f64 v[11:12], v[11:12], v[17:18], v[11:12]
	v_mul_f64 v[17:18], v[15:16], v[11:12]
	v_fma_f64 v[9:10], -v[9:10], v[17:18], v[15:16]
	v_div_fmas_f64 v[9:10], v[9:10], v[11:12], v[17:18]
	v_div_fixup_f64 v[9:10], v[9:10], v[7:8], v[5:6]
	v_fma_f64 v[11:12], v[5:6], v[9:10], v[7:8]
	v_div_scale_f64 v[15:16], s[10:11], v[11:12], v[11:12], 1.0
	s_mov_b64 s[10:11], 0
	v_rcp_f64_e32 v[17:18], v[15:16]
	v_fma_f64 v[19:20], -v[15:16], v[17:18], 1.0
	v_fma_f64 v[17:18], v[17:18], v[19:20], v[17:18]
	v_div_scale_f64 v[19:20], vcc, 1.0, v[11:12], 1.0
	v_fma_f64 v[21:22], -v[15:16], v[17:18], 1.0
	v_fma_f64 v[17:18], v[17:18], v[21:22], v[17:18]
	v_mul_f64 v[21:22], v[19:20], v[17:18]
	v_fma_f64 v[15:16], -v[15:16], v[21:22], v[19:20]
	v_div_fmas_f64 v[15:16], v[15:16], v[17:18], v[21:22]
	v_fma_f64 v[17:18], v[1:2], v[9:10], v[3:4]
	v_div_fixup_f64 v[11:12], v[15:16], v[11:12], 1.0
	v_fma_f64 v[15:16], v[3:4], v[9:10], -v[1:2]
	v_mul_f64 v[9:10], v[17:18], v[11:12]
	v_mul_f64 v[11:12], v[15:16], v[11:12]
.LBB238_74:                             ;   in Loop: Header=BB238_70 Depth=1
	s_andn2_b64 vcc, exec, s[10:11]
	s_cbranch_vccnz .LBB238_69
; %bb.75:                               ;   in Loop: Header=BB238_70 Depth=1
	v_div_scale_f64 v[9:10], s[10:11], v[5:6], v[5:6], v[7:8]
	v_rcp_f64_e32 v[11:12], v[9:10]
	v_fma_f64 v[15:16], -v[9:10], v[11:12], 1.0
	v_fma_f64 v[11:12], v[11:12], v[15:16], v[11:12]
	v_div_scale_f64 v[15:16], vcc, v[7:8], v[5:6], v[7:8]
	v_fma_f64 v[17:18], -v[9:10], v[11:12], 1.0
	v_fma_f64 v[11:12], v[11:12], v[17:18], v[11:12]
	v_mul_f64 v[17:18], v[15:16], v[11:12]
	v_fma_f64 v[9:10], -v[9:10], v[17:18], v[15:16]
	v_div_fmas_f64 v[9:10], v[9:10], v[11:12], v[17:18]
	v_div_fixup_f64 v[9:10], v[9:10], v[5:6], v[7:8]
	v_fma_f64 v[5:6], v[7:8], v[9:10], v[5:6]
	v_div_scale_f64 v[7:8], s[10:11], v[5:6], v[5:6], 1.0
	v_rcp_f64_e32 v[11:12], v[7:8]
	v_fma_f64 v[15:16], -v[7:8], v[11:12], 1.0
	v_fma_f64 v[11:12], v[11:12], v[15:16], v[11:12]
	v_div_scale_f64 v[15:16], vcc, 1.0, v[5:6], 1.0
	v_fma_f64 v[17:18], -v[7:8], v[11:12], 1.0
	v_fma_f64 v[11:12], v[11:12], v[17:18], v[11:12]
	v_mul_f64 v[17:18], v[15:16], v[11:12]
	v_fma_f64 v[7:8], -v[7:8], v[17:18], v[15:16]
	v_div_fmas_f64 v[7:8], v[7:8], v[11:12], v[17:18]
	v_fma_f64 v[11:12], v[3:4], v[9:10], v[1:2]
	v_fma_f64 v[1:2], -v[1:2], v[9:10], v[3:4]
	v_div_fixup_f64 v[5:6], v[7:8], v[5:6], 1.0
	v_mul_f64 v[9:10], v[11:12], v[5:6]
	v_mul_f64 v[11:12], v[1:2], v[5:6]
	s_branch .LBB238_69
.LBB238_76:
	s_mov_b64 s[14:15], 0
.LBB238_77:
	s_andn2_b64 vcc, exec, s[14:15]
	s_cbranch_vccnz .LBB238_109
; %bb.78:
	s_andn2_b64 vcc, exec, s[8:9]
	s_mov_b32 s14, s13
	s_cbranch_vccnz .LBB238_100
; %bb.79:
	v_lshlrev_b32_e32 v1, 4, v0
	v_lshl_or_b32 v1, s25, 9, v1
	s_mul_i32 s8, s25, 0x210
	v_add_u32_e32 v26, 0x3e00, v1
	s_add_i32 s10, s8, 0xfffff7f0
	s_mov_b32 s11, s13
.LBB238_80:                             ; =>This Loop Header: Depth=1
                                        ;     Child Loop BB238_81 Depth 2
	s_add_i32 s15, s11, -2
	v_lshl_add_u32 v30, s11, 9, v25
	s_add_i32 s17, s11, -1
	v_lshl_add_u32 v28, s15, 9, v25
	;; [unrolled: 2-line block ×3, first 2 shown]
	ds_read_b128 v[17:20], v30
	ds_read_b128 v[13:16], v29
	v_lshl_add_u32 v27, s14, 9, v25
	ds_read_b128 v[5:8], v28
	ds_read_b128 v[1:4], v27
	s_cmp_le_i32 s13, s11
	s_mov_b32 s8, s10
	v_mov_b32_e32 v9, v26
	s_mov_b32 s9, s13
	s_cbranch_scc1 .LBB238_82
.LBB238_81:                             ;   Parent Loop BB238_80 Depth=1
                                        ; =>  This Inner Loop Header: Depth=2
	v_mov_b32_e32 v10, s8
	ds_read_b128 v[21:24], v9
	ds_read_b128 v[31:34], v10 offset:1536
	ds_read_b128 v[35:38], v10 offset:1024
	;; [unrolled: 1-line block ×3, first 2 shown]
	ds_read_b128 v[43:46], v10
	s_add_i32 s9, s9, -1
	s_add_i32 s8, s8, -16
	s_cmp_le_i32 s9, s11
	s_waitcnt lgkmcnt(3)
	v_mul_f64 v[10:11], v[23:24], v[33:34]
	v_mul_f64 v[33:34], v[21:22], v[33:34]
	s_waitcnt lgkmcnt(2)
	v_mul_f64 v[47:48], v[23:24], v[37:38]
	v_mul_f64 v[37:38], v[21:22], v[37:38]
	;; [unrolled: 3-line block ×4, first 2 shown]
	v_fma_f64 v[10:11], v[21:22], v[31:32], -v[10:11]
	v_fma_f64 v[31:32], v[23:24], v[31:32], v[33:34]
	v_fma_f64 v[33:34], v[21:22], v[35:36], -v[47:48]
	v_fma_f64 v[35:36], v[23:24], v[35:36], v[37:38]
	;; [unrolled: 2-line block ×4, first 2 shown]
	v_add_f64 v[17:18], v[17:18], -v[10:11]
	v_add_f64 v[19:20], v[19:20], -v[31:32]
	;; [unrolled: 1-line block ×8, first 2 shown]
	v_add_u32_e32 v9, 0xfffffe00, v9
	s_cbranch_scc0 .LBB238_81
.LBB238_82:                             ;   in Loop: Header=BB238_80 Depth=1
	s_mul_i32 s8, s11, 0x210
	v_mov_b32_e32 v9, s8
	ds_read_b128 v[21:24], v9
	s_lshl_b32 s18, s17, 5
	s_lshl_b32 s19, s15, 5
	;; [unrolled: 1-line block ×3, first 2 shown]
	s_mov_b64 s[8:9], -1
	s_waitcnt lgkmcnt(0)
	v_cmp_ngt_f64_e64 s[22:23], |v[21:22]|, |v[23:24]|
                                        ; implicit-def: $vgpr11_vgpr12
	s_and_b64 vcc, exec, s[22:23]
	s_cbranch_vccz .LBB238_84
; %bb.83:                               ;   in Loop: Header=BB238_80 Depth=1
	v_div_scale_f64 v[9:10], s[8:9], v[23:24], v[23:24], v[21:22]
	v_rcp_f64_e32 v[11:12], v[9:10]
	v_fma_f64 v[31:32], -v[9:10], v[11:12], 1.0
	v_fma_f64 v[11:12], v[11:12], v[31:32], v[11:12]
	v_div_scale_f64 v[31:32], vcc, v[21:22], v[23:24], v[21:22]
	v_fma_f64 v[33:34], -v[9:10], v[11:12], 1.0
	v_fma_f64 v[11:12], v[11:12], v[33:34], v[11:12]
	v_mul_f64 v[33:34], v[31:32], v[11:12]
	v_fma_f64 v[9:10], -v[9:10], v[33:34], v[31:32]
	v_div_fmas_f64 v[9:10], v[9:10], v[11:12], v[33:34]
	v_div_fixup_f64 v[9:10], v[9:10], v[23:24], v[21:22]
	v_fma_f64 v[11:12], v[21:22], v[9:10], v[23:24]
	v_div_scale_f64 v[31:32], s[8:9], v[11:12], v[11:12], 1.0
	s_mov_b64 s[8:9], 0
	v_rcp_f64_e32 v[33:34], v[31:32]
	v_fma_f64 v[35:36], -v[31:32], v[33:34], 1.0
	v_fma_f64 v[33:34], v[33:34], v[35:36], v[33:34]
	v_div_scale_f64 v[35:36], vcc, 1.0, v[11:12], 1.0
	v_fma_f64 v[37:38], -v[31:32], v[33:34], 1.0
	v_fma_f64 v[33:34], v[33:34], v[37:38], v[33:34]
	v_mul_f64 v[37:38], v[35:36], v[33:34]
	v_fma_f64 v[31:32], -v[31:32], v[37:38], v[35:36]
	v_div_fmas_f64 v[31:32], v[31:32], v[33:34], v[37:38]
	v_fma_f64 v[33:34], v[17:18], v[9:10], v[19:20]
	v_div_fixup_f64 v[11:12], v[31:32], v[11:12], 1.0
	v_fma_f64 v[31:32], v[19:20], v[9:10], -v[17:18]
	v_mul_f64 v[9:10], v[33:34], v[11:12]
	v_mul_f64 v[11:12], v[31:32], v[11:12]
.LBB238_84:                             ;   in Loop: Header=BB238_80 Depth=1
	s_andn2_b64 vcc, exec, s[8:9]
	s_cbranch_vccnz .LBB238_86
; %bb.85:                               ;   in Loop: Header=BB238_80 Depth=1
	v_div_scale_f64 v[9:10], s[8:9], v[21:22], v[21:22], v[23:24]
	v_rcp_f64_e32 v[11:12], v[9:10]
	v_fma_f64 v[31:32], -v[9:10], v[11:12], 1.0
	v_fma_f64 v[11:12], v[11:12], v[31:32], v[11:12]
	v_div_scale_f64 v[31:32], vcc, v[23:24], v[21:22], v[23:24]
	v_fma_f64 v[33:34], -v[9:10], v[11:12], 1.0
	v_fma_f64 v[11:12], v[11:12], v[33:34], v[11:12]
	v_mul_f64 v[33:34], v[31:32], v[11:12]
	v_fma_f64 v[9:10], -v[9:10], v[33:34], v[31:32]
	v_div_fmas_f64 v[9:10], v[9:10], v[11:12], v[33:34]
	v_div_fixup_f64 v[9:10], v[9:10], v[21:22], v[23:24]
	v_fma_f64 v[11:12], v[23:24], v[9:10], v[21:22]
	v_div_scale_f64 v[21:22], s[8:9], v[11:12], v[11:12], 1.0
	v_rcp_f64_e32 v[23:24], v[21:22]
	v_fma_f64 v[31:32], -v[21:22], v[23:24], 1.0
	v_fma_f64 v[23:24], v[23:24], v[31:32], v[23:24]
	v_div_scale_f64 v[31:32], vcc, 1.0, v[11:12], 1.0
	v_fma_f64 v[33:34], -v[21:22], v[23:24], 1.0
	v_fma_f64 v[23:24], v[23:24], v[33:34], v[23:24]
	v_mul_f64 v[33:34], v[31:32], v[23:24]
	v_fma_f64 v[21:22], -v[21:22], v[33:34], v[31:32]
	v_div_fmas_f64 v[21:22], v[21:22], v[23:24], v[33:34]
	v_fma_f64 v[23:24], v[19:20], v[9:10], v[17:18]
	v_fma_f64 v[17:18], -v[17:18], v[9:10], v[19:20]
	v_div_fixup_f64 v[11:12], v[21:22], v[11:12], 1.0
	v_mul_f64 v[9:10], v[23:24], v[11:12]
	v_mul_f64 v[11:12], v[17:18], v[11:12]
.LBB238_86:                             ;   in Loop: Header=BB238_80 Depth=1
	s_lshl_b32 s8, s18, 4
	s_lshl_b32 s18, s11, 4
	s_add_i32 s9, s8, s18
	v_mov_b32_e32 v17, s9
	ds_read_b128 v[21:24], v17
	s_lshl_b32 s9, s17, 4
	s_add_i32 s8, s8, s9
	v_mov_b32_e32 v17, s8
	ds_read_b128 v[17:20], v17
	s_waitcnt lgkmcnt(1)
	v_mul_f64 v[31:32], v[11:12], v[23:24]
	v_mul_f64 v[23:24], v[9:10], v[23:24]
	s_mov_b64 s[8:9], -1
	ds_write_b128 v30, v[9:12]
	s_waitcnt lgkmcnt(1)
	v_cmp_ngt_f64_e64 s[22:23], |v[17:18]|, |v[19:20]|
	v_fma_f64 v[31:32], v[9:10], v[21:22], -v[31:32]
	v_fma_f64 v[23:24], v[11:12], v[21:22], v[23:24]
	s_and_b64 vcc, exec, s[22:23]
	v_add_f64 v[21:22], v[13:14], -v[31:32]
	v_add_f64 v[23:24], v[15:16], -v[23:24]
                                        ; implicit-def: $vgpr15_vgpr16
	s_cbranch_vccz .LBB238_88
; %bb.87:                               ;   in Loop: Header=BB238_80 Depth=1
	v_div_scale_f64 v[13:14], s[8:9], v[19:20], v[19:20], v[17:18]
	v_rcp_f64_e32 v[15:16], v[13:14]
	v_fma_f64 v[30:31], -v[13:14], v[15:16], 1.0
	v_fma_f64 v[15:16], v[15:16], v[30:31], v[15:16]
	v_div_scale_f64 v[30:31], vcc, v[17:18], v[19:20], v[17:18]
	v_fma_f64 v[32:33], -v[13:14], v[15:16], 1.0
	v_fma_f64 v[15:16], v[15:16], v[32:33], v[15:16]
	v_mul_f64 v[32:33], v[30:31], v[15:16]
	v_fma_f64 v[13:14], -v[13:14], v[32:33], v[30:31]
	v_div_fmas_f64 v[13:14], v[13:14], v[15:16], v[32:33]
	v_div_fixup_f64 v[13:14], v[13:14], v[19:20], v[17:18]
	v_fma_f64 v[15:16], v[17:18], v[13:14], v[19:20]
	v_div_scale_f64 v[30:31], s[8:9], v[15:16], v[15:16], 1.0
	s_mov_b64 s[8:9], 0
	v_rcp_f64_e32 v[32:33], v[30:31]
	v_fma_f64 v[34:35], -v[30:31], v[32:33], 1.0
	v_fma_f64 v[32:33], v[32:33], v[34:35], v[32:33]
	v_div_scale_f64 v[34:35], vcc, 1.0, v[15:16], 1.0
	v_fma_f64 v[36:37], -v[30:31], v[32:33], 1.0
	v_fma_f64 v[32:33], v[32:33], v[36:37], v[32:33]
	v_mul_f64 v[36:37], v[34:35], v[32:33]
	v_fma_f64 v[30:31], -v[30:31], v[36:37], v[34:35]
	v_div_fmas_f64 v[30:31], v[30:31], v[32:33], v[36:37]
	v_fma_f64 v[32:33], v[13:14], v[21:22], v[23:24]
	v_div_fixup_f64 v[15:16], v[30:31], v[15:16], 1.0
	v_fma_f64 v[30:31], v[13:14], v[23:24], -v[21:22]
	v_mul_f64 v[13:14], v[32:33], v[15:16]
	v_mul_f64 v[15:16], v[30:31], v[15:16]
.LBB238_88:                             ;   in Loop: Header=BB238_80 Depth=1
	s_andn2_b64 vcc, exec, s[8:9]
	s_cbranch_vccnz .LBB238_90
; %bb.89:                               ;   in Loop: Header=BB238_80 Depth=1
	v_div_scale_f64 v[13:14], s[8:9], v[17:18], v[17:18], v[19:20]
	v_rcp_f64_e32 v[15:16], v[13:14]
	v_fma_f64 v[30:31], -v[13:14], v[15:16], 1.0
	v_fma_f64 v[15:16], v[15:16], v[30:31], v[15:16]
	v_div_scale_f64 v[30:31], vcc, v[19:20], v[17:18], v[19:20]
	v_fma_f64 v[32:33], -v[13:14], v[15:16], 1.0
	v_fma_f64 v[15:16], v[15:16], v[32:33], v[15:16]
	v_mul_f64 v[32:33], v[30:31], v[15:16]
	v_fma_f64 v[13:14], -v[13:14], v[32:33], v[30:31]
	v_div_fmas_f64 v[13:14], v[13:14], v[15:16], v[32:33]
	v_div_fixup_f64 v[13:14], v[13:14], v[17:18], v[19:20]
	v_fma_f64 v[15:16], v[19:20], v[13:14], v[17:18]
	v_div_scale_f64 v[17:18], s[8:9], v[15:16], v[15:16], 1.0
	v_rcp_f64_e32 v[19:20], v[17:18]
	v_fma_f64 v[30:31], -v[17:18], v[19:20], 1.0
	v_fma_f64 v[19:20], v[19:20], v[30:31], v[19:20]
	v_div_scale_f64 v[30:31], vcc, 1.0, v[15:16], 1.0
	v_fma_f64 v[32:33], -v[17:18], v[19:20], 1.0
	v_fma_f64 v[19:20], v[19:20], v[32:33], v[19:20]
	v_mul_f64 v[32:33], v[30:31], v[19:20]
	v_fma_f64 v[17:18], -v[17:18], v[32:33], v[30:31]
	v_div_fmas_f64 v[17:18], v[17:18], v[19:20], v[32:33]
	v_fma_f64 v[19:20], v[13:14], v[23:24], v[21:22]
	v_div_fixup_f64 v[15:16], v[17:18], v[15:16], 1.0
	v_fma_f64 v[17:18], -v[13:14], v[21:22], v[23:24]
	v_mul_f64 v[13:14], v[19:20], v[15:16]
	v_mul_f64 v[15:16], v[17:18], v[15:16]
.LBB238_90:                             ;   in Loop: Header=BB238_80 Depth=1
	s_lshl_b32 s8, s19, 4
	s_add_i32 s9, s8, s18
	v_mov_b32_e32 v17, s9
	ds_read_b128 v[17:20], v17
	s_add_i32 s9, s9, -16
	v_mov_b32_e32 v21, s9
	ds_read_b128 v[21:24], v21
	s_lshl_b32 s9, s15, 4
	s_waitcnt lgkmcnt(1)
	v_mul_f64 v[30:31], v[11:12], v[19:20]
	v_mul_f64 v[19:20], v[9:10], v[19:20]
	s_add_i32 s8, s8, s9
	s_waitcnt lgkmcnt(0)
	v_mul_f64 v[32:33], v[15:16], v[23:24]
	v_mul_f64 v[23:24], v[13:14], v[23:24]
	ds_write_b128 v29, v[13:16]
	v_fma_f64 v[30:31], v[9:10], v[17:18], -v[30:31]
	v_fma_f64 v[34:35], v[11:12], v[17:18], v[19:20]
	v_mov_b32_e32 v17, s8
	v_fma_f64 v[32:33], v[13:14], v[21:22], -v[32:33]
	v_fma_f64 v[23:24], v[15:16], v[21:22], v[23:24]
	ds_read_b128 v[17:20], v17
	s_mov_b64 s[8:9], -1
	v_add_f64 v[5:6], v[5:6], -v[30:31]
	v_add_f64 v[7:8], v[7:8], -v[34:35]
	s_waitcnt lgkmcnt(0)
	v_cmp_ngt_f64_e64 s[22:23], |v[17:18]|, |v[19:20]|
	v_add_f64 v[21:22], v[5:6], -v[32:33]
	v_add_f64 v[23:24], v[7:8], -v[23:24]
	s_and_b64 vcc, exec, s[22:23]
                                        ; implicit-def: $vgpr7_vgpr8
	s_cbranch_vccz .LBB238_92
; %bb.91:                               ;   in Loop: Header=BB238_80 Depth=1
	v_div_scale_f64 v[5:6], s[8:9], v[19:20], v[19:20], v[17:18]
	v_rcp_f64_e32 v[7:8], v[5:6]
	v_fma_f64 v[29:30], -v[5:6], v[7:8], 1.0
	v_fma_f64 v[7:8], v[7:8], v[29:30], v[7:8]
	v_div_scale_f64 v[29:30], vcc, v[17:18], v[19:20], v[17:18]
	v_fma_f64 v[31:32], -v[5:6], v[7:8], 1.0
	v_fma_f64 v[7:8], v[7:8], v[31:32], v[7:8]
	v_mul_f64 v[31:32], v[29:30], v[7:8]
	v_fma_f64 v[5:6], -v[5:6], v[31:32], v[29:30]
	v_div_fmas_f64 v[5:6], v[5:6], v[7:8], v[31:32]
	v_div_fixup_f64 v[5:6], v[5:6], v[19:20], v[17:18]
	v_fma_f64 v[7:8], v[17:18], v[5:6], v[19:20]
	v_div_scale_f64 v[29:30], s[8:9], v[7:8], v[7:8], 1.0
	s_mov_b64 s[8:9], 0
	v_rcp_f64_e32 v[31:32], v[29:30]
	v_fma_f64 v[33:34], -v[29:30], v[31:32], 1.0
	v_fma_f64 v[31:32], v[31:32], v[33:34], v[31:32]
	v_div_scale_f64 v[33:34], vcc, 1.0, v[7:8], 1.0
	v_fma_f64 v[35:36], -v[29:30], v[31:32], 1.0
	v_fma_f64 v[31:32], v[31:32], v[35:36], v[31:32]
	v_mul_f64 v[35:36], v[33:34], v[31:32]
	v_fma_f64 v[29:30], -v[29:30], v[35:36], v[33:34]
	v_div_fmas_f64 v[29:30], v[29:30], v[31:32], v[35:36]
	v_fma_f64 v[31:32], v[5:6], v[21:22], v[23:24]
	v_div_fixup_f64 v[7:8], v[29:30], v[7:8], 1.0
	v_fma_f64 v[29:30], v[5:6], v[23:24], -v[21:22]
	v_mul_f64 v[5:6], v[31:32], v[7:8]
	v_mul_f64 v[7:8], v[29:30], v[7:8]
.LBB238_92:                             ;   in Loop: Header=BB238_80 Depth=1
	s_andn2_b64 vcc, exec, s[8:9]
	s_cbranch_vccnz .LBB238_94
; %bb.93:                               ;   in Loop: Header=BB238_80 Depth=1
	v_div_scale_f64 v[5:6], s[8:9], v[17:18], v[17:18], v[19:20]
	v_rcp_f64_e32 v[7:8], v[5:6]
	v_fma_f64 v[29:30], -v[5:6], v[7:8], 1.0
	v_fma_f64 v[7:8], v[7:8], v[29:30], v[7:8]
	v_div_scale_f64 v[29:30], vcc, v[19:20], v[17:18], v[19:20]
	v_fma_f64 v[31:32], -v[5:6], v[7:8], 1.0
	v_fma_f64 v[7:8], v[7:8], v[31:32], v[7:8]
	v_mul_f64 v[31:32], v[29:30], v[7:8]
	v_fma_f64 v[5:6], -v[5:6], v[31:32], v[29:30]
	v_div_fmas_f64 v[5:6], v[5:6], v[7:8], v[31:32]
	v_div_fixup_f64 v[5:6], v[5:6], v[17:18], v[19:20]
	v_fma_f64 v[7:8], v[19:20], v[5:6], v[17:18]
	v_div_scale_f64 v[17:18], s[8:9], v[7:8], v[7:8], 1.0
	v_rcp_f64_e32 v[19:20], v[17:18]
	v_fma_f64 v[29:30], -v[17:18], v[19:20], 1.0
	v_fma_f64 v[19:20], v[19:20], v[29:30], v[19:20]
	v_div_scale_f64 v[29:30], vcc, 1.0, v[7:8], 1.0
	v_fma_f64 v[31:32], -v[17:18], v[19:20], 1.0
	v_fma_f64 v[19:20], v[19:20], v[31:32], v[19:20]
	v_mul_f64 v[31:32], v[29:30], v[19:20]
	v_fma_f64 v[17:18], -v[17:18], v[31:32], v[29:30]
	v_div_fmas_f64 v[17:18], v[17:18], v[19:20], v[31:32]
	v_fma_f64 v[19:20], v[5:6], v[23:24], v[21:22]
	v_div_fixup_f64 v[7:8], v[17:18], v[7:8], 1.0
	v_fma_f64 v[17:18], -v[5:6], v[21:22], v[23:24]
	v_mul_f64 v[5:6], v[19:20], v[7:8]
	v_mul_f64 v[7:8], v[17:18], v[7:8]
.LBB238_94:                             ;   in Loop: Header=BB238_80 Depth=1
	s_lshl_b32 s8, s16, 4
	s_add_i32 s9, s8, s18
	v_mov_b32_e32 v17, s9
	ds_read_b128 v[17:20], v17
	s_add_i32 s15, s9, -16
	s_sub_i32 s9, s9, 32
	v_mov_b32_e32 v29, s9
	ds_read_b128 v[29:32], v29
	s_waitcnt lgkmcnt(1)
	v_mul_f64 v[33:34], v[11:12], v[19:20]
	v_mul_f64 v[19:20], v[9:10], v[19:20]
	v_mov_b32_e32 v21, s15
	ds_read_b128 v[21:24], v21
	s_lshl_b32 s14, s14, 4
	s_add_i32 s8, s8, s14
	ds_write_b128 v28, v[5:8]
	v_fma_f64 v[33:34], v[9:10], v[17:18], -v[33:34]
	v_mov_b32_e32 v9, s8
	v_fma_f64 v[17:18], v[11:12], v[17:18], v[19:20]
	ds_read_b128 v[9:12], v9
	s_waitcnt lgkmcnt(2)
	v_mul_f64 v[35:36], v[15:16], v[23:24]
	v_mul_f64 v[23:24], v[13:14], v[23:24]
	;; [unrolled: 1-line block ×4, first 2 shown]
	v_add_f64 v[1:2], v[1:2], -v[33:34]
	s_waitcnt lgkmcnt(0)
	v_cmp_ngt_f64_e64 s[14:15], |v[9:10]|, |v[11:12]|
	v_add_f64 v[3:4], v[3:4], -v[17:18]
	s_mov_b64 s[8:9], -1
	v_fma_f64 v[13:14], v[13:14], v[21:22], -v[35:36]
	v_fma_f64 v[15:16], v[15:16], v[21:22], v[23:24]
	v_fma_f64 v[17:18], v[5:6], v[29:30], -v[19:20]
	v_fma_f64 v[19:20], v[7:8], v[29:30], v[31:32]
	s_and_b64 vcc, exec, s[14:15]
	v_add_f64 v[1:2], v[1:2], -v[13:14]
	v_add_f64 v[3:4], v[3:4], -v[15:16]
	;; [unrolled: 1-line block ×4, first 2 shown]
                                        ; implicit-def: $vgpr3_vgpr4
	s_cbranch_vccz .LBB238_96
; %bb.95:                               ;   in Loop: Header=BB238_80 Depth=1
	v_div_scale_f64 v[1:2], s[8:9], v[11:12], v[11:12], v[9:10]
	v_rcp_f64_e32 v[3:4], v[1:2]
	v_fma_f64 v[5:6], -v[1:2], v[3:4], 1.0
	v_fma_f64 v[3:4], v[3:4], v[5:6], v[3:4]
	v_div_scale_f64 v[5:6], vcc, v[9:10], v[11:12], v[9:10]
	v_fma_f64 v[7:8], -v[1:2], v[3:4], 1.0
	v_fma_f64 v[3:4], v[3:4], v[7:8], v[3:4]
	v_mul_f64 v[7:8], v[5:6], v[3:4]
	v_fma_f64 v[1:2], -v[1:2], v[7:8], v[5:6]
	v_div_fmas_f64 v[1:2], v[1:2], v[3:4], v[7:8]
	v_div_fixup_f64 v[1:2], v[1:2], v[11:12], v[9:10]
	v_fma_f64 v[3:4], v[9:10], v[1:2], v[11:12]
	v_div_scale_f64 v[5:6], s[8:9], v[3:4], v[3:4], 1.0
	s_mov_b64 s[8:9], 0
	v_rcp_f64_e32 v[7:8], v[5:6]
	v_fma_f64 v[17:18], -v[5:6], v[7:8], 1.0
	v_fma_f64 v[7:8], v[7:8], v[17:18], v[7:8]
	v_div_scale_f64 v[17:18], vcc, 1.0, v[3:4], 1.0
	v_fma_f64 v[19:20], -v[5:6], v[7:8], 1.0
	v_fma_f64 v[7:8], v[7:8], v[19:20], v[7:8]
	v_mul_f64 v[19:20], v[17:18], v[7:8]
	v_fma_f64 v[5:6], -v[5:6], v[19:20], v[17:18]
	v_div_fmas_f64 v[5:6], v[5:6], v[7:8], v[19:20]
	v_fma_f64 v[7:8], v[1:2], v[13:14], v[15:16]
	v_div_fixup_f64 v[3:4], v[5:6], v[3:4], 1.0
	v_fma_f64 v[5:6], v[1:2], v[15:16], -v[13:14]
	v_mul_f64 v[1:2], v[7:8], v[3:4]
	v_mul_f64 v[3:4], v[5:6], v[3:4]
.LBB238_96:                             ;   in Loop: Header=BB238_80 Depth=1
	s_andn2_b64 vcc, exec, s[8:9]
	s_cbranch_vccnz .LBB238_98
; %bb.97:                               ;   in Loop: Header=BB238_80 Depth=1
	v_div_scale_f64 v[1:2], s[8:9], v[9:10], v[9:10], v[11:12]
	v_rcp_f64_e32 v[3:4], v[1:2]
	v_fma_f64 v[5:6], -v[1:2], v[3:4], 1.0
	v_fma_f64 v[3:4], v[3:4], v[5:6], v[3:4]
	v_div_scale_f64 v[5:6], vcc, v[11:12], v[9:10], v[11:12]
	v_fma_f64 v[7:8], -v[1:2], v[3:4], 1.0
	v_fma_f64 v[3:4], v[3:4], v[7:8], v[3:4]
	v_mul_f64 v[7:8], v[5:6], v[3:4]
	v_fma_f64 v[1:2], -v[1:2], v[7:8], v[5:6]
	v_div_fmas_f64 v[1:2], v[1:2], v[3:4], v[7:8]
	v_div_fixup_f64 v[1:2], v[1:2], v[9:10], v[11:12]
	v_fma_f64 v[3:4], v[11:12], v[1:2], v[9:10]
	v_div_scale_f64 v[5:6], s[8:9], v[3:4], v[3:4], 1.0
	v_rcp_f64_e32 v[7:8], v[5:6]
	v_fma_f64 v[9:10], -v[5:6], v[7:8], 1.0
	v_fma_f64 v[7:8], v[7:8], v[9:10], v[7:8]
	v_div_scale_f64 v[9:10], vcc, 1.0, v[3:4], 1.0
	v_fma_f64 v[11:12], -v[5:6], v[7:8], 1.0
	v_fma_f64 v[7:8], v[7:8], v[11:12], v[7:8]
	v_mul_f64 v[11:12], v[9:10], v[7:8]
	v_fma_f64 v[5:6], -v[5:6], v[11:12], v[9:10]
	v_div_fmas_f64 v[5:6], v[5:6], v[7:8], v[11:12]
	v_fma_f64 v[7:8], v[1:2], v[15:16], v[13:14]
	v_div_fixup_f64 v[3:4], v[5:6], v[3:4], 1.0
	v_fma_f64 v[5:6], -v[1:2], v[13:14], v[15:16]
	v_mul_f64 v[1:2], v[7:8], v[3:4]
	v_mul_f64 v[3:4], v[5:6], v[3:4]
.LBB238_98:                             ;   in Loop: Header=BB238_80 Depth=1
	s_add_i32 s14, s11, -4
	s_addk_i32 s10, 0xf800
	s_cmp_lt_i32 s11, 7
	ds_write_b128 v27, v[1:4]
	s_cbranch_scc1 .LBB238_100
; %bb.99:                               ;   in Loop: Header=BB238_80 Depth=1
	s_mov_b32 s11, s14
	s_branch .LBB238_80
.LBB238_100:
	s_cmp_lt_i32 s14, 0
	s_cbranch_scc1 .LBB238_109
; %bb.101:
	v_lshlrev_b32_e32 v1, 4, v0
	s_lshl_b32 s8, s14, 9
	s_lshl_b32 s9, s25, 4
	v_lshl_or_b32 v1, s25, 9, v1
	s_add_i32 s8, s8, s9
	v_add_u32_e32 v13, 0x3e00, v1
	s_add_i32 s10, s8, -16
	s_branch .LBB238_103
.LBB238_102:                            ;   in Loop: Header=BB238_103 Depth=1
	v_sub_co_u32_e64 v1, s[8:9], s14, 1
	v_readfirstlane_b32 s14, v1
	s_addk_i32 s10, 0xfe00
	s_and_b64 vcc, exec, s[8:9]
	ds_write_b128 v14, v[9:12]
	s_cbranch_vccnz .LBB238_109
.LBB238_103:                            ; =>This Loop Header: Depth=1
                                        ;     Child Loop BB238_104 Depth 2
	v_lshl_add_u32 v14, s14, 9, v25
	ds_read_b128 v[1:4], v14
	s_cmp_le_i32 s13, s14
	s_mov_b32 s8, s10
	v_mov_b32_e32 v5, v13
	s_mov_b32 s9, s13
	s_cbranch_scc1 .LBB238_105
.LBB238_104:                            ;   Parent Loop BB238_103 Depth=1
                                        ; =>  This Inner Loop Header: Depth=2
	v_mov_b32_e32 v10, s8
	ds_read_b128 v[6:9], v5
	ds_read_b128 v[15:18], v10
	s_add_i32 s9, s9, -1
	s_add_i32 s8, s8, -16
	s_cmp_le_u32 s9, s14
	v_add_u32_e32 v5, 0xfffffe00, v5
	s_waitcnt lgkmcnt(0)
	v_mul_f64 v[10:11], v[17:18], v[8:9]
	v_mul_f64 v[8:9], v[15:16], v[8:9]
	v_fma_f64 v[10:11], v[15:16], v[6:7], -v[10:11]
	v_fma_f64 v[6:7], v[17:18], v[6:7], v[8:9]
	v_add_f64 v[1:2], v[1:2], -v[10:11]
	v_add_f64 v[3:4], v[3:4], -v[6:7]
	s_cbranch_scc0 .LBB238_104
.LBB238_105:                            ;   in Loop: Header=BB238_103 Depth=1
	s_mul_i32 s8, s14, 0x210
	v_mov_b32_e32 v5, s8
	ds_read_b128 v[5:8], v5
	s_mov_b64 s[8:9], -1
                                        ; implicit-def: $vgpr9_vgpr10
	s_waitcnt lgkmcnt(0)
	v_cmp_ngt_f64_e64 s[16:17], |v[5:6]|, |v[7:8]|
	s_and_b64 vcc, exec, s[16:17]
	s_cbranch_vccz .LBB238_107
; %bb.106:                              ;   in Loop: Header=BB238_103 Depth=1
	v_div_scale_f64 v[9:10], s[8:9], v[7:8], v[7:8], v[5:6]
	v_rcp_f64_e32 v[11:12], v[9:10]
	v_fma_f64 v[15:16], -v[9:10], v[11:12], 1.0
	v_fma_f64 v[11:12], v[11:12], v[15:16], v[11:12]
	v_div_scale_f64 v[15:16], vcc, v[5:6], v[7:8], v[5:6]
	v_fma_f64 v[17:18], -v[9:10], v[11:12], 1.0
	v_fma_f64 v[11:12], v[11:12], v[17:18], v[11:12]
	v_mul_f64 v[17:18], v[15:16], v[11:12]
	v_fma_f64 v[9:10], -v[9:10], v[17:18], v[15:16]
	v_div_fmas_f64 v[9:10], v[9:10], v[11:12], v[17:18]
	v_div_fixup_f64 v[9:10], v[9:10], v[7:8], v[5:6]
	v_fma_f64 v[11:12], v[5:6], v[9:10], v[7:8]
	v_div_scale_f64 v[15:16], s[8:9], v[11:12], v[11:12], 1.0
	s_mov_b64 s[8:9], 0
	v_rcp_f64_e32 v[17:18], v[15:16]
	v_fma_f64 v[19:20], -v[15:16], v[17:18], 1.0
	v_fma_f64 v[17:18], v[17:18], v[19:20], v[17:18]
	v_div_scale_f64 v[19:20], vcc, 1.0, v[11:12], 1.0
	v_fma_f64 v[21:22], -v[15:16], v[17:18], 1.0
	v_fma_f64 v[17:18], v[17:18], v[21:22], v[17:18]
	v_mul_f64 v[21:22], v[19:20], v[17:18]
	v_fma_f64 v[15:16], -v[15:16], v[21:22], v[19:20]
	v_div_fmas_f64 v[15:16], v[15:16], v[17:18], v[21:22]
	v_fma_f64 v[17:18], v[1:2], v[9:10], v[3:4]
	v_div_fixup_f64 v[11:12], v[15:16], v[11:12], 1.0
	v_fma_f64 v[15:16], v[3:4], v[9:10], -v[1:2]
	v_mul_f64 v[9:10], v[17:18], v[11:12]
	v_mul_f64 v[11:12], v[15:16], v[11:12]
.LBB238_107:                            ;   in Loop: Header=BB238_103 Depth=1
	s_andn2_b64 vcc, exec, s[8:9]
	s_cbranch_vccnz .LBB238_102
; %bb.108:                              ;   in Loop: Header=BB238_103 Depth=1
	v_div_scale_f64 v[9:10], s[8:9], v[5:6], v[5:6], v[7:8]
	v_rcp_f64_e32 v[11:12], v[9:10]
	v_fma_f64 v[15:16], -v[9:10], v[11:12], 1.0
	v_fma_f64 v[11:12], v[11:12], v[15:16], v[11:12]
	v_div_scale_f64 v[15:16], vcc, v[7:8], v[5:6], v[7:8]
	v_fma_f64 v[17:18], -v[9:10], v[11:12], 1.0
	v_fma_f64 v[11:12], v[11:12], v[17:18], v[11:12]
	v_mul_f64 v[17:18], v[15:16], v[11:12]
	v_fma_f64 v[9:10], -v[9:10], v[17:18], v[15:16]
	v_div_fmas_f64 v[9:10], v[9:10], v[11:12], v[17:18]
	v_div_fixup_f64 v[9:10], v[9:10], v[5:6], v[7:8]
	v_fma_f64 v[5:6], v[7:8], v[9:10], v[5:6]
	v_div_scale_f64 v[7:8], s[8:9], v[5:6], v[5:6], 1.0
	v_rcp_f64_e32 v[11:12], v[7:8]
	v_fma_f64 v[15:16], -v[7:8], v[11:12], 1.0
	v_fma_f64 v[11:12], v[11:12], v[15:16], v[11:12]
	v_div_scale_f64 v[15:16], vcc, 1.0, v[5:6], 1.0
	v_fma_f64 v[17:18], -v[7:8], v[11:12], 1.0
	v_fma_f64 v[11:12], v[11:12], v[17:18], v[11:12]
	v_mul_f64 v[17:18], v[15:16], v[11:12]
	v_fma_f64 v[7:8], -v[7:8], v[17:18], v[15:16]
	v_div_fmas_f64 v[7:8], v[7:8], v[11:12], v[17:18]
	v_fma_f64 v[11:12], v[3:4], v[9:10], v[1:2]
	v_fma_f64 v[1:2], -v[1:2], v[9:10], v[3:4]
	v_div_fixup_f64 v[5:6], v[7:8], v[5:6], 1.0
	v_mul_f64 v[9:10], v[11:12], v[5:6]
	v_mul_f64 v[11:12], v[1:2], v[5:6]
	s_branch .LBB238_102
.LBB238_109:
	s_mov_b64 s[14:15], 0
.LBB238_110:
	s_andn2_b64 vcc, exec, s[14:15]
	s_cbranch_vccnz .LBB238_142
; %bb.111:
	v_mov_b32_e32 v1, 0x4000
	v_lshl_or_b32 v25, v0, 4, v1
	s_cmp_lt_i32 s24, 4
	s_mov_b32 s13, 0
	s_cbranch_scc1 .LBB238_133
; %bb.112:
	s_mov_b32 s10, 0
	s_mov_b32 s11, 0
.LBB238_113:                            ; =>This Loop Header: Depth=1
                                        ;     Child Loop BB238_114 Depth 2
	s_or_b32 s14, s11, 2
	s_or_b32 s13, s11, 3
	v_lshl_add_u32 v29, s11, 9, v25
	s_or_b32 s16, s11, 1
	v_lshl_add_u32 v27, s14, 9, v25
	v_lshl_add_u32 v28, s16, 9, v25
	ds_read_b128 v[17:20], v29
	ds_read_b128 v[13:16], v28
	v_lshl_add_u32 v26, s13, 9, v25
	ds_read_b128 v[5:8], v27
	ds_read_b128 v[1:4], v26
	s_cmp_eq_u32 s11, 0
	s_mov_b32 s8, s10
	v_mov_b32_e32 v9, v25
	s_mov_b32 s9, s11
	s_cbranch_scc1 .LBB238_115
.LBB238_114:                            ;   Parent Loop BB238_113 Depth=1
                                        ; =>  This Inner Loop Header: Depth=2
	v_mov_b32_e32 v10, s8
	ds_read_b128 v[21:24], v9
	ds_read_b128 v[30:33], v10
	ds_read_b128 v[34:37], v10 offset:512
	ds_read_b128 v[38:41], v10 offset:1024
	;; [unrolled: 1-line block ×3, first 2 shown]
	s_add_i32 s9, s9, -1
	s_add_i32 s8, s8, 16
	s_cmp_eq_u32 s9, 0
	s_waitcnt lgkmcnt(3)
	v_mul_f64 v[10:11], v[23:24], v[32:33]
	v_mul_f64 v[32:33], v[21:22], v[32:33]
	s_waitcnt lgkmcnt(2)
	v_mul_f64 v[46:47], v[23:24], v[36:37]
	v_mul_f64 v[36:37], v[21:22], v[36:37]
	s_waitcnt lgkmcnt(1)
	v_mul_f64 v[48:49], v[23:24], v[40:41]
	v_mul_f64 v[40:41], v[21:22], v[40:41]
	s_waitcnt lgkmcnt(0)
	v_mul_f64 v[50:51], v[23:24], v[44:45]
	v_mul_f64 v[44:45], v[21:22], v[44:45]
	v_fma_f64 v[10:11], v[21:22], v[30:31], -v[10:11]
	v_fma_f64 v[30:31], v[23:24], v[30:31], v[32:33]
	v_fma_f64 v[32:33], v[21:22], v[34:35], -v[46:47]
	v_fma_f64 v[34:35], v[23:24], v[34:35], v[36:37]
	;; [unrolled: 2-line block ×4, first 2 shown]
	v_add_f64 v[17:18], v[17:18], -v[10:11]
	v_add_f64 v[19:20], v[19:20], -v[30:31]
	;; [unrolled: 1-line block ×8, first 2 shown]
	v_add_u32_e32 v9, 0x200, v9
	s_cbranch_scc0 .LBB238_114
.LBB238_115:                            ;   in Loop: Header=BB238_113 Depth=1
	s_mul_i32 s8, s11, 0x210
	v_mov_b32_e32 v9, s8
	ds_read_b128 v[21:24], v9
	s_lshl_b32 s17, s16, 5
	s_lshl_b32 s18, s14, 5
	;; [unrolled: 1-line block ×3, first 2 shown]
	s_mov_b64 s[8:9], -1
	s_waitcnt lgkmcnt(0)
	v_cmp_ngt_f64_e64 s[22:23], |v[21:22]|, |v[23:24]|
                                        ; implicit-def: $vgpr11_vgpr12
	s_and_b64 vcc, exec, s[22:23]
	s_cbranch_vccz .LBB238_117
; %bb.116:                              ;   in Loop: Header=BB238_113 Depth=1
	v_div_scale_f64 v[9:10], s[8:9], v[23:24], v[23:24], v[21:22]
	v_rcp_f64_e32 v[11:12], v[9:10]
	v_fma_f64 v[30:31], -v[9:10], v[11:12], 1.0
	v_fma_f64 v[11:12], v[11:12], v[30:31], v[11:12]
	v_div_scale_f64 v[30:31], vcc, v[21:22], v[23:24], v[21:22]
	v_fma_f64 v[32:33], -v[9:10], v[11:12], 1.0
	v_fma_f64 v[11:12], v[11:12], v[32:33], v[11:12]
	v_mul_f64 v[32:33], v[30:31], v[11:12]
	v_fma_f64 v[9:10], -v[9:10], v[32:33], v[30:31]
	v_div_fmas_f64 v[9:10], v[9:10], v[11:12], v[32:33]
	v_div_fixup_f64 v[9:10], v[9:10], v[23:24], v[21:22]
	v_fma_f64 v[11:12], v[21:22], v[9:10], v[23:24]
	v_div_scale_f64 v[30:31], s[8:9], v[11:12], v[11:12], 1.0
	s_mov_b64 s[8:9], 0
	v_rcp_f64_e32 v[32:33], v[30:31]
	v_fma_f64 v[34:35], -v[30:31], v[32:33], 1.0
	v_fma_f64 v[32:33], v[32:33], v[34:35], v[32:33]
	v_div_scale_f64 v[34:35], vcc, 1.0, v[11:12], 1.0
	v_fma_f64 v[36:37], -v[30:31], v[32:33], 1.0
	v_fma_f64 v[32:33], v[32:33], v[36:37], v[32:33]
	v_mul_f64 v[36:37], v[34:35], v[32:33]
	v_fma_f64 v[30:31], -v[30:31], v[36:37], v[34:35]
	v_div_fmas_f64 v[30:31], v[30:31], v[32:33], v[36:37]
	v_fma_f64 v[32:33], v[17:18], v[9:10], v[19:20]
	v_div_fixup_f64 v[11:12], v[30:31], v[11:12], 1.0
	v_fma_f64 v[30:31], v[19:20], v[9:10], -v[17:18]
	v_mul_f64 v[9:10], v[32:33], v[11:12]
	v_mul_f64 v[11:12], v[30:31], v[11:12]
.LBB238_117:                            ;   in Loop: Header=BB238_113 Depth=1
	s_andn2_b64 vcc, exec, s[8:9]
	s_cbranch_vccnz .LBB238_119
; %bb.118:                              ;   in Loop: Header=BB238_113 Depth=1
	v_div_scale_f64 v[9:10], s[8:9], v[21:22], v[21:22], v[23:24]
	v_rcp_f64_e32 v[11:12], v[9:10]
	v_fma_f64 v[30:31], -v[9:10], v[11:12], 1.0
	v_fma_f64 v[11:12], v[11:12], v[30:31], v[11:12]
	v_div_scale_f64 v[30:31], vcc, v[23:24], v[21:22], v[23:24]
	v_fma_f64 v[32:33], -v[9:10], v[11:12], 1.0
	v_fma_f64 v[11:12], v[11:12], v[32:33], v[11:12]
	v_mul_f64 v[32:33], v[30:31], v[11:12]
	v_fma_f64 v[9:10], -v[9:10], v[32:33], v[30:31]
	v_div_fmas_f64 v[9:10], v[9:10], v[11:12], v[32:33]
	v_div_fixup_f64 v[9:10], v[9:10], v[21:22], v[23:24]
	v_fma_f64 v[11:12], v[23:24], v[9:10], v[21:22]
	v_div_scale_f64 v[21:22], s[8:9], v[11:12], v[11:12], 1.0
	v_rcp_f64_e32 v[23:24], v[21:22]
	v_fma_f64 v[30:31], -v[21:22], v[23:24], 1.0
	v_fma_f64 v[23:24], v[23:24], v[30:31], v[23:24]
	v_div_scale_f64 v[30:31], vcc, 1.0, v[11:12], 1.0
	v_fma_f64 v[32:33], -v[21:22], v[23:24], 1.0
	v_fma_f64 v[23:24], v[23:24], v[32:33], v[23:24]
	v_mul_f64 v[32:33], v[30:31], v[23:24]
	v_fma_f64 v[21:22], -v[21:22], v[32:33], v[30:31]
	v_div_fmas_f64 v[21:22], v[21:22], v[23:24], v[32:33]
	v_fma_f64 v[23:24], v[19:20], v[9:10], v[17:18]
	v_fma_f64 v[17:18], -v[17:18], v[9:10], v[19:20]
	v_div_fixup_f64 v[11:12], v[21:22], v[11:12], 1.0
	v_mul_f64 v[9:10], v[23:24], v[11:12]
	v_mul_f64 v[11:12], v[17:18], v[11:12]
.LBB238_119:                            ;   in Loop: Header=BB238_113 Depth=1
	s_lshl_b32 s8, s17, 4
	s_lshl_b32 s17, s11, 4
	s_add_i32 s9, s8, s17
	v_mov_b32_e32 v17, s9
	ds_read_b128 v[21:24], v17
	s_lshl_b32 s9, s16, 4
	s_add_i32 s8, s8, s9
	v_mov_b32_e32 v17, s8
	ds_read_b128 v[17:20], v17
	s_waitcnt lgkmcnt(1)
	v_mul_f64 v[30:31], v[11:12], v[23:24]
	v_mul_f64 v[23:24], v[9:10], v[23:24]
	s_mov_b64 s[8:9], -1
	ds_write_b128 v29, v[9:12]
	s_waitcnt lgkmcnt(1)
	v_cmp_ngt_f64_e64 s[22:23], |v[17:18]|, |v[19:20]|
	v_fma_f64 v[30:31], v[9:10], v[21:22], -v[30:31]
	v_fma_f64 v[23:24], v[11:12], v[21:22], v[23:24]
	s_and_b64 vcc, exec, s[22:23]
	v_add_f64 v[21:22], v[13:14], -v[30:31]
	v_add_f64 v[23:24], v[15:16], -v[23:24]
                                        ; implicit-def: $vgpr15_vgpr16
	s_cbranch_vccz .LBB238_121
; %bb.120:                              ;   in Loop: Header=BB238_113 Depth=1
	v_div_scale_f64 v[13:14], s[8:9], v[19:20], v[19:20], v[17:18]
	v_rcp_f64_e32 v[15:16], v[13:14]
	v_fma_f64 v[29:30], -v[13:14], v[15:16], 1.0
	v_fma_f64 v[15:16], v[15:16], v[29:30], v[15:16]
	v_div_scale_f64 v[29:30], vcc, v[17:18], v[19:20], v[17:18]
	v_fma_f64 v[31:32], -v[13:14], v[15:16], 1.0
	v_fma_f64 v[15:16], v[15:16], v[31:32], v[15:16]
	v_mul_f64 v[31:32], v[29:30], v[15:16]
	v_fma_f64 v[13:14], -v[13:14], v[31:32], v[29:30]
	v_div_fmas_f64 v[13:14], v[13:14], v[15:16], v[31:32]
	v_div_fixup_f64 v[13:14], v[13:14], v[19:20], v[17:18]
	v_fma_f64 v[15:16], v[17:18], v[13:14], v[19:20]
	v_div_scale_f64 v[29:30], s[8:9], v[15:16], v[15:16], 1.0
	s_mov_b64 s[8:9], 0
	v_rcp_f64_e32 v[31:32], v[29:30]
	v_fma_f64 v[33:34], -v[29:30], v[31:32], 1.0
	v_fma_f64 v[31:32], v[31:32], v[33:34], v[31:32]
	v_div_scale_f64 v[33:34], vcc, 1.0, v[15:16], 1.0
	v_fma_f64 v[35:36], -v[29:30], v[31:32], 1.0
	v_fma_f64 v[31:32], v[31:32], v[35:36], v[31:32]
	v_mul_f64 v[35:36], v[33:34], v[31:32]
	v_fma_f64 v[29:30], -v[29:30], v[35:36], v[33:34]
	v_div_fmas_f64 v[29:30], v[29:30], v[31:32], v[35:36]
	v_fma_f64 v[31:32], v[13:14], v[21:22], v[23:24]
	v_div_fixup_f64 v[15:16], v[29:30], v[15:16], 1.0
	v_fma_f64 v[29:30], v[13:14], v[23:24], -v[21:22]
	v_mul_f64 v[13:14], v[31:32], v[15:16]
	v_mul_f64 v[15:16], v[29:30], v[15:16]
.LBB238_121:                            ;   in Loop: Header=BB238_113 Depth=1
	s_andn2_b64 vcc, exec, s[8:9]
	s_cbranch_vccnz .LBB238_123
; %bb.122:                              ;   in Loop: Header=BB238_113 Depth=1
	v_div_scale_f64 v[13:14], s[8:9], v[17:18], v[17:18], v[19:20]
	v_rcp_f64_e32 v[15:16], v[13:14]
	v_fma_f64 v[29:30], -v[13:14], v[15:16], 1.0
	v_fma_f64 v[15:16], v[15:16], v[29:30], v[15:16]
	v_div_scale_f64 v[29:30], vcc, v[19:20], v[17:18], v[19:20]
	v_fma_f64 v[31:32], -v[13:14], v[15:16], 1.0
	v_fma_f64 v[15:16], v[15:16], v[31:32], v[15:16]
	v_mul_f64 v[31:32], v[29:30], v[15:16]
	v_fma_f64 v[13:14], -v[13:14], v[31:32], v[29:30]
	v_div_fmas_f64 v[13:14], v[13:14], v[15:16], v[31:32]
	v_div_fixup_f64 v[13:14], v[13:14], v[17:18], v[19:20]
	v_fma_f64 v[15:16], v[19:20], v[13:14], v[17:18]
	v_div_scale_f64 v[17:18], s[8:9], v[15:16], v[15:16], 1.0
	v_rcp_f64_e32 v[19:20], v[17:18]
	v_fma_f64 v[29:30], -v[17:18], v[19:20], 1.0
	v_fma_f64 v[19:20], v[19:20], v[29:30], v[19:20]
	v_div_scale_f64 v[29:30], vcc, 1.0, v[15:16], 1.0
	v_fma_f64 v[31:32], -v[17:18], v[19:20], 1.0
	v_fma_f64 v[19:20], v[19:20], v[31:32], v[19:20]
	v_mul_f64 v[31:32], v[29:30], v[19:20]
	v_fma_f64 v[17:18], -v[17:18], v[31:32], v[29:30]
	v_div_fmas_f64 v[17:18], v[17:18], v[19:20], v[31:32]
	v_fma_f64 v[19:20], v[13:14], v[23:24], v[21:22]
	v_div_fixup_f64 v[15:16], v[17:18], v[15:16], 1.0
	v_fma_f64 v[17:18], -v[13:14], v[21:22], v[23:24]
	v_mul_f64 v[13:14], v[19:20], v[15:16]
	v_mul_f64 v[15:16], v[17:18], v[15:16]
.LBB238_123:                            ;   in Loop: Header=BB238_113 Depth=1
	s_lshl_b32 s8, s18, 4
	s_add_i32 s9, s8, s17
	v_mov_b32_e32 v21, s9
	ds_read_b128 v[17:20], v21
	ds_read_b128 v[21:24], v21 offset:16
	s_lshl_b32 s9, s14, 4
	s_add_i32 s8, s8, s9
	ds_write_b128 v28, v[13:16]
	s_waitcnt lgkmcnt(2)
	v_mul_f64 v[29:30], v[11:12], v[19:20]
	v_mul_f64 v[19:20], v[9:10], v[19:20]
	s_waitcnt lgkmcnt(1)
	v_mul_f64 v[31:32], v[15:16], v[23:24]
	v_mul_f64 v[23:24], v[13:14], v[23:24]
	v_fma_f64 v[29:30], v[9:10], v[17:18], -v[29:30]
	v_fma_f64 v[33:34], v[11:12], v[17:18], v[19:20]
	v_fma_f64 v[31:32], v[13:14], v[21:22], -v[31:32]
	v_fma_f64 v[23:24], v[15:16], v[21:22], v[23:24]
	v_mov_b32_e32 v17, s8
	ds_read_b128 v[17:20], v17
	s_mov_b64 s[8:9], -1
	v_add_f64 v[5:6], v[5:6], -v[29:30]
	v_add_f64 v[7:8], v[7:8], -v[33:34]
	s_waitcnt lgkmcnt(0)
	v_cmp_ngt_f64_e64 s[18:19], |v[17:18]|, |v[19:20]|
	v_add_f64 v[21:22], v[5:6], -v[31:32]
	v_add_f64 v[23:24], v[7:8], -v[23:24]
	s_and_b64 vcc, exec, s[18:19]
                                        ; implicit-def: $vgpr7_vgpr8
	s_cbranch_vccz .LBB238_125
; %bb.124:                              ;   in Loop: Header=BB238_113 Depth=1
	v_div_scale_f64 v[5:6], s[8:9], v[19:20], v[19:20], v[17:18]
	v_rcp_f64_e32 v[7:8], v[5:6]
	v_fma_f64 v[28:29], -v[5:6], v[7:8], 1.0
	v_fma_f64 v[7:8], v[7:8], v[28:29], v[7:8]
	v_div_scale_f64 v[28:29], vcc, v[17:18], v[19:20], v[17:18]
	v_fma_f64 v[30:31], -v[5:6], v[7:8], 1.0
	v_fma_f64 v[7:8], v[7:8], v[30:31], v[7:8]
	v_mul_f64 v[30:31], v[28:29], v[7:8]
	v_fma_f64 v[5:6], -v[5:6], v[30:31], v[28:29]
	v_div_fmas_f64 v[5:6], v[5:6], v[7:8], v[30:31]
	v_div_fixup_f64 v[5:6], v[5:6], v[19:20], v[17:18]
	v_fma_f64 v[7:8], v[17:18], v[5:6], v[19:20]
	v_div_scale_f64 v[28:29], s[8:9], v[7:8], v[7:8], 1.0
	s_mov_b64 s[8:9], 0
	v_rcp_f64_e32 v[30:31], v[28:29]
	v_fma_f64 v[32:33], -v[28:29], v[30:31], 1.0
	v_fma_f64 v[30:31], v[30:31], v[32:33], v[30:31]
	v_div_scale_f64 v[32:33], vcc, 1.0, v[7:8], 1.0
	v_fma_f64 v[34:35], -v[28:29], v[30:31], 1.0
	v_fma_f64 v[30:31], v[30:31], v[34:35], v[30:31]
	v_mul_f64 v[34:35], v[32:33], v[30:31]
	v_fma_f64 v[28:29], -v[28:29], v[34:35], v[32:33]
	v_div_fmas_f64 v[28:29], v[28:29], v[30:31], v[34:35]
	v_fma_f64 v[30:31], v[5:6], v[21:22], v[23:24]
	v_div_fixup_f64 v[7:8], v[28:29], v[7:8], 1.0
	v_fma_f64 v[28:29], v[5:6], v[23:24], -v[21:22]
	v_mul_f64 v[5:6], v[30:31], v[7:8]
	v_mul_f64 v[7:8], v[28:29], v[7:8]
.LBB238_125:                            ;   in Loop: Header=BB238_113 Depth=1
	s_andn2_b64 vcc, exec, s[8:9]
	s_cbranch_vccnz .LBB238_127
; %bb.126:                              ;   in Loop: Header=BB238_113 Depth=1
	v_div_scale_f64 v[5:6], s[8:9], v[17:18], v[17:18], v[19:20]
	v_rcp_f64_e32 v[7:8], v[5:6]
	v_fma_f64 v[28:29], -v[5:6], v[7:8], 1.0
	v_fma_f64 v[7:8], v[7:8], v[28:29], v[7:8]
	v_div_scale_f64 v[28:29], vcc, v[19:20], v[17:18], v[19:20]
	v_fma_f64 v[30:31], -v[5:6], v[7:8], 1.0
	v_fma_f64 v[7:8], v[7:8], v[30:31], v[7:8]
	v_mul_f64 v[30:31], v[28:29], v[7:8]
	v_fma_f64 v[5:6], -v[5:6], v[30:31], v[28:29]
	v_div_fmas_f64 v[5:6], v[5:6], v[7:8], v[30:31]
	v_div_fixup_f64 v[5:6], v[5:6], v[17:18], v[19:20]
	v_fma_f64 v[7:8], v[19:20], v[5:6], v[17:18]
	v_div_scale_f64 v[17:18], s[8:9], v[7:8], v[7:8], 1.0
	v_rcp_f64_e32 v[19:20], v[17:18]
	v_fma_f64 v[28:29], -v[17:18], v[19:20], 1.0
	v_fma_f64 v[19:20], v[19:20], v[28:29], v[19:20]
	v_div_scale_f64 v[28:29], vcc, 1.0, v[7:8], 1.0
	v_fma_f64 v[30:31], -v[17:18], v[19:20], 1.0
	v_fma_f64 v[19:20], v[19:20], v[30:31], v[19:20]
	v_mul_f64 v[30:31], v[28:29], v[19:20]
	v_fma_f64 v[17:18], -v[17:18], v[30:31], v[28:29]
	v_div_fmas_f64 v[17:18], v[17:18], v[19:20], v[30:31]
	v_fma_f64 v[19:20], v[5:6], v[23:24], v[21:22]
	v_div_fixup_f64 v[7:8], v[17:18], v[7:8], 1.0
	v_fma_f64 v[17:18], -v[5:6], v[21:22], v[23:24]
	v_mul_f64 v[5:6], v[19:20], v[7:8]
	v_mul_f64 v[7:8], v[17:18], v[7:8]
.LBB238_127:                            ;   in Loop: Header=BB238_113 Depth=1
	s_lshl_b32 s8, s15, 4
	s_add_i32 s9, s8, s17
	v_mov_b32_e32 v28, s9
	ds_read_b128 v[17:20], v28
	ds_read_b128 v[21:24], v28 offset:16
	ds_read_b128 v[28:31], v28 offset:32
	s_lshl_b32 s9, s13, 4
	s_add_i32 s8, s8, s9
	s_waitcnt lgkmcnt(2)
	v_mul_f64 v[32:33], v[11:12], v[19:20]
	v_mul_f64 v[19:20], v[9:10], v[19:20]
	s_waitcnt lgkmcnt(1)
	v_mul_f64 v[34:35], v[15:16], v[23:24]
	v_mul_f64 v[23:24], v[13:14], v[23:24]
	ds_write_b128 v27, v[5:8]
	v_fma_f64 v[32:33], v[9:10], v[17:18], -v[32:33]
	v_fma_f64 v[17:18], v[11:12], v[17:18], v[19:20]
	v_mov_b32_e32 v9, s8
	ds_read_b128 v[9:12], v9
	s_waitcnt lgkmcnt(2)
	v_mul_f64 v[19:20], v[7:8], v[30:31]
	v_mul_f64 v[30:31], v[5:6], v[30:31]
	v_fma_f64 v[13:14], v[13:14], v[21:22], -v[34:35]
	v_fma_f64 v[15:16], v[15:16], v[21:22], v[23:24]
	v_add_f64 v[1:2], v[1:2], -v[32:33]
	v_add_f64 v[3:4], v[3:4], -v[17:18]
	s_waitcnt lgkmcnt(0)
	v_cmp_ngt_f64_e64 s[14:15], |v[9:10]|, |v[11:12]|
	s_mov_b64 s[8:9], -1
	v_fma_f64 v[17:18], v[5:6], v[28:29], -v[19:20]
	v_fma_f64 v[19:20], v[7:8], v[28:29], v[30:31]
	v_add_f64 v[1:2], v[1:2], -v[13:14]
	v_add_f64 v[3:4], v[3:4], -v[15:16]
	s_and_b64 vcc, exec, s[14:15]
	v_add_f64 v[13:14], v[1:2], -v[17:18]
	v_add_f64 v[15:16], v[3:4], -v[19:20]
                                        ; implicit-def: $vgpr3_vgpr4
	s_cbranch_vccz .LBB238_129
; %bb.128:                              ;   in Loop: Header=BB238_113 Depth=1
	v_div_scale_f64 v[1:2], s[8:9], v[11:12], v[11:12], v[9:10]
	v_rcp_f64_e32 v[3:4], v[1:2]
	v_fma_f64 v[5:6], -v[1:2], v[3:4], 1.0
	v_fma_f64 v[3:4], v[3:4], v[5:6], v[3:4]
	v_div_scale_f64 v[5:6], vcc, v[9:10], v[11:12], v[9:10]
	v_fma_f64 v[7:8], -v[1:2], v[3:4], 1.0
	v_fma_f64 v[3:4], v[3:4], v[7:8], v[3:4]
	v_mul_f64 v[7:8], v[5:6], v[3:4]
	v_fma_f64 v[1:2], -v[1:2], v[7:8], v[5:6]
	v_div_fmas_f64 v[1:2], v[1:2], v[3:4], v[7:8]
	v_div_fixup_f64 v[1:2], v[1:2], v[11:12], v[9:10]
	v_fma_f64 v[3:4], v[9:10], v[1:2], v[11:12]
	v_div_scale_f64 v[5:6], s[8:9], v[3:4], v[3:4], 1.0
	s_mov_b64 s[8:9], 0
	v_rcp_f64_e32 v[7:8], v[5:6]
	v_fma_f64 v[17:18], -v[5:6], v[7:8], 1.0
	v_fma_f64 v[7:8], v[7:8], v[17:18], v[7:8]
	v_div_scale_f64 v[17:18], vcc, 1.0, v[3:4], 1.0
	v_fma_f64 v[19:20], -v[5:6], v[7:8], 1.0
	v_fma_f64 v[7:8], v[7:8], v[19:20], v[7:8]
	v_mul_f64 v[19:20], v[17:18], v[7:8]
	v_fma_f64 v[5:6], -v[5:6], v[19:20], v[17:18]
	v_div_fmas_f64 v[5:6], v[5:6], v[7:8], v[19:20]
	v_fma_f64 v[7:8], v[1:2], v[13:14], v[15:16]
	v_div_fixup_f64 v[3:4], v[5:6], v[3:4], 1.0
	v_fma_f64 v[5:6], v[1:2], v[15:16], -v[13:14]
	v_mul_f64 v[1:2], v[7:8], v[3:4]
	v_mul_f64 v[3:4], v[5:6], v[3:4]
.LBB238_129:                            ;   in Loop: Header=BB238_113 Depth=1
	s_andn2_b64 vcc, exec, s[8:9]
	s_cbranch_vccnz .LBB238_131
; %bb.130:                              ;   in Loop: Header=BB238_113 Depth=1
	v_div_scale_f64 v[1:2], s[8:9], v[9:10], v[9:10], v[11:12]
	v_rcp_f64_e32 v[3:4], v[1:2]
	v_fma_f64 v[5:6], -v[1:2], v[3:4], 1.0
	v_fma_f64 v[3:4], v[3:4], v[5:6], v[3:4]
	v_div_scale_f64 v[5:6], vcc, v[11:12], v[9:10], v[11:12]
	v_fma_f64 v[7:8], -v[1:2], v[3:4], 1.0
	v_fma_f64 v[3:4], v[3:4], v[7:8], v[3:4]
	v_mul_f64 v[7:8], v[5:6], v[3:4]
	v_fma_f64 v[1:2], -v[1:2], v[7:8], v[5:6]
	v_div_fmas_f64 v[1:2], v[1:2], v[3:4], v[7:8]
	v_div_fixup_f64 v[1:2], v[1:2], v[9:10], v[11:12]
	v_fma_f64 v[3:4], v[11:12], v[1:2], v[9:10]
	v_div_scale_f64 v[5:6], s[8:9], v[3:4], v[3:4], 1.0
	v_rcp_f64_e32 v[7:8], v[5:6]
	v_fma_f64 v[9:10], -v[5:6], v[7:8], 1.0
	v_fma_f64 v[7:8], v[7:8], v[9:10], v[7:8]
	v_div_scale_f64 v[9:10], vcc, 1.0, v[3:4], 1.0
	v_fma_f64 v[11:12], -v[5:6], v[7:8], 1.0
	v_fma_f64 v[7:8], v[7:8], v[11:12], v[7:8]
	v_mul_f64 v[11:12], v[9:10], v[7:8]
	v_fma_f64 v[5:6], -v[5:6], v[11:12], v[9:10]
	v_div_fmas_f64 v[5:6], v[5:6], v[7:8], v[11:12]
	v_fma_f64 v[7:8], v[1:2], v[15:16], v[13:14]
	v_div_fixup_f64 v[3:4], v[5:6], v[3:4], 1.0
	v_fma_f64 v[5:6], -v[1:2], v[13:14], v[15:16]
	v_mul_f64 v[1:2], v[7:8], v[3:4]
	v_mul_f64 v[3:4], v[5:6], v[3:4]
.LBB238_131:                            ;   in Loop: Header=BB238_113 Depth=1
	s_add_i32 s13, s11, 4
	s_add_i32 s8, s11, 7
	s_addk_i32 s10, 0x800
	s_cmp_ge_i32 s8, s25
	ds_write_b128 v26, v[1:4]
	s_cbranch_scc1 .LBB238_133
; %bb.132:                              ;   in Loop: Header=BB238_113 Depth=1
	s_mov_b32 s11, s13
	s_branch .LBB238_113
.LBB238_133:
	s_cmp_ge_i32 s13, s25
	s_cbranch_scc1 .LBB238_142
; %bb.134:
	v_mov_b32_e32 v1, 0x4000
	v_lshl_or_b32 v13, v0, 4, v1
	s_lshl_b32 s10, s13, 9
	s_branch .LBB238_136
.LBB238_135:                            ;   in Loop: Header=BB238_136 Depth=1
	s_add_i32 s13, s13, 1
	s_addk_i32 s10, 0x200
	s_cmp_ge_i32 s13, s25
	ds_write_b128 v14, v[9:12]
	s_cbranch_scc1 .LBB238_142
.LBB238_136:                            ; =>This Loop Header: Depth=1
                                        ;     Child Loop BB238_137 Depth 2
	v_lshl_add_u32 v14, s13, 9, v25
	ds_read_b128 v[1:4], v14
	s_cmp_eq_u32 s13, 0
	s_mov_b32 s8, s10
	v_mov_b32_e32 v5, v13
	s_mov_b32 s9, s13
	s_cbranch_scc1 .LBB238_138
.LBB238_137:                            ;   Parent Loop BB238_136 Depth=1
                                        ; =>  This Inner Loop Header: Depth=2
	v_mov_b32_e32 v10, s8
	ds_read_b128 v[6:9], v5
	ds_read_b128 v[15:18], v10
	s_add_i32 s9, s9, -1
	s_add_i32 s8, s8, 16
	s_cmp_eq_u32 s9, 0
	v_add_u32_e32 v5, 0x200, v5
	s_waitcnt lgkmcnt(0)
	v_mul_f64 v[10:11], v[17:18], v[8:9]
	v_mul_f64 v[8:9], v[15:16], v[8:9]
	v_fma_f64 v[10:11], v[15:16], v[6:7], -v[10:11]
	v_fma_f64 v[6:7], v[17:18], v[6:7], v[8:9]
	v_add_f64 v[1:2], v[1:2], -v[10:11]
	v_add_f64 v[3:4], v[3:4], -v[6:7]
	s_cbranch_scc0 .LBB238_137
.LBB238_138:                            ;   in Loop: Header=BB238_136 Depth=1
	s_mul_i32 s8, s13, 0x210
	v_mov_b32_e32 v5, s8
	ds_read_b128 v[5:8], v5
	s_mov_b64 s[8:9], -1
                                        ; implicit-def: $vgpr9_vgpr10
	s_waitcnt lgkmcnt(0)
	v_cmp_ngt_f64_e64 s[14:15], |v[5:6]|, |v[7:8]|
	s_and_b64 vcc, exec, s[14:15]
	s_cbranch_vccz .LBB238_140
; %bb.139:                              ;   in Loop: Header=BB238_136 Depth=1
	v_div_scale_f64 v[9:10], s[8:9], v[7:8], v[7:8], v[5:6]
	v_rcp_f64_e32 v[11:12], v[9:10]
	v_fma_f64 v[15:16], -v[9:10], v[11:12], 1.0
	v_fma_f64 v[11:12], v[11:12], v[15:16], v[11:12]
	v_div_scale_f64 v[15:16], vcc, v[5:6], v[7:8], v[5:6]
	v_fma_f64 v[17:18], -v[9:10], v[11:12], 1.0
	v_fma_f64 v[11:12], v[11:12], v[17:18], v[11:12]
	v_mul_f64 v[17:18], v[15:16], v[11:12]
	v_fma_f64 v[9:10], -v[9:10], v[17:18], v[15:16]
	v_div_fmas_f64 v[9:10], v[9:10], v[11:12], v[17:18]
	v_div_fixup_f64 v[9:10], v[9:10], v[7:8], v[5:6]
	v_fma_f64 v[11:12], v[5:6], v[9:10], v[7:8]
	v_div_scale_f64 v[15:16], s[8:9], v[11:12], v[11:12], 1.0
	s_mov_b64 s[8:9], 0
	v_rcp_f64_e32 v[17:18], v[15:16]
	v_fma_f64 v[19:20], -v[15:16], v[17:18], 1.0
	v_fma_f64 v[17:18], v[17:18], v[19:20], v[17:18]
	v_div_scale_f64 v[19:20], vcc, 1.0, v[11:12], 1.0
	v_fma_f64 v[21:22], -v[15:16], v[17:18], 1.0
	v_fma_f64 v[17:18], v[17:18], v[21:22], v[17:18]
	v_mul_f64 v[21:22], v[19:20], v[17:18]
	v_fma_f64 v[15:16], -v[15:16], v[21:22], v[19:20]
	v_div_fmas_f64 v[15:16], v[15:16], v[17:18], v[21:22]
	v_fma_f64 v[17:18], v[1:2], v[9:10], v[3:4]
	v_div_fixup_f64 v[11:12], v[15:16], v[11:12], 1.0
	v_fma_f64 v[15:16], v[3:4], v[9:10], -v[1:2]
	v_mul_f64 v[9:10], v[17:18], v[11:12]
	v_mul_f64 v[11:12], v[15:16], v[11:12]
.LBB238_140:                            ;   in Loop: Header=BB238_136 Depth=1
	s_andn2_b64 vcc, exec, s[8:9]
	s_cbranch_vccnz .LBB238_135
; %bb.141:                              ;   in Loop: Header=BB238_136 Depth=1
	v_div_scale_f64 v[9:10], s[8:9], v[5:6], v[5:6], v[7:8]
	v_rcp_f64_e32 v[11:12], v[9:10]
	v_fma_f64 v[15:16], -v[9:10], v[11:12], 1.0
	v_fma_f64 v[11:12], v[11:12], v[15:16], v[11:12]
	v_div_scale_f64 v[15:16], vcc, v[7:8], v[5:6], v[7:8]
	v_fma_f64 v[17:18], -v[9:10], v[11:12], 1.0
	v_fma_f64 v[11:12], v[11:12], v[17:18], v[11:12]
	v_mul_f64 v[17:18], v[15:16], v[11:12]
	v_fma_f64 v[9:10], -v[9:10], v[17:18], v[15:16]
	v_div_fmas_f64 v[9:10], v[9:10], v[11:12], v[17:18]
	v_div_fixup_f64 v[9:10], v[9:10], v[5:6], v[7:8]
	v_fma_f64 v[5:6], v[7:8], v[9:10], v[5:6]
	v_div_scale_f64 v[7:8], s[8:9], v[5:6], v[5:6], 1.0
	v_rcp_f64_e32 v[11:12], v[7:8]
	v_fma_f64 v[15:16], -v[7:8], v[11:12], 1.0
	v_fma_f64 v[11:12], v[11:12], v[15:16], v[11:12]
	v_div_scale_f64 v[15:16], vcc, 1.0, v[5:6], 1.0
	v_fma_f64 v[17:18], -v[7:8], v[11:12], 1.0
	v_fma_f64 v[11:12], v[11:12], v[17:18], v[11:12]
	v_mul_f64 v[17:18], v[15:16], v[11:12]
	v_fma_f64 v[7:8], -v[7:8], v[17:18], v[15:16]
	v_div_fmas_f64 v[7:8], v[7:8], v[11:12], v[17:18]
	v_fma_f64 v[11:12], v[3:4], v[9:10], v[1:2]
	v_fma_f64 v[1:2], -v[1:2], v[9:10], v[3:4]
	v_div_fixup_f64 v[5:6], v[7:8], v[5:6], 1.0
	v_mul_f64 v[9:10], v[11:12], v[5:6]
	v_mul_f64 v[11:12], v[1:2], v[5:6]
	s_branch .LBB238_135
.LBB238_142:
	s_and_saveexec_b64 s[8:9], s[0:1]
	s_cbranch_execz .LBB238_146
; %bb.143:
	s_cmp_lt_i32 s24, 1
	s_cbranch_scc1 .LBB238_146
; %bb.144:
	s_lshl_b64 s[0:1], s[4:5], 4
	s_add_u32 s2, s2, s0
	s_addc_u32 s3, s3, s1
	s_lshl_b64 s[0:1], s[20:21], 4
	s_add_u32 s0, s2, s0
	s_addc_u32 s1, s3, s1
	s_add_u32 s0, s0, s6
	s_addc_u32 s1, s1, s7
	s_ashr_i32 s13, s12, 31
	v_lshlrev_b32_e32 v2, 4, v0
	v_mov_b32_e32 v1, s1
	v_add_co_u32_e32 v0, vcc, s0, v2
	s_lshl_b64 s[0:1], s[12:13], 4
	v_addc_co_u32_e32 v1, vcc, 0, v1, vcc
	v_or_b32_e32 v2, 0x4000, v2
	v_mov_b32_e32 v3, s1
.LBB238_145:                            ; =>This Inner Loop Header: Depth=1
	ds_read2_b64 v[4:7], v2 offset1:1
	s_add_i32 s24, s24, -1
	v_add_u32_e32 v2, 0x200, v2
	s_cmp_lg_u32 s24, 0
	s_waitcnt lgkmcnt(0)
	global_store_dwordx4 v[0:1], v[4:7], off
	v_add_co_u32_e32 v0, vcc, s0, v0
	v_addc_co_u32_e32 v1, vcc, v1, v3, vcc
	s_cbranch_scc1 .LBB238_145
.LBB238_146:
	s_endpgm
	.section	.rodata,"a",@progbits
	.p2align	6, 0x0
	.amdhsa_kernel _ZL31rocblas_trsm_small_right_deviceI19rocblas_complex_numIdES1_PKS1_PS1_Li32EEv13rocblas_fill_18rocblas_operation_17rocblas_diagonal_iiT0_T1_lilT2_lili
		.amdhsa_group_segment_fixed_size 32768
		.amdhsa_private_segment_fixed_size 0
		.amdhsa_kernarg_size 368
		.amdhsa_user_sgpr_count 6
		.amdhsa_user_sgpr_private_segment_buffer 1
		.amdhsa_user_sgpr_dispatch_ptr 0
		.amdhsa_user_sgpr_queue_ptr 0
		.amdhsa_user_sgpr_kernarg_segment_ptr 1
		.amdhsa_user_sgpr_dispatch_id 0
		.amdhsa_user_sgpr_flat_scratch_init 0
		.amdhsa_user_sgpr_private_segment_size 0
		.amdhsa_uses_dynamic_stack 0
		.amdhsa_system_sgpr_private_segment_wavefront_offset 0
		.amdhsa_system_sgpr_workgroup_id_x 1
		.amdhsa_system_sgpr_workgroup_id_y 0
		.amdhsa_system_sgpr_workgroup_id_z 1
		.amdhsa_system_sgpr_workgroup_info 0
		.amdhsa_system_vgpr_workitem_id 0
		.amdhsa_next_free_vgpr 129
		.amdhsa_next_free_sgpr 98
		.amdhsa_reserve_vcc 1
		.amdhsa_reserve_flat_scratch 0
		.amdhsa_float_round_mode_32 0
		.amdhsa_float_round_mode_16_64 0
		.amdhsa_float_denorm_mode_32 3
		.amdhsa_float_denorm_mode_16_64 3
		.amdhsa_dx10_clamp 1
		.amdhsa_ieee_mode 1
		.amdhsa_fp16_overflow 0
		.amdhsa_exception_fp_ieee_invalid_op 0
		.amdhsa_exception_fp_denorm_src 0
		.amdhsa_exception_fp_ieee_div_zero 0
		.amdhsa_exception_fp_ieee_overflow 0
		.amdhsa_exception_fp_ieee_underflow 0
		.amdhsa_exception_fp_ieee_inexact 0
		.amdhsa_exception_int_div_zero 0
	.end_amdhsa_kernel
	.section	.text._ZL31rocblas_trsm_small_right_deviceI19rocblas_complex_numIdES1_PKS1_PS1_Li32EEv13rocblas_fill_18rocblas_operation_17rocblas_diagonal_iiT0_T1_lilT2_lili,"axG",@progbits,_ZL31rocblas_trsm_small_right_deviceI19rocblas_complex_numIdES1_PKS1_PS1_Li32EEv13rocblas_fill_18rocblas_operation_17rocblas_diagonal_iiT0_T1_lilT2_lili,comdat
.Lfunc_end238:
	.size	_ZL31rocblas_trsm_small_right_deviceI19rocblas_complex_numIdES1_PKS1_PS1_Li32EEv13rocblas_fill_18rocblas_operation_17rocblas_diagonal_iiT0_T1_lilT2_lili, .Lfunc_end238-_ZL31rocblas_trsm_small_right_deviceI19rocblas_complex_numIdES1_PKS1_PS1_Li32EEv13rocblas_fill_18rocblas_operation_17rocblas_diagonal_iiT0_T1_lilT2_lili
                                        ; -- End function
	.set _ZL31rocblas_trsm_small_right_deviceI19rocblas_complex_numIdES1_PKS1_PS1_Li32EEv13rocblas_fill_18rocblas_operation_17rocblas_diagonal_iiT0_T1_lilT2_lili.num_vgpr, 53
	.set _ZL31rocblas_trsm_small_right_deviceI19rocblas_complex_numIdES1_PKS1_PS1_Li32EEv13rocblas_fill_18rocblas_operation_17rocblas_diagonal_iiT0_T1_lilT2_lili.num_agpr, 0
	.set _ZL31rocblas_trsm_small_right_deviceI19rocblas_complex_numIdES1_PKS1_PS1_Li32EEv13rocblas_fill_18rocblas_operation_17rocblas_diagonal_iiT0_T1_lilT2_lili.numbered_sgpr, 29
	.set _ZL31rocblas_trsm_small_right_deviceI19rocblas_complex_numIdES1_PKS1_PS1_Li32EEv13rocblas_fill_18rocblas_operation_17rocblas_diagonal_iiT0_T1_lilT2_lili.num_named_barrier, 0
	.set _ZL31rocblas_trsm_small_right_deviceI19rocblas_complex_numIdES1_PKS1_PS1_Li32EEv13rocblas_fill_18rocblas_operation_17rocblas_diagonal_iiT0_T1_lilT2_lili.private_seg_size, 0
	.set _ZL31rocblas_trsm_small_right_deviceI19rocblas_complex_numIdES1_PKS1_PS1_Li32EEv13rocblas_fill_18rocblas_operation_17rocblas_diagonal_iiT0_T1_lilT2_lili.uses_vcc, 1
	.set _ZL31rocblas_trsm_small_right_deviceI19rocblas_complex_numIdES1_PKS1_PS1_Li32EEv13rocblas_fill_18rocblas_operation_17rocblas_diagonal_iiT0_T1_lilT2_lili.uses_flat_scratch, 0
	.set _ZL31rocblas_trsm_small_right_deviceI19rocblas_complex_numIdES1_PKS1_PS1_Li32EEv13rocblas_fill_18rocblas_operation_17rocblas_diagonal_iiT0_T1_lilT2_lili.has_dyn_sized_stack, 0
	.set _ZL31rocblas_trsm_small_right_deviceI19rocblas_complex_numIdES1_PKS1_PS1_Li32EEv13rocblas_fill_18rocblas_operation_17rocblas_diagonal_iiT0_T1_lilT2_lili.has_recursion, 0
	.set _ZL31rocblas_trsm_small_right_deviceI19rocblas_complex_numIdES1_PKS1_PS1_Li32EEv13rocblas_fill_18rocblas_operation_17rocblas_diagonal_iiT0_T1_lilT2_lili.has_indirect_call, 0
	.section	.AMDGPU.csdata,"",@progbits
; Kernel info:
; codeLenInByte = 14644
; TotalNumSgprs: 33
; NumVgprs: 53
; ScratchSize: 0
; MemoryBound: 0
; FloatMode: 240
; IeeeMode: 1
; LDSByteSize: 32768 bytes/workgroup (compile time only)
; SGPRBlocks: 12
; VGPRBlocks: 32
; NumSGPRsForWavesPerEU: 102
; NumVGPRsForWavesPerEU: 129
; Occupancy: 1
; WaveLimiterHint : 0
; COMPUTE_PGM_RSRC2:SCRATCH_EN: 0
; COMPUTE_PGM_RSRC2:USER_SGPR: 6
; COMPUTE_PGM_RSRC2:TRAP_HANDLER: 0
; COMPUTE_PGM_RSRC2:TGID_X_EN: 1
; COMPUTE_PGM_RSRC2:TGID_Y_EN: 0
; COMPUTE_PGM_RSRC2:TGID_Z_EN: 1
; COMPUTE_PGM_RSRC2:TIDIG_COMP_CNT: 0
	.section	.text._ZL33rocblas_trsm_small_64_left_deviceI19rocblas_complex_numIdES1_PKS1_PS1_Li64EEv13rocblas_fill_18rocblas_operation_17rocblas_diagonal_iiT0_T1_lilT2_lili,"axG",@progbits,_ZL33rocblas_trsm_small_64_left_deviceI19rocblas_complex_numIdES1_PKS1_PS1_Li64EEv13rocblas_fill_18rocblas_operation_17rocblas_diagonal_iiT0_T1_lilT2_lili,comdat
	.globl	_ZL33rocblas_trsm_small_64_left_deviceI19rocblas_complex_numIdES1_PKS1_PS1_Li64EEv13rocblas_fill_18rocblas_operation_17rocblas_diagonal_iiT0_T1_lilT2_lili ; -- Begin function _ZL33rocblas_trsm_small_64_left_deviceI19rocblas_complex_numIdES1_PKS1_PS1_Li64EEv13rocblas_fill_18rocblas_operation_17rocblas_diagonal_iiT0_T1_lilT2_lili
	.p2align	8
	.type	_ZL33rocblas_trsm_small_64_left_deviceI19rocblas_complex_numIdES1_PKS1_PS1_Li64EEv13rocblas_fill_18rocblas_operation_17rocblas_diagonal_iiT0_T1_lilT2_lili,@function
_ZL33rocblas_trsm_small_64_left_deviceI19rocblas_complex_numIdES1_PKS1_PS1_Li64EEv13rocblas_fill_18rocblas_operation_17rocblas_diagonal_iiT0_T1_lilT2_lili: ; @_ZL33rocblas_trsm_small_64_left_deviceI19rocblas_complex_numIdES1_PKS1_PS1_Li64EEv13rocblas_fill_18rocblas_operation_17rocblas_diagonal_iiT0_T1_lilT2_lili
; %bb.0:
	s_load_dwordx4 s[0:3], s[4:5], 0x0
	s_load_dword s26, s[4:5], 0x10
	s_load_dwordx8 s[8:15], s[4:5], 0x18
	s_load_dword s20, s[4:5], 0x58
	s_load_dwordx2 s[24:25], s[4:5], 0x60
	s_load_dwordx2 s[22:23], s[4:5], 0x50
	s_load_dwordx4 s[16:19], s[4:5], 0x40
	s_load_dword s27, s[4:5], 0x70
	s_waitcnt lgkmcnt(0)
	s_ashr_i32 s21, s20, 31
	s_mul_i32 s25, s25, s7
	s_mul_hi_u32 s28, s24, s7
	s_add_i32 s25, s28, s25
	s_lshl_b32 s28, s6, 6
	s_min_i32 s38, s3, 64
	s_add_i32 s27, s27, -1
	s_sub_i32 s26, s26, s28
	s_cmp_ge_u32 s6, s27
	s_mul_i32 s24, s24, s7
	s_cselect_b32 s33, s26, 64
	s_mul_hi_i32 s27, s20, s28
	s_mul_i32 s26, s20, s28
	v_cmp_gt_i32_e32 vcc, s38, v0
	s_and_saveexec_b64 s[28:29], vcc
	s_cbranch_execz .LBB239_4
; %bb.1:
	s_cmp_lt_i32 s33, 1
	s_cbranch_scc1 .LBB239_4
; %bb.2:
	s_lshl_b64 s[30:31], s[26:27], 4
	s_lshl_b64 s[34:35], s[24:25], 4
	s_add_u32 s6, s30, s34
	s_addc_u32 s34, s31, s35
	s_lshl_b64 s[30:31], s[22:23], 4
	s_add_u32 s6, s6, s30
	s_addc_u32 s30, s34, s31
	s_add_u32 s6, s18, s6
	v_lshlrev_b32_e32 v3, 4, v0
	s_addc_u32 s30, s19, s30
	v_mov_b32_e32 v1, s30
	v_add_co_u32_e32 v2, vcc, s6, v3
	v_addc_co_u32_e32 v4, vcc, 0, v1, vcc
	v_add_co_u32_e32 v1, vcc, 8, v2
	s_lshl_b64 s[30:31], s[20:21], 4
	v_addc_co_u32_e32 v2, vcc, 0, v4, vcc
	v_mov_b32_e32 v4, s31
	s_mov_b32 s6, s33
.LBB239_3:                              ; =>This Inner Loop Header: Depth=1
	global_load_dwordx4 v[5:8], v[1:2], off offset:-8
	s_add_i32 s6, s6, -1
	v_add_co_u32_e32 v1, vcc, s30, v1
	v_addc_co_u32_e32 v2, vcc, v2, v4, vcc
	s_cmp_lg_u32 s6, 0
	s_waitcnt vmcnt(0)
	v_mul_f64 v[9:10], s[10:11], v[7:8]
	v_mul_f64 v[11:12], s[8:9], v[7:8]
	v_fma_f64 v[7:8], s[8:9], v[5:6], -v[9:10]
	v_fma_f64 v[9:10], s[10:11], v[5:6], v[11:12]
	ds_write_b128 v3, v[7:10]
	v_add_u32_e32 v3, 0x400, v3
	s_cbranch_scc1 .LBB239_3
.LBB239_4:
	s_or_b64 exec, exec, s[28:29]
	s_load_dword s8, s[4:5], 0x38
	s_mul_i32 s4, s17, s7
	s_mul_hi_u32 s5, s16, s7
	s_add_i32 s5, s5, s4
	s_mul_i32 s4, s16, s7
	s_lshl_b64 s[10:11], s[4:5], 4
	s_add_u32 s4, s12, s10
	s_addc_u32 s5, s13, s11
	s_lshl_b64 s[14:15], s[14:15], 4
	s_add_u32 s39, s4, s14
	s_addc_u32 s40, s5, s15
	s_cmpk_eq_i32 s0, 0x7a
	s_cselect_b64 s[6:7], -1, 0
	s_cmpk_lg_i32 s0, 0x7a
	s_cselect_b64 s[4:5], -1, 0
	s_cmpk_eq_i32 s1, 0x6f
	s_cselect_b64 s[16:17], -1, 0
	s_and_b64 s[28:29], s[6:7], s[16:17]
	s_andn2_b64 vcc, exec, s[28:29]
	s_mov_b64 s[28:29], -1
	s_waitcnt lgkmcnt(0)
	; wave barrier
	s_cbranch_vccz .LBB239_47
; %bb.5:
	s_xor_b64 s[6:7], s[6:7], -1
	s_add_i32 s41, s38, -1
	s_and_b64 s[6:7], s[16:17], s[6:7]
	s_cmp_gt_i32 s3, 0
	s_cselect_b64 s[16:17], -1, 0
	s_andn2_b64 vcc, exec, s[6:7]
	s_mov_b64 s[6:7], -1
	s_cbranch_vccz .LBB239_33
; %bb.6:
	s_cmpk_eq_i32 s1, 0x71
	s_cselect_b64 s[0:1], -1, 0
	s_andn2_b64 vcc, exec, s[4:5]
	s_mov_b64 s[4:5], -1
	s_cbranch_vccnz .LBB239_19
; %bb.7:
	s_andn2_b64 vcc, exec, s[16:17]
	s_cbranch_vccnz .LBB239_18
; %bb.8:
	s_ashr_i32 s9, s8, 31
	s_cmpk_lg_i32 s2, 0x84
	s_cselect_b64 s[28:29], -1, 0
	s_add_u32 s42, s8, 1
	s_addc_u32 s43, s9, 0
	s_add_u32 s4, s10, s14
	s_addc_u32 s5, s11, s15
	;; [unrolled: 2-line block ×3, first 2 shown]
	s_add_u32 s30, s4, 8
	v_lshlrev_b32_e32 v9, 10, v0
	s_addc_u32 s31, s5, 0
	s_lshl_b64 s[34:35], s[8:9], 4
	s_mov_b32 s9, 0
	s_branch .LBB239_11
.LBB239_9:                              ;   in Loop: Header=BB239_11 Depth=1
	ds_write_b128 v10, v[5:8]
.LBB239_10:                             ;   in Loop: Header=BB239_11 Depth=1
	s_add_i32 s9, s9, 1
	s_add_u32 s30, s30, s34
	s_addc_u32 s31, s31, s35
	s_cmp_lg_u32 s9, s38
	s_cbranch_scc0 .LBB239_18
.LBB239_11:                             ; =>This Loop Header: Depth=1
                                        ;     Child Loop BB239_12 Depth 2
	v_lshl_add_u32 v10, s9, 4, v9
	ds_read_b128 v[1:4], v10
	s_cmp_eq_u32 s9, 0
	v_mov_b32_e32 v5, v9
	s_mov_b64 s[4:5], s[30:31]
	s_mov_b32 s6, s9
	s_cbranch_scc1 .LBB239_13
.LBB239_12:                             ;   Parent Loop BB239_11 Depth=1
                                        ; =>  This Inner Loop Header: Depth=2
	s_add_u32 s36, s4, -8
	s_addc_u32 s37, s5, -1
	s_load_dwordx4 s[44:47], s[36:37], 0x0
	ds_read_b128 v[11:14], v5
	v_add_u32_e32 v5, 16, v5
	s_waitcnt lgkmcnt(0)
	s_xor_b32 s7, s47, 0x80000000
	s_and_b64 s[36:37], s[0:1], exec
	s_cselect_b32 s37, s7, s47
	s_cselect_b32 s36, s46, s46
	v_mul_f64 v[6:7], s[44:45], v[13:14]
	v_mul_f64 v[13:14], s[36:37], v[13:14]
	s_add_i32 s6, s6, -1
	s_add_u32 s4, s4, 16
	s_addc_u32 s5, s5, 0
	s_cmp_eq_u32 s6, 0
	v_fma_f64 v[6:7], s[36:37], v[11:12], v[6:7]
	v_fma_f64 v[11:12], s[44:45], v[11:12], -v[13:14]
	v_add_f64 v[3:4], v[3:4], -v[6:7]
	v_add_f64 v[1:2], v[1:2], -v[11:12]
	s_cbranch_scc0 .LBB239_12
.LBB239_13:                             ;   in Loop: Header=BB239_11 Depth=1
	s_and_b64 vcc, exec, s[28:29]
	s_waitcnt lgkmcnt(0)
	ds_write_b128 v10, v[1:4]
	s_cbranch_vccz .LBB239_10
; %bb.14:                               ;   in Loop: Header=BB239_11 Depth=1
	s_mul_i32 s4, s43, s9
	s_mul_hi_u32 s5, s42, s9
	s_add_i32 s5, s5, s4
	s_mul_i32 s4, s42, s9
	s_lshl_b64 s[4:5], s[4:5], 4
	s_add_u32 s36, s39, s4
	s_addc_u32 s37, s40, s5
	s_load_dwordx4 s[4:7], s[36:37], 0x0
	s_waitcnt lgkmcnt(0)
	v_mov_b32_e32 v5, s6
	v_mov_b32_e32 v6, s7
	v_cmp_ngt_f64_e64 s[44:45], |s[4:5]|, |v[5:6]|
	s_xor_b32 s46, s7, 0x80000000
	s_and_b64 s[36:37], s[0:1], exec
	s_cselect_b32 s7, s46, s7
	s_cselect_b32 s6, s6, s6
	s_mov_b64 s[36:37], -1
                                        ; implicit-def: $vgpr7_vgpr8
	s_and_b64 vcc, exec, s[44:45]
	s_cbranch_vccz .LBB239_16
; %bb.15:                               ;   in Loop: Header=BB239_11 Depth=1
	v_mov_b32_e32 v6, s5
	v_mov_b32_e32 v5, s4
	v_div_scale_f64 v[7:8], s[36:37], s[6:7], s[6:7], v[5:6]
	v_rcp_f64_e32 v[11:12], v[7:8]
	v_fma_f64 v[13:14], -v[7:8], v[11:12], 1.0
	v_fma_f64 v[11:12], v[11:12], v[13:14], v[11:12]
	v_mov_b32_e32 v14, s7
	v_mov_b32_e32 v13, s6
	v_div_scale_f64 v[15:16], vcc, s[4:5], v[13:14], s[4:5]
	v_fma_f64 v[17:18], -v[7:8], v[11:12], 1.0
	v_fma_f64 v[11:12], v[11:12], v[17:18], v[11:12]
	v_mul_f64 v[17:18], v[15:16], v[11:12]
	v_fma_f64 v[7:8], -v[7:8], v[17:18], v[15:16]
	v_div_fmas_f64 v[7:8], v[7:8], v[11:12], v[17:18]
	v_div_fixup_f64 v[5:6], v[7:8], s[6:7], v[5:6]
	v_fma_f64 v[7:8], s[4:5], v[5:6], v[13:14]
	v_div_scale_f64 v[11:12], s[36:37], v[7:8], v[7:8], 1.0
	s_mov_b64 s[36:37], 0
	v_rcp_f64_e32 v[13:14], v[11:12]
	v_fma_f64 v[15:16], -v[11:12], v[13:14], 1.0
	v_fma_f64 v[13:14], v[13:14], v[15:16], v[13:14]
	v_div_scale_f64 v[15:16], vcc, 1.0, v[7:8], 1.0
	v_fma_f64 v[17:18], -v[11:12], v[13:14], 1.0
	v_fma_f64 v[13:14], v[13:14], v[17:18], v[13:14]
	v_mul_f64 v[17:18], v[15:16], v[13:14]
	v_fma_f64 v[11:12], -v[11:12], v[17:18], v[15:16]
	v_div_fmas_f64 v[11:12], v[11:12], v[13:14], v[17:18]
	v_fma_f64 v[13:14], v[1:2], v[5:6], v[3:4]
	v_div_fixup_f64 v[7:8], v[11:12], v[7:8], 1.0
	v_fma_f64 v[11:12], v[3:4], v[5:6], -v[1:2]
	v_mul_f64 v[5:6], v[13:14], v[7:8]
	v_mul_f64 v[7:8], v[11:12], v[7:8]
.LBB239_16:                             ;   in Loop: Header=BB239_11 Depth=1
	s_andn2_b64 vcc, exec, s[36:37]
	s_cbranch_vccnz .LBB239_9
; %bb.17:                               ;   in Loop: Header=BB239_11 Depth=1
	v_mov_b32_e32 v5, s6
	v_mov_b32_e32 v6, s7
	v_div_scale_f64 v[7:8], s[36:37], s[4:5], s[4:5], v[5:6]
	v_rcp_f64_e32 v[11:12], v[7:8]
	v_fma_f64 v[13:14], -v[7:8], v[11:12], 1.0
	v_fma_f64 v[11:12], v[11:12], v[13:14], v[11:12]
	v_mov_b32_e32 v14, s5
	v_mov_b32_e32 v13, s4
	v_div_scale_f64 v[15:16], vcc, s[6:7], v[13:14], s[6:7]
	v_fma_f64 v[17:18], -v[7:8], v[11:12], 1.0
	v_fma_f64 v[11:12], v[11:12], v[17:18], v[11:12]
	v_mul_f64 v[17:18], v[15:16], v[11:12]
	v_fma_f64 v[7:8], -v[7:8], v[17:18], v[15:16]
	v_div_fmas_f64 v[7:8], v[7:8], v[11:12], v[17:18]
	v_div_fixup_f64 v[5:6], v[7:8], s[4:5], v[5:6]
	v_fma_f64 v[7:8], s[6:7], v[5:6], v[13:14]
	v_div_scale_f64 v[11:12], s[4:5], v[7:8], v[7:8], 1.0
	v_rcp_f64_e32 v[13:14], v[11:12]
	v_fma_f64 v[15:16], -v[11:12], v[13:14], 1.0
	v_fma_f64 v[13:14], v[13:14], v[15:16], v[13:14]
	v_div_scale_f64 v[15:16], vcc, 1.0, v[7:8], 1.0
	v_fma_f64 v[17:18], -v[11:12], v[13:14], 1.0
	v_fma_f64 v[13:14], v[13:14], v[17:18], v[13:14]
	v_mul_f64 v[17:18], v[15:16], v[13:14]
	v_fma_f64 v[11:12], -v[11:12], v[17:18], v[15:16]
	v_div_fmas_f64 v[11:12], v[11:12], v[13:14], v[17:18]
	v_fma_f64 v[13:14], v[3:4], v[5:6], v[1:2]
	v_fma_f64 v[1:2], -v[1:2], v[5:6], v[3:4]
	v_div_fixup_f64 v[7:8], v[11:12], v[7:8], 1.0
	v_mul_f64 v[5:6], v[13:14], v[7:8]
	v_mul_f64 v[7:8], v[1:2], v[7:8]
	s_branch .LBB239_9
.LBB239_18:
	s_mov_b64 s[4:5], 0
.LBB239_19:
	s_andn2_b64 vcc, exec, s[4:5]
	s_cbranch_vccnz .LBB239_32
; %bb.20:
	s_andn2_b64 vcc, exec, s[16:17]
	s_cbranch_vccnz .LBB239_32
; %bb.21:
	s_ashr_i32 s9, s8, 31
	s_cmpk_lg_i32 s2, 0x84
	s_cselect_b64 s[28:29], -1, 0
	s_add_u32 s36, s8, 1
	v_lshlrev_b32_e32 v9, 10, v0
	s_addc_u32 s37, s9, 0
	s_lshl_b32 s4, s38, 4
	v_add3_u32 v10, s4, v9, -16
	s_mov_b32 s31, 0
	s_mov_b32 s42, s41
	s_branch .LBB239_24
.LBB239_22:                             ;   in Loop: Header=BB239_24 Depth=1
	ds_write_b128 v11, v[5:8]
.LBB239_23:                             ;   in Loop: Header=BB239_24 Depth=1
	s_add_i32 s4, s42, -1
	s_cmp_lt_i32 s42, 1
	s_mov_b32 s42, s4
	s_cbranch_scc1 .LBB239_32
.LBB239_24:                             ; =>This Loop Header: Depth=1
                                        ;     Child Loop BB239_26 Depth 2
	v_lshl_add_u32 v11, s42, 4, v9
	ds_read_b128 v[1:4], v11
	s_cmp_le_i32 s41, s42
	s_cbranch_scc1 .LBB239_27
; %bb.25:                               ;   in Loop: Header=BB239_24 Depth=1
	s_mul_i32 s4, s42, s9
	s_mul_hi_u32 s5, s42, s8
	s_add_i32 s5, s5, s4
	s_mul_i32 s4, s42, s8
	s_lshl_b64 s[4:5], s[4:5], 4
	s_add_u32 s4, s39, s4
	s_addc_u32 s5, s40, s5
	v_mov_b32_e32 v5, v10
	s_mov_b32 s30, s41
.LBB239_26:                             ;   Parent Loop BB239_24 Depth=1
                                        ; =>  This Inner Loop Header: Depth=2
	s_lshl_b64 s[6:7], s[30:31], 4
	s_add_u32 s6, s4, s6
	s_addc_u32 s7, s5, s7
	s_load_dwordx4 s[44:47], s[6:7], 0x0
	ds_read_b128 v[12:15], v5
	v_add_u32_e32 v5, -16, v5
	s_waitcnt lgkmcnt(0)
	s_xor_b32 s34, s47, 0x80000000
	s_and_b64 s[6:7], s[0:1], exec
	s_cselect_b32 s7, s34, s47
	s_cselect_b32 s6, s46, s46
	v_mul_f64 v[6:7], s[44:45], v[14:15]
	v_mul_f64 v[14:15], s[6:7], v[14:15]
	s_add_i32 s30, s30, -1
	s_cmp_le_i32 s30, s42
	v_fma_f64 v[6:7], s[6:7], v[12:13], v[6:7]
	v_fma_f64 v[12:13], s[44:45], v[12:13], -v[14:15]
	v_add_f64 v[3:4], v[3:4], -v[6:7]
	v_add_f64 v[1:2], v[1:2], -v[12:13]
	s_cbranch_scc0 .LBB239_26
.LBB239_27:                             ;   in Loop: Header=BB239_24 Depth=1
	s_and_b64 vcc, exec, s[28:29]
	s_waitcnt lgkmcnt(0)
	ds_write_b128 v11, v[1:4]
	s_cbranch_vccz .LBB239_23
; %bb.28:                               ;   in Loop: Header=BB239_24 Depth=1
	s_mul_i32 s4, s37, s42
	s_mul_hi_u32 s5, s36, s42
	s_add_i32 s5, s5, s4
	s_mul_i32 s4, s36, s42
	s_lshl_b64 s[4:5], s[4:5], 4
	s_add_u32 s34, s39, s4
	s_addc_u32 s35, s40, s5
	s_load_dwordx4 s[4:7], s[34:35], 0x0
	s_waitcnt lgkmcnt(0)
	v_mov_b32_e32 v5, s6
	v_mov_b32_e32 v6, s7
	v_cmp_ngt_f64_e64 s[44:45], |s[4:5]|, |v[5:6]|
	s_xor_b32 s30, s7, 0x80000000
	s_and_b64 s[34:35], s[0:1], exec
	s_cselect_b32 s7, s30, s7
	s_cselect_b32 s6, s6, s6
	s_mov_b64 s[34:35], -1
                                        ; implicit-def: $vgpr7_vgpr8
	s_and_b64 vcc, exec, s[44:45]
	s_cbranch_vccz .LBB239_30
; %bb.29:                               ;   in Loop: Header=BB239_24 Depth=1
	v_mov_b32_e32 v6, s5
	v_mov_b32_e32 v5, s4
	v_div_scale_f64 v[7:8], s[34:35], s[6:7], s[6:7], v[5:6]
	v_rcp_f64_e32 v[12:13], v[7:8]
	v_fma_f64 v[14:15], -v[7:8], v[12:13], 1.0
	v_fma_f64 v[12:13], v[12:13], v[14:15], v[12:13]
	v_mov_b32_e32 v15, s7
	v_mov_b32_e32 v14, s6
	v_div_scale_f64 v[16:17], vcc, s[4:5], v[14:15], s[4:5]
	v_fma_f64 v[18:19], -v[7:8], v[12:13], 1.0
	v_fma_f64 v[12:13], v[12:13], v[18:19], v[12:13]
	v_mul_f64 v[18:19], v[16:17], v[12:13]
	v_fma_f64 v[7:8], -v[7:8], v[18:19], v[16:17]
	v_div_fmas_f64 v[7:8], v[7:8], v[12:13], v[18:19]
	v_div_fixup_f64 v[5:6], v[7:8], s[6:7], v[5:6]
	v_fma_f64 v[7:8], s[4:5], v[5:6], v[14:15]
	v_div_scale_f64 v[12:13], s[34:35], v[7:8], v[7:8], 1.0
	s_mov_b64 s[34:35], 0
	v_rcp_f64_e32 v[14:15], v[12:13]
	v_fma_f64 v[16:17], -v[12:13], v[14:15], 1.0
	v_fma_f64 v[14:15], v[14:15], v[16:17], v[14:15]
	v_div_scale_f64 v[16:17], vcc, 1.0, v[7:8], 1.0
	v_fma_f64 v[18:19], -v[12:13], v[14:15], 1.0
	v_fma_f64 v[14:15], v[14:15], v[18:19], v[14:15]
	v_mul_f64 v[18:19], v[16:17], v[14:15]
	v_fma_f64 v[12:13], -v[12:13], v[18:19], v[16:17]
	v_div_fmas_f64 v[12:13], v[12:13], v[14:15], v[18:19]
	v_fma_f64 v[14:15], v[1:2], v[5:6], v[3:4]
	v_div_fixup_f64 v[7:8], v[12:13], v[7:8], 1.0
	v_fma_f64 v[12:13], v[3:4], v[5:6], -v[1:2]
	v_mul_f64 v[5:6], v[14:15], v[7:8]
	v_mul_f64 v[7:8], v[12:13], v[7:8]
.LBB239_30:                             ;   in Loop: Header=BB239_24 Depth=1
	s_andn2_b64 vcc, exec, s[34:35]
	s_cbranch_vccnz .LBB239_22
; %bb.31:                               ;   in Loop: Header=BB239_24 Depth=1
	v_mov_b32_e32 v5, s6
	v_mov_b32_e32 v6, s7
	v_div_scale_f64 v[7:8], s[34:35], s[4:5], s[4:5], v[5:6]
	v_rcp_f64_e32 v[12:13], v[7:8]
	v_fma_f64 v[14:15], -v[7:8], v[12:13], 1.0
	v_fma_f64 v[12:13], v[12:13], v[14:15], v[12:13]
	v_mov_b32_e32 v15, s5
	v_mov_b32_e32 v14, s4
	v_div_scale_f64 v[16:17], vcc, s[6:7], v[14:15], s[6:7]
	v_fma_f64 v[18:19], -v[7:8], v[12:13], 1.0
	v_fma_f64 v[12:13], v[12:13], v[18:19], v[12:13]
	v_mul_f64 v[18:19], v[16:17], v[12:13]
	v_fma_f64 v[7:8], -v[7:8], v[18:19], v[16:17]
	v_div_fmas_f64 v[7:8], v[7:8], v[12:13], v[18:19]
	v_div_fixup_f64 v[5:6], v[7:8], s[4:5], v[5:6]
	v_fma_f64 v[7:8], s[6:7], v[5:6], v[14:15]
	v_div_scale_f64 v[12:13], s[4:5], v[7:8], v[7:8], 1.0
	v_rcp_f64_e32 v[14:15], v[12:13]
	v_fma_f64 v[16:17], -v[12:13], v[14:15], 1.0
	v_fma_f64 v[14:15], v[14:15], v[16:17], v[14:15]
	v_div_scale_f64 v[16:17], vcc, 1.0, v[7:8], 1.0
	v_fma_f64 v[18:19], -v[12:13], v[14:15], 1.0
	v_fma_f64 v[14:15], v[14:15], v[18:19], v[14:15]
	v_mul_f64 v[18:19], v[16:17], v[14:15]
	v_fma_f64 v[12:13], -v[12:13], v[18:19], v[16:17]
	v_div_fmas_f64 v[12:13], v[12:13], v[14:15], v[18:19]
	v_fma_f64 v[14:15], v[3:4], v[5:6], v[1:2]
	v_fma_f64 v[1:2], -v[1:2], v[5:6], v[3:4]
	v_div_fixup_f64 v[7:8], v[12:13], v[7:8], 1.0
	v_mul_f64 v[5:6], v[14:15], v[7:8]
	v_mul_f64 v[7:8], v[1:2], v[7:8]
	s_branch .LBB239_22
.LBB239_32:
	s_mov_b64 s[6:7], 0
.LBB239_33:
	s_andn2_b64 vcc, exec, s[6:7]
	s_cbranch_vccnz .LBB239_46
; %bb.34:
	s_andn2_b64 vcc, exec, s[16:17]
	s_cbranch_vccnz .LBB239_46
; %bb.35:
	s_ashr_i32 s9, s8, 31
	s_cmpk_lg_i32 s2, 0x84
	s_cselect_b64 s[0:1], -1, 0
	s_add_u32 s30, s8, 1
	v_lshlrev_b32_e32 v9, 10, v0
	s_addc_u32 s31, s9, 0
	s_lshl_b32 s4, s38, 4
	v_add3_u32 v10, s4, v9, -16
	s_mov_b32 s17, 0
	s_mov_b32 s16, s41
	s_branch .LBB239_38
.LBB239_36:                             ;   in Loop: Header=BB239_38 Depth=1
	ds_write_b128 v11, v[5:8]
.LBB239_37:                             ;   in Loop: Header=BB239_38 Depth=1
	s_add_i32 s4, s16, -1
	s_cmp_lt_i32 s16, 1
	s_mov_b32 s16, s4
	s_cbranch_scc1 .LBB239_46
.LBB239_38:                             ; =>This Loop Header: Depth=1
                                        ;     Child Loop BB239_40 Depth 2
	v_lshl_add_u32 v11, s16, 4, v9
	ds_read_b128 v[1:4], v11
	s_cmp_le_i32 s41, s16
	s_cbranch_scc1 .LBB239_41
; %bb.39:                               ;   in Loop: Header=BB239_38 Depth=1
	s_lshl_b64 s[4:5], s[16:17], 4
	s_add_u32 s4, s39, s4
	s_addc_u32 s5, s40, s5
	v_mov_b32_e32 v5, v10
	s_mov_b32 s6, s41
.LBB239_40:                             ;   Parent Loop BB239_38 Depth=1
                                        ; =>  This Inner Loop Header: Depth=2
	s_mul_i32 s7, s6, s9
	s_mul_hi_u32 s29, s6, s8
	s_mul_i32 s28, s6, s8
	s_add_i32 s29, s29, s7
	s_lshl_b64 s[28:29], s[28:29], 4
	s_add_u32 s28, s4, s28
	s_addc_u32 s29, s5, s29
	ds_read_b128 v[12:15], v5
	s_load_dwordx4 s[44:47], s[28:29], 0x0
	s_add_i32 s6, s6, -1
	s_cmp_le_i32 s6, s16
	v_add_u32_e32 v5, -16, v5
	s_waitcnt lgkmcnt(0)
	v_mul_f64 v[6:7], s[46:47], v[14:15]
	v_mul_f64 v[14:15], s[44:45], v[14:15]
	v_fma_f64 v[6:7], s[44:45], v[12:13], -v[6:7]
	v_fma_f64 v[12:13], s[46:47], v[12:13], v[14:15]
	v_add_f64 v[1:2], v[1:2], -v[6:7]
	v_add_f64 v[3:4], v[3:4], -v[12:13]
	s_cbranch_scc0 .LBB239_40
.LBB239_41:                             ;   in Loop: Header=BB239_38 Depth=1
	s_and_b64 vcc, exec, s[0:1]
	s_waitcnt lgkmcnt(0)
	ds_write_b128 v11, v[1:4]
	s_cbranch_vccz .LBB239_37
; %bb.42:                               ;   in Loop: Header=BB239_38 Depth=1
	s_mul_i32 s4, s31, s16
	s_mul_hi_u32 s5, s30, s16
	s_add_i32 s5, s5, s4
	s_mul_i32 s4, s30, s16
	s_lshl_b64 s[4:5], s[4:5], 4
	s_add_u32 s28, s39, s4
	s_addc_u32 s29, s40, s5
	s_load_dwordx4 s[4:7], s[28:29], 0x0
	s_mov_b64 s[28:29], -1
	s_waitcnt lgkmcnt(0)
	v_mov_b32_e32 v5, s6
	v_mov_b32_e32 v6, s7
	v_cmp_ngt_f64_e64 s[34:35], |s[4:5]|, |v[5:6]|
                                        ; implicit-def: $vgpr7_vgpr8
	s_and_b64 vcc, exec, s[34:35]
	s_cbranch_vccz .LBB239_44
; %bb.43:                               ;   in Loop: Header=BB239_38 Depth=1
	v_mov_b32_e32 v6, s5
	v_mov_b32_e32 v5, s4
	v_div_scale_f64 v[7:8], s[28:29], s[6:7], s[6:7], v[5:6]
	v_rcp_f64_e32 v[12:13], v[7:8]
	v_fma_f64 v[14:15], -v[7:8], v[12:13], 1.0
	v_fma_f64 v[12:13], v[12:13], v[14:15], v[12:13]
	v_mov_b32_e32 v15, s7
	v_mov_b32_e32 v14, s6
	v_div_scale_f64 v[16:17], vcc, s[4:5], v[14:15], s[4:5]
	v_fma_f64 v[18:19], -v[7:8], v[12:13], 1.0
	v_fma_f64 v[12:13], v[12:13], v[18:19], v[12:13]
	v_mul_f64 v[18:19], v[16:17], v[12:13]
	v_fma_f64 v[7:8], -v[7:8], v[18:19], v[16:17]
	v_div_fmas_f64 v[7:8], v[7:8], v[12:13], v[18:19]
	v_div_fixup_f64 v[5:6], v[7:8], s[6:7], v[5:6]
	v_fma_f64 v[7:8], s[4:5], v[5:6], v[14:15]
	v_div_scale_f64 v[12:13], s[28:29], v[7:8], v[7:8], 1.0
	s_mov_b64 s[28:29], 0
	v_rcp_f64_e32 v[14:15], v[12:13]
	v_fma_f64 v[16:17], -v[12:13], v[14:15], 1.0
	v_fma_f64 v[14:15], v[14:15], v[16:17], v[14:15]
	v_div_scale_f64 v[16:17], vcc, 1.0, v[7:8], 1.0
	v_fma_f64 v[18:19], -v[12:13], v[14:15], 1.0
	v_fma_f64 v[14:15], v[14:15], v[18:19], v[14:15]
	v_mul_f64 v[18:19], v[16:17], v[14:15]
	v_fma_f64 v[12:13], -v[12:13], v[18:19], v[16:17]
	v_div_fmas_f64 v[12:13], v[12:13], v[14:15], v[18:19]
	v_fma_f64 v[14:15], v[1:2], v[5:6], v[3:4]
	v_div_fixup_f64 v[7:8], v[12:13], v[7:8], 1.0
	v_fma_f64 v[12:13], v[3:4], v[5:6], -v[1:2]
	v_mul_f64 v[5:6], v[14:15], v[7:8]
	v_mul_f64 v[7:8], v[12:13], v[7:8]
.LBB239_44:                             ;   in Loop: Header=BB239_38 Depth=1
	s_andn2_b64 vcc, exec, s[28:29]
	s_cbranch_vccnz .LBB239_36
; %bb.45:                               ;   in Loop: Header=BB239_38 Depth=1
	v_mov_b32_e32 v5, s6
	v_mov_b32_e32 v6, s7
	v_div_scale_f64 v[7:8], s[28:29], s[4:5], s[4:5], v[5:6]
	v_rcp_f64_e32 v[12:13], v[7:8]
	v_fma_f64 v[14:15], -v[7:8], v[12:13], 1.0
	v_fma_f64 v[12:13], v[12:13], v[14:15], v[12:13]
	v_mov_b32_e32 v15, s5
	v_mov_b32_e32 v14, s4
	v_div_scale_f64 v[16:17], vcc, s[6:7], v[14:15], s[6:7]
	v_fma_f64 v[18:19], -v[7:8], v[12:13], 1.0
	v_fma_f64 v[12:13], v[12:13], v[18:19], v[12:13]
	v_mul_f64 v[18:19], v[16:17], v[12:13]
	v_fma_f64 v[7:8], -v[7:8], v[18:19], v[16:17]
	v_div_fmas_f64 v[7:8], v[7:8], v[12:13], v[18:19]
	v_div_fixup_f64 v[5:6], v[7:8], s[4:5], v[5:6]
	v_fma_f64 v[7:8], s[6:7], v[5:6], v[14:15]
	v_div_scale_f64 v[12:13], s[4:5], v[7:8], v[7:8], 1.0
	v_rcp_f64_e32 v[14:15], v[12:13]
	v_fma_f64 v[16:17], -v[12:13], v[14:15], 1.0
	v_fma_f64 v[14:15], v[14:15], v[16:17], v[14:15]
	v_div_scale_f64 v[16:17], vcc, 1.0, v[7:8], 1.0
	v_fma_f64 v[18:19], -v[12:13], v[14:15], 1.0
	v_fma_f64 v[14:15], v[14:15], v[18:19], v[14:15]
	v_mul_f64 v[18:19], v[16:17], v[14:15]
	v_fma_f64 v[12:13], -v[12:13], v[18:19], v[16:17]
	v_div_fmas_f64 v[12:13], v[12:13], v[14:15], v[18:19]
	v_fma_f64 v[14:15], v[3:4], v[5:6], v[1:2]
	v_fma_f64 v[1:2], -v[1:2], v[5:6], v[3:4]
	v_div_fixup_f64 v[7:8], v[12:13], v[7:8], 1.0
	v_mul_f64 v[5:6], v[14:15], v[7:8]
	v_mul_f64 v[7:8], v[1:2], v[7:8]
	s_branch .LBB239_36
.LBB239_46:
	s_mov_b64 s[28:29], 0
.LBB239_47:
	s_andn2_b64 vcc, exec, s[28:29]
	s_cbranch_vccnz .LBB239_59
; %bb.48:
	s_cmp_lt_i32 s3, 1
	s_cbranch_scc1 .LBB239_59
; %bb.49:
	s_ashr_i32 s9, s8, 31
	s_cmpk_lg_i32 s2, 0x84
	s_cselect_b64 s[0:1], -1, 0
	s_add_u32 s2, s8, 1
	s_addc_u32 s16, s9, 0
	s_add_u32 s4, s10, s14
	s_addc_u32 s5, s11, s15
	;; [unrolled: 2-line block ×3, first 2 shown]
	s_add_u32 s10, s4, 8
	v_lshlrev_b32_e32 v5, 10, v0
	s_addc_u32 s11, s5, 0
	s_lshl_b64 s[8:9], s[8:9], 4
	s_mov_b32 s14, 0
	s_branch .LBB239_51
.LBB239_50:                             ;   in Loop: Header=BB239_51 Depth=1
	s_add_i32 s14, s14, 1
	s_add_u32 s10, s10, 16
	s_addc_u32 s11, s11, 0
	s_cmp_eq_u32 s14, s38
	s_cbranch_scc1 .LBB239_59
.LBB239_51:                             ; =>This Loop Header: Depth=1
                                        ;     Child Loop BB239_53 Depth 2
	s_cmp_eq_u32 s14, 0
	v_lshl_add_u32 v6, s14, 4, v5
	s_cbranch_scc1 .LBB239_54
; %bb.52:                               ;   in Loop: Header=BB239_51 Depth=1
	ds_read_b128 v[1:4], v6
	v_mov_b32_e32 v7, v5
	s_mov_b64 s[4:5], s[10:11]
	s_mov_b32 s6, s14
.LBB239_53:                             ;   Parent Loop BB239_51 Depth=1
                                        ; =>  This Inner Loop Header: Depth=2
	s_add_u32 s12, s4, -8
	s_addc_u32 s13, s5, -1
	ds_read_b128 v[8:11], v7
	s_load_dwordx4 s[28:31], s[12:13], 0x0
	s_add_i32 s6, s6, -1
	s_add_u32 s4, s4, s8
	s_addc_u32 s5, s5, s9
	v_add_u32_e32 v7, 16, v7
	s_waitcnt lgkmcnt(0)
	v_mul_f64 v[12:13], s[30:31], v[10:11]
	v_mul_f64 v[10:11], s[28:29], v[10:11]
	s_cmp_eq_u32 s6, 0
	v_fma_f64 v[12:13], s[28:29], v[8:9], -v[12:13]
	v_fma_f64 v[8:9], s[30:31], v[8:9], v[10:11]
	v_add_f64 v[1:2], v[1:2], -v[12:13]
	v_add_f64 v[3:4], v[3:4], -v[8:9]
	ds_write_b128 v6, v[1:4]
	s_cbranch_scc0 .LBB239_53
.LBB239_54:                             ;   in Loop: Header=BB239_51 Depth=1
	s_and_b64 vcc, exec, s[0:1]
	s_cbranch_vccz .LBB239_50
; %bb.55:                               ;   in Loop: Header=BB239_51 Depth=1
	s_mul_i32 s4, s16, s14
	s_mul_hi_u32 s5, s2, s14
	s_add_i32 s5, s5, s4
	s_mul_i32 s4, s2, s14
	s_lshl_b64 s[4:5], s[4:5], 4
	s_add_u32 s12, s39, s4
	s_addc_u32 s13, s40, s5
	s_load_dwordx4 s[4:7], s[12:13], 0x0
	s_mov_b64 s[12:13], -1
	s_waitcnt lgkmcnt(0)
	v_mov_b32_e32 v1, s6
	v_mov_b32_e32 v2, s7
	v_cmp_ngt_f64_e64 s[28:29], |s[4:5]|, |v[1:2]|
	s_and_b64 vcc, exec, s[28:29]
	s_cbranch_vccz .LBB239_57
; %bb.56:                               ;   in Loop: Header=BB239_51 Depth=1
	v_mov_b32_e32 v1, s4
	v_mov_b32_e32 v2, s5
	v_div_scale_f64 v[3:4], s[12:13], s[6:7], s[6:7], v[1:2]
	v_rcp_f64_e32 v[7:8], v[3:4]
	v_fma_f64 v[9:10], -v[3:4], v[7:8], 1.0
	v_fma_f64 v[7:8], v[7:8], v[9:10], v[7:8]
	v_mov_b32_e32 v10, s7
	v_mov_b32_e32 v9, s6
	v_div_scale_f64 v[11:12], vcc, s[4:5], v[9:10], s[4:5]
	v_fma_f64 v[13:14], -v[3:4], v[7:8], 1.0
	v_fma_f64 v[7:8], v[7:8], v[13:14], v[7:8]
	v_mul_f64 v[13:14], v[11:12], v[7:8]
	v_fma_f64 v[3:4], -v[3:4], v[13:14], v[11:12]
	v_div_fmas_f64 v[3:4], v[3:4], v[7:8], v[13:14]
	v_div_fixup_f64 v[7:8], v[3:4], s[6:7], v[1:2]
	v_fma_f64 v[9:10], s[4:5], v[7:8], v[9:10]
	v_div_scale_f64 v[1:2], s[12:13], v[9:10], v[9:10], 1.0
	s_mov_b64 s[12:13], 0
	v_rcp_f64_e32 v[3:4], v[1:2]
	v_fma_f64 v[11:12], -v[1:2], v[3:4], 1.0
	v_fma_f64 v[3:4], v[3:4], v[11:12], v[3:4]
	v_div_scale_f64 v[11:12], vcc, 1.0, v[9:10], 1.0
	v_fma_f64 v[13:14], -v[1:2], v[3:4], 1.0
	v_fma_f64 v[3:4], v[3:4], v[13:14], v[3:4]
	v_mul_f64 v[13:14], v[11:12], v[3:4]
	v_fma_f64 v[1:2], -v[1:2], v[13:14], v[11:12]
	v_div_fmas_f64 v[11:12], v[1:2], v[3:4], v[13:14]
	ds_read_b128 v[1:4], v6
	s_waitcnt lgkmcnt(0)
	v_fma_f64 v[13:14], v[7:8], v[1:2], v[3:4]
	v_fma_f64 v[3:4], v[7:8], v[3:4], -v[1:2]
	v_div_fixup_f64 v[9:10], v[11:12], v[9:10], 1.0
	v_mul_f64 v[1:2], v[9:10], v[13:14]
	v_mul_f64 v[3:4], v[9:10], v[3:4]
	ds_write_b128 v6, v[1:4]
.LBB239_57:                             ;   in Loop: Header=BB239_51 Depth=1
	s_andn2_b64 vcc, exec, s[12:13]
	s_cbranch_vccnz .LBB239_50
; %bb.58:                               ;   in Loop: Header=BB239_51 Depth=1
	v_mov_b32_e32 v1, s6
	v_mov_b32_e32 v2, s7
	v_div_scale_f64 v[3:4], s[12:13], s[4:5], s[4:5], v[1:2]
	v_rcp_f64_e32 v[7:8], v[3:4]
	v_fma_f64 v[9:10], -v[3:4], v[7:8], 1.0
	v_fma_f64 v[7:8], v[7:8], v[9:10], v[7:8]
	v_mov_b32_e32 v10, s5
	v_mov_b32_e32 v9, s4
	v_div_scale_f64 v[11:12], vcc, s[6:7], v[9:10], s[6:7]
	v_fma_f64 v[13:14], -v[3:4], v[7:8], 1.0
	v_fma_f64 v[7:8], v[7:8], v[13:14], v[7:8]
	v_mul_f64 v[13:14], v[11:12], v[7:8]
	v_fma_f64 v[3:4], -v[3:4], v[13:14], v[11:12]
	v_div_fmas_f64 v[3:4], v[3:4], v[7:8], v[13:14]
	v_div_fixup_f64 v[7:8], v[3:4], s[4:5], v[1:2]
	v_fma_f64 v[9:10], s[6:7], v[7:8], v[9:10]
	v_div_scale_f64 v[1:2], s[4:5], v[9:10], v[9:10], 1.0
	v_rcp_f64_e32 v[3:4], v[1:2]
	v_fma_f64 v[11:12], -v[1:2], v[3:4], 1.0
	v_fma_f64 v[3:4], v[3:4], v[11:12], v[3:4]
	v_div_scale_f64 v[11:12], vcc, 1.0, v[9:10], 1.0
	v_fma_f64 v[13:14], -v[1:2], v[3:4], 1.0
	v_fma_f64 v[3:4], v[3:4], v[13:14], v[3:4]
	v_mul_f64 v[13:14], v[11:12], v[3:4]
	v_fma_f64 v[1:2], -v[1:2], v[13:14], v[11:12]
	v_div_fmas_f64 v[11:12], v[1:2], v[3:4], v[13:14]
	ds_read_b128 v[1:4], v6
	s_waitcnt lgkmcnt(0)
	v_fma_f64 v[13:14], v[7:8], v[3:4], v[1:2]
	v_fma_f64 v[3:4], -v[7:8], v[1:2], v[3:4]
	v_div_fixup_f64 v[9:10], v[11:12], v[9:10], 1.0
	v_mul_f64 v[1:2], v[9:10], v[13:14]
	v_mul_f64 v[3:4], v[9:10], v[3:4]
	ds_write_b128 v6, v[1:4]
	s_branch .LBB239_50
.LBB239_59:
	v_cmp_gt_i32_e32 vcc, s3, v0
	s_waitcnt lgkmcnt(0)
	; wave barrier
	s_and_saveexec_b64 s[0:1], vcc
	s_cbranch_execz .LBB239_63
; %bb.60:
	s_cmp_lt_i32 s33, 1
	s_cbranch_scc1 .LBB239_63
; %bb.61:
	s_lshl_b64 s[0:1], s[24:25], 4
	s_add_u32 s2, s18, s0
	s_addc_u32 s3, s19, s1
	s_lshl_b64 s[0:1], s[22:23], 4
	s_add_u32 s2, s2, s0
	s_addc_u32 s3, s3, s1
	s_lshl_b64 s[0:1], s[26:27], 4
	s_add_u32 s0, s2, s0
	v_lshlrev_b32_e32 v2, 4, v0
	s_addc_u32 s1, s3, s1
	v_mov_b32_e32 v1, s1
	v_add_co_u32_e32 v0, vcc, s0, v2
	s_lshl_b64 s[0:1], s[20:21], 4
	v_addc_co_u32_e32 v1, vcc, 0, v1, vcc
	v_mov_b32_e32 v3, s1
.LBB239_62:                             ; =>This Inner Loop Header: Depth=1
	ds_read2_b64 v[4:7], v2 offset1:1
	s_add_i32 s33, s33, -1
	v_add_u32_e32 v2, 0x400, v2
	s_cmp_lg_u32 s33, 0
	s_waitcnt lgkmcnt(0)
	global_store_dwordx4 v[0:1], v[4:7], off
	v_add_co_u32_e32 v0, vcc, s0, v0
	v_addc_co_u32_e32 v1, vcc, v1, v3, vcc
	s_cbranch_scc1 .LBB239_62
.LBB239_63:
	s_endpgm
	.section	.rodata,"a",@progbits
	.p2align	6, 0x0
	.amdhsa_kernel _ZL33rocblas_trsm_small_64_left_deviceI19rocblas_complex_numIdES1_PKS1_PS1_Li64EEv13rocblas_fill_18rocblas_operation_17rocblas_diagonal_iiT0_T1_lilT2_lili
		.amdhsa_group_segment_fixed_size 65536
		.amdhsa_private_segment_fixed_size 0
		.amdhsa_kernarg_size 368
		.amdhsa_user_sgpr_count 6
		.amdhsa_user_sgpr_private_segment_buffer 1
		.amdhsa_user_sgpr_dispatch_ptr 0
		.amdhsa_user_sgpr_queue_ptr 0
		.amdhsa_user_sgpr_kernarg_segment_ptr 1
		.amdhsa_user_sgpr_dispatch_id 0
		.amdhsa_user_sgpr_flat_scratch_init 0
		.amdhsa_user_sgpr_private_segment_size 0
		.amdhsa_uses_dynamic_stack 0
		.amdhsa_system_sgpr_private_segment_wavefront_offset 0
		.amdhsa_system_sgpr_workgroup_id_x 1
		.amdhsa_system_sgpr_workgroup_id_y 0
		.amdhsa_system_sgpr_workgroup_id_z 1
		.amdhsa_system_sgpr_workgroup_info 0
		.amdhsa_system_vgpr_workitem_id 0
		.amdhsa_next_free_vgpr 129
		.amdhsa_next_free_sgpr 98
		.amdhsa_reserve_vcc 1
		.amdhsa_reserve_flat_scratch 0
		.amdhsa_float_round_mode_32 0
		.amdhsa_float_round_mode_16_64 0
		.amdhsa_float_denorm_mode_32 3
		.amdhsa_float_denorm_mode_16_64 3
		.amdhsa_dx10_clamp 1
		.amdhsa_ieee_mode 1
		.amdhsa_fp16_overflow 0
		.amdhsa_exception_fp_ieee_invalid_op 0
		.amdhsa_exception_fp_denorm_src 0
		.amdhsa_exception_fp_ieee_div_zero 0
		.amdhsa_exception_fp_ieee_overflow 0
		.amdhsa_exception_fp_ieee_underflow 0
		.amdhsa_exception_fp_ieee_inexact 0
		.amdhsa_exception_int_div_zero 0
	.end_amdhsa_kernel
	.section	.text._ZL33rocblas_trsm_small_64_left_deviceI19rocblas_complex_numIdES1_PKS1_PS1_Li64EEv13rocblas_fill_18rocblas_operation_17rocblas_diagonal_iiT0_T1_lilT2_lili,"axG",@progbits,_ZL33rocblas_trsm_small_64_left_deviceI19rocblas_complex_numIdES1_PKS1_PS1_Li64EEv13rocblas_fill_18rocblas_operation_17rocblas_diagonal_iiT0_T1_lilT2_lili,comdat
.Lfunc_end239:
	.size	_ZL33rocblas_trsm_small_64_left_deviceI19rocblas_complex_numIdES1_PKS1_PS1_Li64EEv13rocblas_fill_18rocblas_operation_17rocblas_diagonal_iiT0_T1_lilT2_lili, .Lfunc_end239-_ZL33rocblas_trsm_small_64_left_deviceI19rocblas_complex_numIdES1_PKS1_PS1_Li64EEv13rocblas_fill_18rocblas_operation_17rocblas_diagonal_iiT0_T1_lilT2_lili
                                        ; -- End function
	.set _ZL33rocblas_trsm_small_64_left_deviceI19rocblas_complex_numIdES1_PKS1_PS1_Li64EEv13rocblas_fill_18rocblas_operation_17rocblas_diagonal_iiT0_T1_lilT2_lili.num_vgpr, 20
	.set _ZL33rocblas_trsm_small_64_left_deviceI19rocblas_complex_numIdES1_PKS1_PS1_Li64EEv13rocblas_fill_18rocblas_operation_17rocblas_diagonal_iiT0_T1_lilT2_lili.num_agpr, 0
	.set _ZL33rocblas_trsm_small_64_left_deviceI19rocblas_complex_numIdES1_PKS1_PS1_Li64EEv13rocblas_fill_18rocblas_operation_17rocblas_diagonal_iiT0_T1_lilT2_lili.numbered_sgpr, 48
	.set _ZL33rocblas_trsm_small_64_left_deviceI19rocblas_complex_numIdES1_PKS1_PS1_Li64EEv13rocblas_fill_18rocblas_operation_17rocblas_diagonal_iiT0_T1_lilT2_lili.num_named_barrier, 0
	.set _ZL33rocblas_trsm_small_64_left_deviceI19rocblas_complex_numIdES1_PKS1_PS1_Li64EEv13rocblas_fill_18rocblas_operation_17rocblas_diagonal_iiT0_T1_lilT2_lili.private_seg_size, 0
	.set _ZL33rocblas_trsm_small_64_left_deviceI19rocblas_complex_numIdES1_PKS1_PS1_Li64EEv13rocblas_fill_18rocblas_operation_17rocblas_diagonal_iiT0_T1_lilT2_lili.uses_vcc, 1
	.set _ZL33rocblas_trsm_small_64_left_deviceI19rocblas_complex_numIdES1_PKS1_PS1_Li64EEv13rocblas_fill_18rocblas_operation_17rocblas_diagonal_iiT0_T1_lilT2_lili.uses_flat_scratch, 0
	.set _ZL33rocblas_trsm_small_64_left_deviceI19rocblas_complex_numIdES1_PKS1_PS1_Li64EEv13rocblas_fill_18rocblas_operation_17rocblas_diagonal_iiT0_T1_lilT2_lili.has_dyn_sized_stack, 0
	.set _ZL33rocblas_trsm_small_64_left_deviceI19rocblas_complex_numIdES1_PKS1_PS1_Li64EEv13rocblas_fill_18rocblas_operation_17rocblas_diagonal_iiT0_T1_lilT2_lili.has_recursion, 0
	.set _ZL33rocblas_trsm_small_64_left_deviceI19rocblas_complex_numIdES1_PKS1_PS1_Li64EEv13rocblas_fill_18rocblas_operation_17rocblas_diagonal_iiT0_T1_lilT2_lili.has_indirect_call, 0
	.section	.AMDGPU.csdata,"",@progbits
; Kernel info:
; codeLenInByte = 3864
; TotalNumSgprs: 52
; NumVgprs: 20
; ScratchSize: 0
; MemoryBound: 0
; FloatMode: 240
; IeeeMode: 1
; LDSByteSize: 65536 bytes/workgroup (compile time only)
; SGPRBlocks: 12
; VGPRBlocks: 32
; NumSGPRsForWavesPerEU: 102
; NumVGPRsForWavesPerEU: 129
; Occupancy: 1
; WaveLimiterHint : 0
; COMPUTE_PGM_RSRC2:SCRATCH_EN: 0
; COMPUTE_PGM_RSRC2:USER_SGPR: 6
; COMPUTE_PGM_RSRC2:TRAP_HANDLER: 0
; COMPUTE_PGM_RSRC2:TGID_X_EN: 1
; COMPUTE_PGM_RSRC2:TGID_Y_EN: 0
; COMPUTE_PGM_RSRC2:TGID_Z_EN: 1
; COMPUTE_PGM_RSRC2:TIDIG_COMP_CNT: 0
	.section	.text._ZL34rocblas_trsm_small_64_right_deviceI19rocblas_complex_numIdES1_PKS1_PS1_Li64EEv13rocblas_fill_18rocblas_operation_17rocblas_diagonal_iiT0_T1_lilT2_lili,"axG",@progbits,_ZL34rocblas_trsm_small_64_right_deviceI19rocblas_complex_numIdES1_PKS1_PS1_Li64EEv13rocblas_fill_18rocblas_operation_17rocblas_diagonal_iiT0_T1_lilT2_lili,comdat
	.globl	_ZL34rocblas_trsm_small_64_right_deviceI19rocblas_complex_numIdES1_PKS1_PS1_Li64EEv13rocblas_fill_18rocblas_operation_17rocblas_diagonal_iiT0_T1_lilT2_lili ; -- Begin function _ZL34rocblas_trsm_small_64_right_deviceI19rocblas_complex_numIdES1_PKS1_PS1_Li64EEv13rocblas_fill_18rocblas_operation_17rocblas_diagonal_iiT0_T1_lilT2_lili
	.p2align	8
	.type	_ZL34rocblas_trsm_small_64_right_deviceI19rocblas_complex_numIdES1_PKS1_PS1_Li64EEv13rocblas_fill_18rocblas_operation_17rocblas_diagonal_iiT0_T1_lilT2_lili,@function
_ZL34rocblas_trsm_small_64_right_deviceI19rocblas_complex_numIdES1_PKS1_PS1_Li64EEv13rocblas_fill_18rocblas_operation_17rocblas_diagonal_iiT0_T1_lilT2_lili: ; @_ZL34rocblas_trsm_small_64_right_deviceI19rocblas_complex_numIdES1_PKS1_PS1_Li64EEv13rocblas_fill_18rocblas_operation_17rocblas_diagonal_iiT0_T1_lilT2_lili
; %bb.0:
	s_load_dwordx4 s[20:23], s[4:5], 0x0
	s_load_dword s33, s[4:5], 0x10
	s_load_dwordx8 s[8:15], s[4:5], 0x18
	s_load_dwordx2 s[26:27], s[4:5], 0x60
	s_load_dwordx2 s[24:25], s[4:5], 0x50
	s_load_dwordx4 s[16:19], s[4:5], 0x40
	s_load_dword s2, s[4:5], 0x58
	s_load_dword s1, s[4:5], 0x70
	s_mov_b32 s0, s6
	s_waitcnt lgkmcnt(0)
	s_mul_i32 s3, s27, s7
	s_mul_hi_u32 s6, s26, s7
	s_add_i32 s27, s6, s3
	s_lshl_b32 s3, s0, 6
	s_add_i32 s1, s1, -1
	s_sub_i32 s3, s23, s3
	s_cmp_ge_u32 s0, s1
	s_cselect_b32 s3, s3, 64
	s_ashr_i32 s1, s0, 31
	s_mul_i32 s26, s26, s7
	s_lshl_b64 s[28:29], s[0:1], 10
	v_cmp_gt_i32_e64 s[0:1], s3, v0
	s_and_saveexec_b64 s[30:31], s[0:1]
	s_cbranch_execz .LBB240_4
; %bb.1:
	s_cmp_lt_i32 s33, 1
	s_cbranch_scc1 .LBB240_4
; %bb.2:
	s_ashr_i32 s3, s2, 31
	s_lshl_b64 s[34:35], s[26:27], 4
	s_add_u32 s6, s34, s28
	s_addc_u32 s23, s35, s29
	s_lshl_b64 s[34:35], s[24:25], 4
	s_add_u32 s6, s6, s34
	s_addc_u32 s23, s23, s35
	s_add_u32 s6, s18, s6
	v_lshlrev_b32_e32 v3, 4, v0
	s_addc_u32 s23, s19, s23
	v_mov_b32_e32 v1, s23
	v_add_co_u32_e32 v2, vcc, s6, v3
	v_addc_co_u32_e32 v4, vcc, 0, v1, vcc
	v_add_co_u32_e32 v1, vcc, 8, v2
	s_lshl_b64 s[34:35], s[2:3], 4
	v_addc_co_u32_e32 v2, vcc, 0, v4, vcc
	v_mov_b32_e32 v4, s35
	s_mov_b32 s3, s33
.LBB240_3:                              ; =>This Inner Loop Header: Depth=1
	global_load_dwordx4 v[5:8], v[1:2], off offset:-8
	s_add_i32 s3, s3, -1
	v_add_co_u32_e32 v1, vcc, s34, v1
	v_addc_co_u32_e32 v2, vcc, v2, v4, vcc
	s_cmp_lg_u32 s3, 0
	s_waitcnt vmcnt(0)
	v_mul_f64 v[9:10], s[10:11], v[7:8]
	v_mul_f64 v[11:12], s[8:9], v[7:8]
	v_fma_f64 v[7:8], s[8:9], v[5:6], -v[9:10]
	v_fma_f64 v[9:10], s[10:11], v[5:6], v[11:12]
	ds_write_b128 v3, v[7:10]
	v_add_u32_e32 v3, 0x400, v3
	s_cbranch_scc1 .LBB240_3
.LBB240_4:
	s_or_b64 exec, exec, s[30:31]
	s_load_dword s8, s[4:5], 0x38
	s_mul_i32 s3, s17, s7
	s_mul_hi_u32 s4, s16, s7
	s_add_i32 s5, s4, s3
	s_mul_i32 s4, s16, s7
	s_lshl_b64 s[10:11], s[4:5], 4
	s_add_u32 s3, s12, s10
	s_addc_u32 s4, s13, s11
	s_lshl_b64 s[14:15], s[14:15], 4
	s_add_u32 s3, s3, s14
	s_addc_u32 s23, s4, s15
	s_min_i32 s40, s33, 64
	s_cmpk_eq_i32 s21, 0x6f
	s_cselect_b64 s[6:7], -1, 0
	s_cmpk_lg_i32 s20, 0x79
	s_cselect_b64 s[4:5], -1, 0
	s_cmpk_eq_i32 s20, 0x79
	s_cselect_b64 s[16:17], -1, 0
	s_and_b64 s[16:17], s[16:17], s[6:7]
	s_andn2_b64 vcc, exec, s[16:17]
	s_mov_b64 s[16:17], -1
	s_waitcnt lgkmcnt(0)
	; wave barrier
	s_cbranch_vccz .LBB240_47
; %bb.5:
	s_cmpk_lg_i32 s20, 0x7a
	s_cselect_b64 s[16:17], -1, 0
	s_xor_b64 s[6:7], s[6:7], -1
	s_add_i32 s41, s40, -1
	s_or_b64 s[6:7], s[16:17], s[6:7]
	s_cmp_gt_i32 s33, 0
	s_mov_b64 s[30:31], -1
	v_lshlrev_b32_e32 v9, 4, v0
	s_cselect_b64 s[16:17], -1, 0
	s_and_b64 vcc, exec, s[6:7]
	s_cbranch_vccz .LBB240_33
; %bb.6:
	s_cmpk_eq_i32 s21, 0x71
	s_cselect_b64 s[20:21], -1, 0
	s_andn2_b64 vcc, exec, s[4:5]
	s_mov_b64 s[4:5], -1
	s_cbranch_vccnz .LBB240_19
; %bb.7:
	s_andn2_b64 vcc, exec, s[16:17]
	s_cbranch_vccnz .LBB240_18
; %bb.8:
	s_ashr_i32 s9, s8, 31
	s_cmpk_lg_i32 s22, 0x84
	s_cselect_b64 s[30:31], -1, 0
	s_add_u32 s42, s8, 1
	s_addc_u32 s43, s9, 0
	s_add_u32 s4, s10, s14
	s_addc_u32 s5, s11, s15
	;; [unrolled: 2-line block ×4, first 2 shown]
	s_lshl_b64 s[36:37], s[8:9], 4
	s_mov_b32 s9, 0
	s_branch .LBB240_11
.LBB240_9:                              ;   in Loop: Header=BB240_11 Depth=1
	ds_write_b128 v10, v[5:8]
.LBB240_10:                             ;   in Loop: Header=BB240_11 Depth=1
	s_add_i32 s9, s9, 1
	s_add_u32 s34, s34, 16
	s_addc_u32 s35, s35, 0
	s_cmp_lg_u32 s9, s40
	s_cbranch_scc0 .LBB240_18
.LBB240_11:                             ; =>This Loop Header: Depth=1
                                        ;     Child Loop BB240_12 Depth 2
	s_lshl_b32 s6, s9, 10
	v_or_b32_e32 v1, s6, v9
	ds_read_b128 v[1:4], v1
	s_cmp_eq_u32 s9, 0
	v_mov_b32_e32 v5, v9
	s_mov_b64 s[4:5], s[34:35]
	s_mov_b32 s7, s9
	s_cbranch_scc1 .LBB240_13
.LBB240_12:                             ;   Parent Loop BB240_11 Depth=1
                                        ; =>  This Inner Loop Header: Depth=2
	s_add_u32 s38, s4, -8
	s_addc_u32 s39, s5, -1
	s_load_dwordx4 s[44:47], s[38:39], 0x0
	ds_read_b128 v[10:13], v5
	v_add_u32_e32 v5, 0x400, v5
	s_waitcnt lgkmcnt(0)
	s_xor_b32 s48, s47, 0x80000000
	s_and_b64 s[38:39], s[20:21], exec
	s_cselect_b32 s39, s48, s47
	s_cselect_b32 s38, s46, s46
	v_mul_f64 v[6:7], s[44:45], v[12:13]
	v_mul_f64 v[12:13], s[38:39], v[12:13]
	s_add_i32 s7, s7, -1
	s_add_u32 s4, s4, s36
	s_addc_u32 s5, s5, s37
	s_cmp_eq_u32 s7, 0
	v_fma_f64 v[6:7], s[38:39], v[10:11], v[6:7]
	v_fma_f64 v[10:11], s[44:45], v[10:11], -v[12:13]
	v_add_f64 v[3:4], v[3:4], -v[6:7]
	v_add_f64 v[1:2], v[1:2], -v[10:11]
	s_cbranch_scc0 .LBB240_12
.LBB240_13:                             ;   in Loop: Header=BB240_11 Depth=1
	v_add_u32_e32 v10, s6, v9
	s_and_b64 vcc, exec, s[30:31]
	s_waitcnt lgkmcnt(0)
	ds_write_b128 v10, v[1:4]
	s_cbranch_vccz .LBB240_10
; %bb.14:                               ;   in Loop: Header=BB240_11 Depth=1
	s_mul_i32 s4, s43, s9
	s_mul_hi_u32 s5, s42, s9
	s_add_i32 s5, s5, s4
	s_mul_i32 s4, s42, s9
	s_lshl_b64 s[4:5], s[4:5], 4
	s_add_u32 s38, s3, s4
	s_addc_u32 s39, s23, s5
	s_load_dwordx4 s[4:7], s[38:39], 0x0
	s_waitcnt lgkmcnt(0)
	v_mov_b32_e32 v5, s6
	v_mov_b32_e32 v6, s7
	v_cmp_ngt_f64_e64 s[44:45], |s[4:5]|, |v[5:6]|
	s_xor_b32 s46, s7, 0x80000000
	s_and_b64 s[38:39], s[20:21], exec
	s_cselect_b32 s7, s46, s7
	s_cselect_b32 s6, s6, s6
	s_mov_b64 s[38:39], -1
                                        ; implicit-def: $vgpr7_vgpr8
	s_and_b64 vcc, exec, s[44:45]
	s_cbranch_vccz .LBB240_16
; %bb.15:                               ;   in Loop: Header=BB240_11 Depth=1
	v_mov_b32_e32 v6, s5
	v_mov_b32_e32 v5, s4
	v_div_scale_f64 v[7:8], s[38:39], s[6:7], s[6:7], v[5:6]
	v_rcp_f64_e32 v[11:12], v[7:8]
	v_fma_f64 v[13:14], -v[7:8], v[11:12], 1.0
	v_fma_f64 v[11:12], v[11:12], v[13:14], v[11:12]
	v_mov_b32_e32 v14, s7
	v_mov_b32_e32 v13, s6
	v_div_scale_f64 v[15:16], vcc, s[4:5], v[13:14], s[4:5]
	v_fma_f64 v[17:18], -v[7:8], v[11:12], 1.0
	v_fma_f64 v[11:12], v[11:12], v[17:18], v[11:12]
	v_mul_f64 v[17:18], v[15:16], v[11:12]
	v_fma_f64 v[7:8], -v[7:8], v[17:18], v[15:16]
	v_div_fmas_f64 v[7:8], v[7:8], v[11:12], v[17:18]
	v_div_fixup_f64 v[5:6], v[7:8], s[6:7], v[5:6]
	v_fma_f64 v[7:8], s[4:5], v[5:6], v[13:14]
	v_div_scale_f64 v[11:12], s[38:39], v[7:8], v[7:8], 1.0
	s_mov_b64 s[38:39], 0
	v_rcp_f64_e32 v[13:14], v[11:12]
	v_fma_f64 v[15:16], -v[11:12], v[13:14], 1.0
	v_fma_f64 v[13:14], v[13:14], v[15:16], v[13:14]
	v_div_scale_f64 v[15:16], vcc, 1.0, v[7:8], 1.0
	v_fma_f64 v[17:18], -v[11:12], v[13:14], 1.0
	v_fma_f64 v[13:14], v[13:14], v[17:18], v[13:14]
	v_mul_f64 v[17:18], v[15:16], v[13:14]
	v_fma_f64 v[11:12], -v[11:12], v[17:18], v[15:16]
	v_div_fmas_f64 v[11:12], v[11:12], v[13:14], v[17:18]
	v_fma_f64 v[13:14], v[1:2], v[5:6], v[3:4]
	v_div_fixup_f64 v[7:8], v[11:12], v[7:8], 1.0
	v_fma_f64 v[11:12], v[3:4], v[5:6], -v[1:2]
	v_mul_f64 v[5:6], v[13:14], v[7:8]
	v_mul_f64 v[7:8], v[11:12], v[7:8]
.LBB240_16:                             ;   in Loop: Header=BB240_11 Depth=1
	s_andn2_b64 vcc, exec, s[38:39]
	s_cbranch_vccnz .LBB240_9
; %bb.17:                               ;   in Loop: Header=BB240_11 Depth=1
	v_mov_b32_e32 v5, s6
	v_mov_b32_e32 v6, s7
	v_div_scale_f64 v[7:8], s[38:39], s[4:5], s[4:5], v[5:6]
	v_rcp_f64_e32 v[11:12], v[7:8]
	v_fma_f64 v[13:14], -v[7:8], v[11:12], 1.0
	v_fma_f64 v[11:12], v[11:12], v[13:14], v[11:12]
	v_mov_b32_e32 v14, s5
	v_mov_b32_e32 v13, s4
	v_div_scale_f64 v[15:16], vcc, s[6:7], v[13:14], s[6:7]
	v_fma_f64 v[17:18], -v[7:8], v[11:12], 1.0
	v_fma_f64 v[11:12], v[11:12], v[17:18], v[11:12]
	v_mul_f64 v[17:18], v[15:16], v[11:12]
	v_fma_f64 v[7:8], -v[7:8], v[17:18], v[15:16]
	v_div_fmas_f64 v[7:8], v[7:8], v[11:12], v[17:18]
	v_div_fixup_f64 v[5:6], v[7:8], s[4:5], v[5:6]
	v_fma_f64 v[7:8], s[6:7], v[5:6], v[13:14]
	v_div_scale_f64 v[11:12], s[4:5], v[7:8], v[7:8], 1.0
	v_rcp_f64_e32 v[13:14], v[11:12]
	v_fma_f64 v[15:16], -v[11:12], v[13:14], 1.0
	v_fma_f64 v[13:14], v[13:14], v[15:16], v[13:14]
	v_div_scale_f64 v[15:16], vcc, 1.0, v[7:8], 1.0
	v_fma_f64 v[17:18], -v[11:12], v[13:14], 1.0
	v_fma_f64 v[13:14], v[13:14], v[17:18], v[13:14]
	v_mul_f64 v[17:18], v[15:16], v[13:14]
	v_fma_f64 v[11:12], -v[11:12], v[17:18], v[15:16]
	v_div_fmas_f64 v[11:12], v[11:12], v[13:14], v[17:18]
	v_fma_f64 v[13:14], v[3:4], v[5:6], v[1:2]
	v_fma_f64 v[1:2], -v[1:2], v[5:6], v[3:4]
	v_div_fixup_f64 v[7:8], v[11:12], v[7:8], 1.0
	v_mul_f64 v[5:6], v[13:14], v[7:8]
	v_mul_f64 v[7:8], v[1:2], v[7:8]
	s_branch .LBB240_9
.LBB240_18:
	s_mov_b64 s[4:5], 0
.LBB240_19:
	s_andn2_b64 vcc, exec, s[4:5]
	s_cbranch_vccnz .LBB240_32
; %bb.20:
	s_andn2_b64 vcc, exec, s[16:17]
	s_cbranch_vccnz .LBB240_32
; %bb.21:
	s_ashr_i32 s9, s8, 31
	s_cmpk_lg_i32 s22, 0x84
	v_lshlrev_b32_e32 v1, 4, v0
	s_cselect_b64 s[30:31], -1, 0
	s_add_u32 s38, s8, 1
	v_lshl_or_b32 v1, s40, 10, v1
	s_addc_u32 s39, s9, 0
	v_add_u32_e32 v10, 0xfffffc00, v1
	s_mov_b32 s35, 0
	s_mov_b32 s34, s41
	s_branch .LBB240_24
.LBB240_22:                             ;   in Loop: Header=BB240_24 Depth=1
	ds_write_b128 v11, v[5:8]
.LBB240_23:                             ;   in Loop: Header=BB240_24 Depth=1
	s_add_i32 s4, s34, -1
	s_cmp_lt_i32 s34, 1
	s_mov_b32 s34, s4
	s_cbranch_scc1 .LBB240_32
.LBB240_24:                             ; =>This Loop Header: Depth=1
                                        ;     Child Loop BB240_26 Depth 2
	s_lshl_b32 s4, s34, 10
	v_or_b32_e32 v1, s4, v9
	ds_read_b128 v[1:4], v1
	s_cmp_le_i32 s41, s34
	s_cbranch_scc1 .LBB240_27
; %bb.25:                               ;   in Loop: Header=BB240_24 Depth=1
	s_lshl_b64 s[6:7], s[34:35], 4
	s_add_u32 s5, s3, s6
	s_addc_u32 s6, s23, s7
	v_mov_b32_e32 v5, v10
	s_mov_b32 s7, s41
.LBB240_26:                             ;   Parent Loop BB240_24 Depth=1
                                        ; =>  This Inner Loop Header: Depth=2
	s_mul_i32 s37, s7, s9
	s_mul_hi_u32 s42, s7, s8
	s_mul_i32 s36, s7, s8
	s_add_i32 s37, s42, s37
	s_lshl_b64 s[36:37], s[36:37], 4
	s_add_u32 s36, s5, s36
	s_addc_u32 s37, s6, s37
	s_load_dwordx4 s[44:47], s[36:37], 0x0
	ds_read_b128 v[11:14], v5
	v_add_u32_e32 v5, 0xfffffc00, v5
	s_waitcnt lgkmcnt(0)
	s_xor_b32 s42, s47, 0x80000000
	s_and_b64 s[36:37], s[20:21], exec
	s_cselect_b32 s37, s42, s47
	s_cselect_b32 s36, s46, s46
	v_mul_f64 v[6:7], s[44:45], v[13:14]
	v_mul_f64 v[13:14], s[36:37], v[13:14]
	s_add_i32 s7, s7, -1
	s_cmp_le_i32 s7, s34
	v_fma_f64 v[6:7], s[36:37], v[11:12], v[6:7]
	v_fma_f64 v[11:12], s[44:45], v[11:12], -v[13:14]
	v_add_f64 v[3:4], v[3:4], -v[6:7]
	v_add_f64 v[1:2], v[1:2], -v[11:12]
	s_cbranch_scc0 .LBB240_26
.LBB240_27:                             ;   in Loop: Header=BB240_24 Depth=1
	v_add_u32_e32 v11, s4, v9
	s_and_b64 vcc, exec, s[30:31]
	s_waitcnt lgkmcnt(0)
	ds_write_b128 v11, v[1:4]
	s_cbranch_vccz .LBB240_23
; %bb.28:                               ;   in Loop: Header=BB240_24 Depth=1
	s_mul_i32 s4, s39, s34
	s_mul_hi_u32 s5, s38, s34
	s_add_i32 s5, s5, s4
	s_mul_i32 s4, s38, s34
	s_lshl_b64 s[4:5], s[4:5], 4
	s_add_u32 s36, s3, s4
	s_addc_u32 s37, s23, s5
	s_load_dwordx4 s[4:7], s[36:37], 0x0
	s_waitcnt lgkmcnt(0)
	v_mov_b32_e32 v5, s6
	v_mov_b32_e32 v6, s7
	v_cmp_ngt_f64_e64 s[42:43], |s[4:5]|, |v[5:6]|
	s_xor_b32 s44, s7, 0x80000000
	s_and_b64 s[36:37], s[20:21], exec
	s_cselect_b32 s7, s44, s7
	s_cselect_b32 s6, s6, s6
	s_mov_b64 s[36:37], -1
                                        ; implicit-def: $vgpr7_vgpr8
	s_and_b64 vcc, exec, s[42:43]
	s_cbranch_vccz .LBB240_30
; %bb.29:                               ;   in Loop: Header=BB240_24 Depth=1
	v_mov_b32_e32 v6, s5
	v_mov_b32_e32 v5, s4
	v_div_scale_f64 v[7:8], s[36:37], s[6:7], s[6:7], v[5:6]
	v_rcp_f64_e32 v[12:13], v[7:8]
	v_fma_f64 v[14:15], -v[7:8], v[12:13], 1.0
	v_fma_f64 v[12:13], v[12:13], v[14:15], v[12:13]
	v_mov_b32_e32 v15, s7
	v_mov_b32_e32 v14, s6
	v_div_scale_f64 v[16:17], vcc, s[4:5], v[14:15], s[4:5]
	v_fma_f64 v[18:19], -v[7:8], v[12:13], 1.0
	v_fma_f64 v[12:13], v[12:13], v[18:19], v[12:13]
	v_mul_f64 v[18:19], v[16:17], v[12:13]
	v_fma_f64 v[7:8], -v[7:8], v[18:19], v[16:17]
	v_div_fmas_f64 v[7:8], v[7:8], v[12:13], v[18:19]
	v_div_fixup_f64 v[5:6], v[7:8], s[6:7], v[5:6]
	v_fma_f64 v[7:8], s[4:5], v[5:6], v[14:15]
	v_div_scale_f64 v[12:13], s[36:37], v[7:8], v[7:8], 1.0
	s_mov_b64 s[36:37], 0
	v_rcp_f64_e32 v[14:15], v[12:13]
	v_fma_f64 v[16:17], -v[12:13], v[14:15], 1.0
	v_fma_f64 v[14:15], v[14:15], v[16:17], v[14:15]
	v_div_scale_f64 v[16:17], vcc, 1.0, v[7:8], 1.0
	v_fma_f64 v[18:19], -v[12:13], v[14:15], 1.0
	v_fma_f64 v[14:15], v[14:15], v[18:19], v[14:15]
	v_mul_f64 v[18:19], v[16:17], v[14:15]
	v_fma_f64 v[12:13], -v[12:13], v[18:19], v[16:17]
	v_div_fmas_f64 v[12:13], v[12:13], v[14:15], v[18:19]
	v_fma_f64 v[14:15], v[1:2], v[5:6], v[3:4]
	v_div_fixup_f64 v[7:8], v[12:13], v[7:8], 1.0
	v_fma_f64 v[12:13], v[3:4], v[5:6], -v[1:2]
	v_mul_f64 v[5:6], v[14:15], v[7:8]
	v_mul_f64 v[7:8], v[12:13], v[7:8]
.LBB240_30:                             ;   in Loop: Header=BB240_24 Depth=1
	s_andn2_b64 vcc, exec, s[36:37]
	s_cbranch_vccnz .LBB240_22
; %bb.31:                               ;   in Loop: Header=BB240_24 Depth=1
	v_mov_b32_e32 v5, s6
	v_mov_b32_e32 v6, s7
	v_div_scale_f64 v[7:8], s[36:37], s[4:5], s[4:5], v[5:6]
	v_rcp_f64_e32 v[12:13], v[7:8]
	v_fma_f64 v[14:15], -v[7:8], v[12:13], 1.0
	v_fma_f64 v[12:13], v[12:13], v[14:15], v[12:13]
	v_mov_b32_e32 v15, s5
	v_mov_b32_e32 v14, s4
	v_div_scale_f64 v[16:17], vcc, s[6:7], v[14:15], s[6:7]
	v_fma_f64 v[18:19], -v[7:8], v[12:13], 1.0
	v_fma_f64 v[12:13], v[12:13], v[18:19], v[12:13]
	v_mul_f64 v[18:19], v[16:17], v[12:13]
	v_fma_f64 v[7:8], -v[7:8], v[18:19], v[16:17]
	v_div_fmas_f64 v[7:8], v[7:8], v[12:13], v[18:19]
	v_div_fixup_f64 v[5:6], v[7:8], s[4:5], v[5:6]
	v_fma_f64 v[7:8], s[6:7], v[5:6], v[14:15]
	v_div_scale_f64 v[12:13], s[4:5], v[7:8], v[7:8], 1.0
	v_rcp_f64_e32 v[14:15], v[12:13]
	v_fma_f64 v[16:17], -v[12:13], v[14:15], 1.0
	v_fma_f64 v[14:15], v[14:15], v[16:17], v[14:15]
	v_div_scale_f64 v[16:17], vcc, 1.0, v[7:8], 1.0
	v_fma_f64 v[18:19], -v[12:13], v[14:15], 1.0
	v_fma_f64 v[14:15], v[14:15], v[18:19], v[14:15]
	v_mul_f64 v[18:19], v[16:17], v[14:15]
	v_fma_f64 v[12:13], -v[12:13], v[18:19], v[16:17]
	v_div_fmas_f64 v[12:13], v[12:13], v[14:15], v[18:19]
	v_fma_f64 v[14:15], v[3:4], v[5:6], v[1:2]
	v_fma_f64 v[1:2], -v[1:2], v[5:6], v[3:4]
	v_div_fixup_f64 v[7:8], v[12:13], v[7:8], 1.0
	v_mul_f64 v[5:6], v[14:15], v[7:8]
	v_mul_f64 v[7:8], v[1:2], v[7:8]
	s_branch .LBB240_22
.LBB240_32:
	s_mov_b64 s[30:31], 0
.LBB240_33:
	s_andn2_b64 vcc, exec, s[30:31]
	s_cbranch_vccnz .LBB240_46
; %bb.34:
	s_andn2_b64 vcc, exec, s[16:17]
	s_cbranch_vccnz .LBB240_46
; %bb.35:
	s_ashr_i32 s9, s8, 31
	s_cmpk_lg_i32 s22, 0x84
	v_lshlrev_b32_e32 v1, 4, v0
	s_cselect_b64 s[16:17], -1, 0
	s_add_u32 s34, s8, 1
	v_lshl_or_b32 v1, s40, 10, v1
	s_addc_u32 s35, s9, 0
	v_add_u32_e32 v10, 0xfffffc00, v1
	s_mov_b32 s21, 0
	s_mov_b32 s36, s41
	s_branch .LBB240_38
.LBB240_36:                             ;   in Loop: Header=BB240_38 Depth=1
	ds_write_b128 v11, v[5:8]
.LBB240_37:                             ;   in Loop: Header=BB240_38 Depth=1
	s_add_i32 s4, s36, -1
	s_cmp_lt_i32 s36, 1
	s_mov_b32 s36, s4
	s_cbranch_scc1 .LBB240_46
.LBB240_38:                             ; =>This Loop Header: Depth=1
                                        ;     Child Loop BB240_40 Depth 2
	s_lshl_b32 s4, s36, 10
	v_or_b32_e32 v1, s4, v9
	ds_read_b128 v[1:4], v1
	s_cmp_le_i32 s41, s36
	s_cbranch_scc1 .LBB240_41
; %bb.39:                               ;   in Loop: Header=BB240_38 Depth=1
	s_mul_i32 s5, s36, s9
	s_mul_hi_u32 s6, s36, s8
	s_add_i32 s7, s6, s5
	s_mul_i32 s6, s36, s8
	s_lshl_b64 s[6:7], s[6:7], 4
	s_add_u32 s5, s3, s6
	s_addc_u32 s6, s23, s7
	v_mov_b32_e32 v5, v10
	s_mov_b32 s20, s41
.LBB240_40:                             ;   Parent Loop BB240_38 Depth=1
                                        ; =>  This Inner Loop Header: Depth=2
	s_lshl_b64 s[30:31], s[20:21], 4
	s_add_u32 s30, s5, s30
	s_addc_u32 s31, s6, s31
	ds_read_b128 v[11:14], v5
	s_load_dwordx4 s[44:47], s[30:31], 0x0
	s_add_i32 s20, s20, -1
	s_cmp_le_i32 s20, s36
	v_add_u32_e32 v5, 0xfffffc00, v5
	s_waitcnt lgkmcnt(0)
	v_mul_f64 v[6:7], s[46:47], v[13:14]
	v_mul_f64 v[13:14], s[44:45], v[13:14]
	v_fma_f64 v[6:7], s[44:45], v[11:12], -v[6:7]
	v_fma_f64 v[11:12], s[46:47], v[11:12], v[13:14]
	v_add_f64 v[1:2], v[1:2], -v[6:7]
	v_add_f64 v[3:4], v[3:4], -v[11:12]
	s_cbranch_scc0 .LBB240_40
.LBB240_41:                             ;   in Loop: Header=BB240_38 Depth=1
	v_add_u32_e32 v11, s4, v9
	s_and_b64 vcc, exec, s[16:17]
	s_waitcnt lgkmcnt(0)
	ds_write_b128 v11, v[1:4]
	s_cbranch_vccz .LBB240_37
; %bb.42:                               ;   in Loop: Header=BB240_38 Depth=1
	s_mul_i32 s4, s35, s36
	s_mul_hi_u32 s5, s34, s36
	s_add_i32 s5, s5, s4
	s_mul_i32 s4, s34, s36
	s_lshl_b64 s[4:5], s[4:5], 4
	s_add_u32 s30, s3, s4
	s_addc_u32 s31, s23, s5
	s_load_dwordx4 s[4:7], s[30:31], 0x0
	s_mov_b64 s[30:31], -1
	s_waitcnt lgkmcnt(0)
	v_mov_b32_e32 v5, s6
	v_mov_b32_e32 v6, s7
	v_cmp_ngt_f64_e64 s[38:39], |s[4:5]|, |v[5:6]|
                                        ; implicit-def: $vgpr7_vgpr8
	s_and_b64 vcc, exec, s[38:39]
	s_cbranch_vccz .LBB240_44
; %bb.43:                               ;   in Loop: Header=BB240_38 Depth=1
	v_mov_b32_e32 v6, s5
	v_mov_b32_e32 v5, s4
	v_div_scale_f64 v[7:8], s[30:31], s[6:7], s[6:7], v[5:6]
	v_rcp_f64_e32 v[12:13], v[7:8]
	v_fma_f64 v[14:15], -v[7:8], v[12:13], 1.0
	v_fma_f64 v[12:13], v[12:13], v[14:15], v[12:13]
	v_mov_b32_e32 v15, s7
	v_mov_b32_e32 v14, s6
	v_div_scale_f64 v[16:17], vcc, s[4:5], v[14:15], s[4:5]
	v_fma_f64 v[18:19], -v[7:8], v[12:13], 1.0
	v_fma_f64 v[12:13], v[12:13], v[18:19], v[12:13]
	v_mul_f64 v[18:19], v[16:17], v[12:13]
	v_fma_f64 v[7:8], -v[7:8], v[18:19], v[16:17]
	v_div_fmas_f64 v[7:8], v[7:8], v[12:13], v[18:19]
	v_div_fixup_f64 v[5:6], v[7:8], s[6:7], v[5:6]
	v_fma_f64 v[7:8], s[4:5], v[5:6], v[14:15]
	v_div_scale_f64 v[12:13], s[30:31], v[7:8], v[7:8], 1.0
	s_mov_b64 s[30:31], 0
	v_rcp_f64_e32 v[14:15], v[12:13]
	v_fma_f64 v[16:17], -v[12:13], v[14:15], 1.0
	v_fma_f64 v[14:15], v[14:15], v[16:17], v[14:15]
	v_div_scale_f64 v[16:17], vcc, 1.0, v[7:8], 1.0
	v_fma_f64 v[18:19], -v[12:13], v[14:15], 1.0
	v_fma_f64 v[14:15], v[14:15], v[18:19], v[14:15]
	v_mul_f64 v[18:19], v[16:17], v[14:15]
	v_fma_f64 v[12:13], -v[12:13], v[18:19], v[16:17]
	v_div_fmas_f64 v[12:13], v[12:13], v[14:15], v[18:19]
	v_fma_f64 v[14:15], v[1:2], v[5:6], v[3:4]
	v_div_fixup_f64 v[7:8], v[12:13], v[7:8], 1.0
	v_fma_f64 v[12:13], v[3:4], v[5:6], -v[1:2]
	v_mul_f64 v[5:6], v[14:15], v[7:8]
	v_mul_f64 v[7:8], v[12:13], v[7:8]
.LBB240_44:                             ;   in Loop: Header=BB240_38 Depth=1
	s_andn2_b64 vcc, exec, s[30:31]
	s_cbranch_vccnz .LBB240_36
; %bb.45:                               ;   in Loop: Header=BB240_38 Depth=1
	v_mov_b32_e32 v5, s6
	v_mov_b32_e32 v6, s7
	v_div_scale_f64 v[7:8], s[30:31], s[4:5], s[4:5], v[5:6]
	v_rcp_f64_e32 v[12:13], v[7:8]
	v_fma_f64 v[14:15], -v[7:8], v[12:13], 1.0
	v_fma_f64 v[12:13], v[12:13], v[14:15], v[12:13]
	v_mov_b32_e32 v15, s5
	v_mov_b32_e32 v14, s4
	v_div_scale_f64 v[16:17], vcc, s[6:7], v[14:15], s[6:7]
	v_fma_f64 v[18:19], -v[7:8], v[12:13], 1.0
	v_fma_f64 v[12:13], v[12:13], v[18:19], v[12:13]
	v_mul_f64 v[18:19], v[16:17], v[12:13]
	v_fma_f64 v[7:8], -v[7:8], v[18:19], v[16:17]
	v_div_fmas_f64 v[7:8], v[7:8], v[12:13], v[18:19]
	v_div_fixup_f64 v[5:6], v[7:8], s[4:5], v[5:6]
	v_fma_f64 v[7:8], s[6:7], v[5:6], v[14:15]
	v_div_scale_f64 v[12:13], s[4:5], v[7:8], v[7:8], 1.0
	v_rcp_f64_e32 v[14:15], v[12:13]
	v_fma_f64 v[16:17], -v[12:13], v[14:15], 1.0
	v_fma_f64 v[14:15], v[14:15], v[16:17], v[14:15]
	v_div_scale_f64 v[16:17], vcc, 1.0, v[7:8], 1.0
	v_fma_f64 v[18:19], -v[12:13], v[14:15], 1.0
	v_fma_f64 v[14:15], v[14:15], v[18:19], v[14:15]
	v_mul_f64 v[18:19], v[16:17], v[14:15]
	v_fma_f64 v[12:13], -v[12:13], v[18:19], v[16:17]
	v_div_fmas_f64 v[12:13], v[12:13], v[14:15], v[18:19]
	v_fma_f64 v[14:15], v[3:4], v[5:6], v[1:2]
	v_fma_f64 v[1:2], -v[1:2], v[5:6], v[3:4]
	v_div_fixup_f64 v[7:8], v[12:13], v[7:8], 1.0
	v_mul_f64 v[5:6], v[14:15], v[7:8]
	v_mul_f64 v[7:8], v[1:2], v[7:8]
	s_branch .LBB240_36
.LBB240_46:
	s_mov_b64 s[16:17], 0
.LBB240_47:
	s_andn2_b64 vcc, exec, s[16:17]
	s_cbranch_vccnz .LBB240_59
; %bb.48:
	s_cmp_lt_i32 s33, 1
	s_cbranch_scc1 .LBB240_59
; %bb.49:
	s_ashr_i32 s9, s8, 31
	s_cmpk_lg_i32 s22, 0x84
	s_cselect_b64 s[16:17], -1, 0
	s_add_u32 s20, s8, 1
	s_addc_u32 s21, s9, 0
	s_add_u32 s4, s10, s14
	s_addc_u32 s5, s11, s15
	;; [unrolled: 2-line block ×3, first 2 shown]
	s_add_u32 s10, s4, 8
	v_lshlrev_b32_e32 v9, 4, v0
	s_addc_u32 s11, s5, 0
	s_lshl_b64 s[8:9], s[8:9], 4
	s_mov_b32 s14, 0
	s_branch .LBB240_52
.LBB240_50:                             ;   in Loop: Header=BB240_52 Depth=1
	ds_write_b128 v10, v[5:8]
.LBB240_51:                             ;   in Loop: Header=BB240_52 Depth=1
	s_add_i32 s14, s14, 1
	s_add_u32 s10, s10, s8
	s_addc_u32 s11, s11, s9
	s_cmp_eq_u32 s14, s40
	s_cbranch_scc1 .LBB240_59
.LBB240_52:                             ; =>This Loop Header: Depth=1
                                        ;     Child Loop BB240_53 Depth 2
	s_lshl_b32 s6, s14, 10
	v_or_b32_e32 v1, s6, v9
	ds_read_b128 v[1:4], v1
	s_cmp_eq_u32 s14, 0
	v_mov_b32_e32 v5, v9
	s_mov_b64 s[4:5], s[10:11]
	s_mov_b32 s7, s14
	s_cbranch_scc1 .LBB240_54
.LBB240_53:                             ;   Parent Loop BB240_52 Depth=1
                                        ; =>  This Inner Loop Header: Depth=2
	s_add_u32 s12, s4, -8
	s_addc_u32 s13, s5, -1
	ds_read_b128 v[10:13], v5
	s_load_dwordx4 s[36:39], s[12:13], 0x0
	s_add_i32 s7, s7, -1
	s_add_u32 s4, s4, 16
	s_addc_u32 s5, s5, 0
	s_cmp_eq_u32 s7, 0
	s_waitcnt lgkmcnt(0)
	v_mul_f64 v[6:7], s[38:39], v[12:13]
	v_mul_f64 v[12:13], s[36:37], v[12:13]
	v_add_u32_e32 v5, 0x400, v5
	v_fma_f64 v[6:7], s[36:37], v[10:11], -v[6:7]
	v_fma_f64 v[10:11], s[38:39], v[10:11], v[12:13]
	v_add_f64 v[1:2], v[1:2], -v[6:7]
	v_add_f64 v[3:4], v[3:4], -v[10:11]
	s_cbranch_scc0 .LBB240_53
.LBB240_54:                             ;   in Loop: Header=BB240_52 Depth=1
	v_add_u32_e32 v10, s6, v9
	s_and_b64 vcc, exec, s[16:17]
	s_waitcnt lgkmcnt(0)
	ds_write_b128 v10, v[1:4]
	s_cbranch_vccz .LBB240_51
; %bb.55:                               ;   in Loop: Header=BB240_52 Depth=1
	s_mul_i32 s4, s21, s14
	s_mul_hi_u32 s5, s20, s14
	s_add_i32 s5, s5, s4
	s_mul_i32 s4, s20, s14
	s_lshl_b64 s[4:5], s[4:5], 4
	s_add_u32 s12, s3, s4
	s_addc_u32 s13, s23, s5
	s_load_dwordx4 s[4:7], s[12:13], 0x0
	s_mov_b64 s[12:13], -1
	s_waitcnt lgkmcnt(0)
	v_mov_b32_e32 v5, s6
	v_mov_b32_e32 v6, s7
	v_cmp_ngt_f64_e64 s[30:31], |s[4:5]|, |v[5:6]|
                                        ; implicit-def: $vgpr7_vgpr8
	s_and_b64 vcc, exec, s[30:31]
	s_cbranch_vccz .LBB240_57
; %bb.56:                               ;   in Loop: Header=BB240_52 Depth=1
	v_mov_b32_e32 v6, s5
	v_mov_b32_e32 v5, s4
	v_div_scale_f64 v[7:8], s[12:13], s[6:7], s[6:7], v[5:6]
	v_rcp_f64_e32 v[11:12], v[7:8]
	v_fma_f64 v[13:14], -v[7:8], v[11:12], 1.0
	v_fma_f64 v[11:12], v[11:12], v[13:14], v[11:12]
	v_mov_b32_e32 v14, s7
	v_mov_b32_e32 v13, s6
	v_div_scale_f64 v[15:16], vcc, s[4:5], v[13:14], s[4:5]
	v_fma_f64 v[17:18], -v[7:8], v[11:12], 1.0
	v_fma_f64 v[11:12], v[11:12], v[17:18], v[11:12]
	v_mul_f64 v[17:18], v[15:16], v[11:12]
	v_fma_f64 v[7:8], -v[7:8], v[17:18], v[15:16]
	v_div_fmas_f64 v[7:8], v[7:8], v[11:12], v[17:18]
	v_div_fixup_f64 v[5:6], v[7:8], s[6:7], v[5:6]
	v_fma_f64 v[7:8], s[4:5], v[5:6], v[13:14]
	v_div_scale_f64 v[11:12], s[12:13], v[7:8], v[7:8], 1.0
	s_mov_b64 s[12:13], 0
	v_rcp_f64_e32 v[13:14], v[11:12]
	v_fma_f64 v[15:16], -v[11:12], v[13:14], 1.0
	v_fma_f64 v[13:14], v[13:14], v[15:16], v[13:14]
	v_div_scale_f64 v[15:16], vcc, 1.0, v[7:8], 1.0
	v_fma_f64 v[17:18], -v[11:12], v[13:14], 1.0
	v_fma_f64 v[13:14], v[13:14], v[17:18], v[13:14]
	v_mul_f64 v[17:18], v[15:16], v[13:14]
	v_fma_f64 v[11:12], -v[11:12], v[17:18], v[15:16]
	v_div_fmas_f64 v[11:12], v[11:12], v[13:14], v[17:18]
	v_fma_f64 v[13:14], v[1:2], v[5:6], v[3:4]
	v_div_fixup_f64 v[7:8], v[11:12], v[7:8], 1.0
	v_fma_f64 v[11:12], v[3:4], v[5:6], -v[1:2]
	v_mul_f64 v[5:6], v[13:14], v[7:8]
	v_mul_f64 v[7:8], v[11:12], v[7:8]
.LBB240_57:                             ;   in Loop: Header=BB240_52 Depth=1
	s_andn2_b64 vcc, exec, s[12:13]
	s_cbranch_vccnz .LBB240_50
; %bb.58:                               ;   in Loop: Header=BB240_52 Depth=1
	v_mov_b32_e32 v5, s6
	v_mov_b32_e32 v6, s7
	v_div_scale_f64 v[7:8], s[12:13], s[4:5], s[4:5], v[5:6]
	v_rcp_f64_e32 v[11:12], v[7:8]
	v_fma_f64 v[13:14], -v[7:8], v[11:12], 1.0
	v_fma_f64 v[11:12], v[11:12], v[13:14], v[11:12]
	v_mov_b32_e32 v14, s5
	v_mov_b32_e32 v13, s4
	v_div_scale_f64 v[15:16], vcc, s[6:7], v[13:14], s[6:7]
	v_fma_f64 v[17:18], -v[7:8], v[11:12], 1.0
	v_fma_f64 v[11:12], v[11:12], v[17:18], v[11:12]
	v_mul_f64 v[17:18], v[15:16], v[11:12]
	v_fma_f64 v[7:8], -v[7:8], v[17:18], v[15:16]
	v_div_fmas_f64 v[7:8], v[7:8], v[11:12], v[17:18]
	v_div_fixup_f64 v[5:6], v[7:8], s[4:5], v[5:6]
	v_fma_f64 v[7:8], s[6:7], v[5:6], v[13:14]
	v_div_scale_f64 v[11:12], s[4:5], v[7:8], v[7:8], 1.0
	v_rcp_f64_e32 v[13:14], v[11:12]
	v_fma_f64 v[15:16], -v[11:12], v[13:14], 1.0
	v_fma_f64 v[13:14], v[13:14], v[15:16], v[13:14]
	v_div_scale_f64 v[15:16], vcc, 1.0, v[7:8], 1.0
	v_fma_f64 v[17:18], -v[11:12], v[13:14], 1.0
	v_fma_f64 v[13:14], v[13:14], v[17:18], v[13:14]
	v_mul_f64 v[17:18], v[15:16], v[13:14]
	v_fma_f64 v[11:12], -v[11:12], v[17:18], v[15:16]
	v_div_fmas_f64 v[11:12], v[11:12], v[13:14], v[17:18]
	v_fma_f64 v[13:14], v[3:4], v[5:6], v[1:2]
	v_fma_f64 v[1:2], -v[1:2], v[5:6], v[3:4]
	v_div_fixup_f64 v[7:8], v[11:12], v[7:8], 1.0
	v_mul_f64 v[5:6], v[13:14], v[7:8]
	v_mul_f64 v[7:8], v[1:2], v[7:8]
	s_branch .LBB240_50
.LBB240_59:
	s_and_saveexec_b64 s[4:5], s[0:1]
	s_cbranch_execz .LBB240_63
; %bb.60:
	s_cmp_lt_i32 s33, 1
	s_cbranch_scc1 .LBB240_63
; %bb.61:
	s_lshl_b64 s[0:1], s[26:27], 4
	s_add_u32 s3, s18, s0
	s_addc_u32 s4, s19, s1
	s_lshl_b64 s[0:1], s[24:25], 4
	s_add_u32 s0, s3, s0
	s_addc_u32 s1, s4, s1
	s_add_u32 s0, s0, s28
	v_lshlrev_b32_e32 v2, 4, v0
	s_addc_u32 s1, s1, s29
	s_ashr_i32 s3, s2, 31
	v_mov_b32_e32 v1, s1
	v_add_co_u32_e32 v0, vcc, s0, v2
	s_lshl_b64 s[0:1], s[2:3], 4
	v_addc_co_u32_e32 v1, vcc, 0, v1, vcc
	v_mov_b32_e32 v3, s1
.LBB240_62:                             ; =>This Inner Loop Header: Depth=1
	ds_read2_b64 v[4:7], v2 offset1:1
	s_add_i32 s33, s33, -1
	v_add_u32_e32 v2, 0x400, v2
	s_cmp_lg_u32 s33, 0
	s_waitcnt lgkmcnt(0)
	global_store_dwordx4 v[0:1], v[4:7], off
	v_add_co_u32_e32 v0, vcc, s0, v0
	v_addc_co_u32_e32 v1, vcc, v1, v3, vcc
	s_cbranch_scc1 .LBB240_62
.LBB240_63:
	s_endpgm
	.section	.rodata,"a",@progbits
	.p2align	6, 0x0
	.amdhsa_kernel _ZL34rocblas_trsm_small_64_right_deviceI19rocblas_complex_numIdES1_PKS1_PS1_Li64EEv13rocblas_fill_18rocblas_operation_17rocblas_diagonal_iiT0_T1_lilT2_lili
		.amdhsa_group_segment_fixed_size 65536
		.amdhsa_private_segment_fixed_size 0
		.amdhsa_kernarg_size 368
		.amdhsa_user_sgpr_count 6
		.amdhsa_user_sgpr_private_segment_buffer 1
		.amdhsa_user_sgpr_dispatch_ptr 0
		.amdhsa_user_sgpr_queue_ptr 0
		.amdhsa_user_sgpr_kernarg_segment_ptr 1
		.amdhsa_user_sgpr_dispatch_id 0
		.amdhsa_user_sgpr_flat_scratch_init 0
		.amdhsa_user_sgpr_private_segment_size 0
		.amdhsa_uses_dynamic_stack 0
		.amdhsa_system_sgpr_private_segment_wavefront_offset 0
		.amdhsa_system_sgpr_workgroup_id_x 1
		.amdhsa_system_sgpr_workgroup_id_y 0
		.amdhsa_system_sgpr_workgroup_id_z 1
		.amdhsa_system_sgpr_workgroup_info 0
		.amdhsa_system_vgpr_workitem_id 0
		.amdhsa_next_free_vgpr 129
		.amdhsa_next_free_sgpr 98
		.amdhsa_reserve_vcc 1
		.amdhsa_reserve_flat_scratch 0
		.amdhsa_float_round_mode_32 0
		.amdhsa_float_round_mode_16_64 0
		.amdhsa_float_denorm_mode_32 3
		.amdhsa_float_denorm_mode_16_64 3
		.amdhsa_dx10_clamp 1
		.amdhsa_ieee_mode 1
		.amdhsa_fp16_overflow 0
		.amdhsa_exception_fp_ieee_invalid_op 0
		.amdhsa_exception_fp_denorm_src 0
		.amdhsa_exception_fp_ieee_div_zero 0
		.amdhsa_exception_fp_ieee_overflow 0
		.amdhsa_exception_fp_ieee_underflow 0
		.amdhsa_exception_fp_ieee_inexact 0
		.amdhsa_exception_int_div_zero 0
	.end_amdhsa_kernel
	.section	.text._ZL34rocblas_trsm_small_64_right_deviceI19rocblas_complex_numIdES1_PKS1_PS1_Li64EEv13rocblas_fill_18rocblas_operation_17rocblas_diagonal_iiT0_T1_lilT2_lili,"axG",@progbits,_ZL34rocblas_trsm_small_64_right_deviceI19rocblas_complex_numIdES1_PKS1_PS1_Li64EEv13rocblas_fill_18rocblas_operation_17rocblas_diagonal_iiT0_T1_lilT2_lili,comdat
.Lfunc_end240:
	.size	_ZL34rocblas_trsm_small_64_right_deviceI19rocblas_complex_numIdES1_PKS1_PS1_Li64EEv13rocblas_fill_18rocblas_operation_17rocblas_diagonal_iiT0_T1_lilT2_lili, .Lfunc_end240-_ZL34rocblas_trsm_small_64_right_deviceI19rocblas_complex_numIdES1_PKS1_PS1_Li64EEv13rocblas_fill_18rocblas_operation_17rocblas_diagonal_iiT0_T1_lilT2_lili
                                        ; -- End function
	.set _ZL34rocblas_trsm_small_64_right_deviceI19rocblas_complex_numIdES1_PKS1_PS1_Li64EEv13rocblas_fill_18rocblas_operation_17rocblas_diagonal_iiT0_T1_lilT2_lili.num_vgpr, 20
	.set _ZL34rocblas_trsm_small_64_right_deviceI19rocblas_complex_numIdES1_PKS1_PS1_Li64EEv13rocblas_fill_18rocblas_operation_17rocblas_diagonal_iiT0_T1_lilT2_lili.num_agpr, 0
	.set _ZL34rocblas_trsm_small_64_right_deviceI19rocblas_complex_numIdES1_PKS1_PS1_Li64EEv13rocblas_fill_18rocblas_operation_17rocblas_diagonal_iiT0_T1_lilT2_lili.numbered_sgpr, 49
	.set _ZL34rocblas_trsm_small_64_right_deviceI19rocblas_complex_numIdES1_PKS1_PS1_Li64EEv13rocblas_fill_18rocblas_operation_17rocblas_diagonal_iiT0_T1_lilT2_lili.num_named_barrier, 0
	.set _ZL34rocblas_trsm_small_64_right_deviceI19rocblas_complex_numIdES1_PKS1_PS1_Li64EEv13rocblas_fill_18rocblas_operation_17rocblas_diagonal_iiT0_T1_lilT2_lili.private_seg_size, 0
	.set _ZL34rocblas_trsm_small_64_right_deviceI19rocblas_complex_numIdES1_PKS1_PS1_Li64EEv13rocblas_fill_18rocblas_operation_17rocblas_diagonal_iiT0_T1_lilT2_lili.uses_vcc, 1
	.set _ZL34rocblas_trsm_small_64_right_deviceI19rocblas_complex_numIdES1_PKS1_PS1_Li64EEv13rocblas_fill_18rocblas_operation_17rocblas_diagonal_iiT0_T1_lilT2_lili.uses_flat_scratch, 0
	.set _ZL34rocblas_trsm_small_64_right_deviceI19rocblas_complex_numIdES1_PKS1_PS1_Li64EEv13rocblas_fill_18rocblas_operation_17rocblas_diagonal_iiT0_T1_lilT2_lili.has_dyn_sized_stack, 0
	.set _ZL34rocblas_trsm_small_64_right_deviceI19rocblas_complex_numIdES1_PKS1_PS1_Li64EEv13rocblas_fill_18rocblas_operation_17rocblas_diagonal_iiT0_T1_lilT2_lili.has_recursion, 0
	.set _ZL34rocblas_trsm_small_64_right_deviceI19rocblas_complex_numIdES1_PKS1_PS1_Li64EEv13rocblas_fill_18rocblas_operation_17rocblas_diagonal_iiT0_T1_lilT2_lili.has_indirect_call, 0
	.section	.AMDGPU.csdata,"",@progbits
; Kernel info:
; codeLenInByte = 3880
; TotalNumSgprs: 53
; NumVgprs: 20
; ScratchSize: 0
; MemoryBound: 0
; FloatMode: 240
; IeeeMode: 1
; LDSByteSize: 65536 bytes/workgroup (compile time only)
; SGPRBlocks: 12
; VGPRBlocks: 32
; NumSGPRsForWavesPerEU: 102
; NumVGPRsForWavesPerEU: 129
; Occupancy: 1
; WaveLimiterHint : 0
; COMPUTE_PGM_RSRC2:SCRATCH_EN: 0
; COMPUTE_PGM_RSRC2:USER_SGPR: 6
; COMPUTE_PGM_RSRC2:TRAP_HANDLER: 0
; COMPUTE_PGM_RSRC2:TGID_X_EN: 1
; COMPUTE_PGM_RSRC2:TGID_Y_EN: 0
; COMPUTE_PGM_RSRC2:TGID_Z_EN: 1
; COMPUTE_PGM_RSRC2:TIDIG_COMP_CNT: 0
	.section	.text._ZL39rocblas_trsm_block_forward_substitutionI19rocblas_complex_numIdES1_PKS1_PS1_Lb0ELb0ELb0EEv18rocblas_operation_llT0_T1_lllT2_lllib,"axG",@progbits,_ZL39rocblas_trsm_block_forward_substitutionI19rocblas_complex_numIdES1_PKS1_PS1_Lb0ELb0ELb0EEv18rocblas_operation_llT0_T1_lllT2_lllib,comdat
	.globl	_ZL39rocblas_trsm_block_forward_substitutionI19rocblas_complex_numIdES1_PKS1_PS1_Lb0ELb0ELb0EEv18rocblas_operation_llT0_T1_lllT2_lllib ; -- Begin function _ZL39rocblas_trsm_block_forward_substitutionI19rocblas_complex_numIdES1_PKS1_PS1_Lb0ELb0ELb0EEv18rocblas_operation_llT0_T1_lllT2_lllib
	.p2align	8
	.type	_ZL39rocblas_trsm_block_forward_substitutionI19rocblas_complex_numIdES1_PKS1_PS1_Lb0ELb0ELb0EEv18rocblas_operation_llT0_T1_lllT2_lllib,@function
_ZL39rocblas_trsm_block_forward_substitutionI19rocblas_complex_numIdES1_PKS1_PS1_Lb0ELb0ELb0EEv18rocblas_operation_llT0_T1_lllT2_lllib: ; @_ZL39rocblas_trsm_block_forward_substitutionI19rocblas_complex_numIdES1_PKS1_PS1_Lb0ELb0ELb0EEv18rocblas_operation_llT0_T1_lllT2_lllib
; %bb.0:
	s_load_dword s0, s[4:5], 0x6c
	s_load_dwordx16 s[12:27], s[4:5], 0x8
	s_load_dword s6, s[4:5], 0x7c
	v_mov_b32_e32 v2, v1
	s_waitcnt lgkmcnt(0)
	s_bitcmp1_b32 s0, 0
	s_cselect_b64 s[0:1], -1, 0
	s_xor_b64 s[2:3], s[0:1], -1
	s_mul_i32 s0, s27, s8
	s_mul_hi_u32 s1, s26, s8
	s_add_i32 s1, s1, s0
	s_mul_i32 s0, s26, s8
	s_lshl_b64 s[0:1], s[0:1], 4
	s_add_u32 s9, s20, s0
	s_addc_u32 s11, s21, s1
	s_lshl_b64 s[0:1], s[22:23], 4
	s_add_u32 s10, s9, s0
	s_addc_u32 s11, s11, s1
	s_add_u32 s20, s4, 0x70
	s_addc_u32 s21, s5, 0
	s_lshr_b32 s6, s6, 16
	s_and_b64 vcc, exec, s[2:3]
	s_cbranch_vccnz .LBB241_15
; %bb.1:
	v_cmp_lt_i64_e64 s[0:1], s[12:13], 1
	s_lshl_b32 s9, s6, 4
	s_add_i32 s22, s9, 0
	s_and_b64 vcc, exec, s[0:1]
	s_cbranch_vccnz .LBB241_14
; %bb.2:
	v_mad_u64_u32 v[3:4], s[0:1], s24, v0, 0
	v_mov_b32_e32 v1, 0
	v_cmp_le_u64_e32 vcc, s[12:13], v[0:1]
	v_mov_b32_e32 v1, v4
	v_mad_u64_u32 v[4:5], s[0:1], s25, v0, v[1:2]
	v_lshlrev_b32_e32 v6, 4, v0
	v_mov_b32_e32 v7, s11
	v_add_co_u32_e64 v1, s[0:1], s10, v6
	v_lshlrev_b64 v[3:4], 4, v[3:4]
	v_addc_co_u32_e64 v14, s[0:1], 0, v7, s[0:1]
	v_add_co_u32_e64 v7, s[0:1], v1, v3
	v_addc_co_u32_e64 v8, s[0:1], v14, v4, s[0:1]
	v_add_u32_e32 v13, s22, v6
	s_xor_b64 s[0:1], vcc, -1
	s_mov_b32 s9, s6
	v_mov_b32_e32 v15, v2
	s_branch .LBB241_6
.LBB241_3:                              ;   in Loop: Header=BB241_6 Depth=1
	s_or_b64 exec, exec, s[28:29]
	s_load_dword s23, s[20:21], 0xc
	s_waitcnt lgkmcnt(0)
	s_and_b32 s23, s23, 0xffff
	v_mul_u32_u24_e32 v3, s23, v0
	v_lshl_add_u32 v3, v3, 4, v13
	ds_write2_b64 v3, v[9:10], v[11:12] offset1:1
.LBB241_4:                              ;   in Loop: Header=BB241_6 Depth=1
	s_or_b64 exec, exec, s[26:27]
.LBB241_5:                              ;   in Loop: Header=BB241_6 Depth=1
	s_or_b64 exec, exec, s[10:11]
	s_ashr_i32 s10, s9, 31
	v_mov_b32_e32 v3, s9
	v_mov_b32_e32 v4, s10
	v_cmp_le_i64_e32 vcc, s[12:13], v[3:4]
	v_add_u32_e32 v15, s6, v15
	s_add_i32 s9, s9, s6
	s_cbranch_vccnz .LBB241_14
.LBB241_6:                              ; =>This Inner Loop Header: Depth=1
	v_cmp_gt_i32_e32 vcc, v0, v15
	s_and_b64 s[10:11], s[0:1], vcc
	s_and_saveexec_b64 s[26:27], s[10:11]
	s_xor_b64 s[10:11], exec, s[26:27]
	s_cbranch_execz .LBB241_8
; %bb.7:                                ;   in Loop: Header=BB241_6 Depth=1
	v_ashrrev_i32_e32 v5, 31, v15
	v_mul_lo_u32 v6, s25, v15
	v_mad_u64_u32 v[3:4], s[26:27], s24, v15, 0
	v_mul_lo_u32 v5, s24, v5
	s_load_dword s23, s[20:21], 0xc
	v_add3_u32 v4, v4, v5, v6
	v_lshlrev_b64 v[3:4], 4, v[3:4]
	s_waitcnt lgkmcnt(0)
	s_and_b32 s23, s23, 0xffff
	v_add_co_u32_e32 v3, vcc, v1, v3
	v_addc_co_u32_e32 v4, vcc, v14, v4, vcc
	global_load_dwordx4 v[3:6], v[3:4], off
	v_mul_lo_u32 v9, v15, s23
	v_lshl_add_u32 v9, v9, 4, v13
	s_waitcnt vmcnt(0)
	ds_write2_b64 v9, v[3:4], v[5:6] offset1:1
.LBB241_8:                              ;   in Loop: Header=BB241_6 Depth=1
	s_andn2_saveexec_b64 s[10:11], s[10:11]
	s_cbranch_execz .LBB241_5
; %bb.9:                                ;   in Loop: Header=BB241_6 Depth=1
	v_cmp_eq_u32_e32 vcc, v0, v15
	s_and_b64 s[28:29], s[0:1], vcc
	s_and_saveexec_b64 s[26:27], s[28:29]
	s_cbranch_execz .LBB241_4
; %bb.10:                               ;   in Loop: Header=BB241_6 Depth=1
	global_load_dwordx4 v[3:6], v[7:8], off
                                        ; implicit-def: $vgpr9_vgpr10
	s_waitcnt vmcnt(0)
	v_cmp_ngt_f64_e64 s[28:29], |v[3:4]|, |v[5:6]|
	s_and_saveexec_b64 s[30:31], s[28:29]
	s_xor_b64 s[28:29], exec, s[30:31]
                                        ; implicit-def: $vgpr11_vgpr12
	s_cbranch_execz .LBB241_12
; %bb.11:                               ;   in Loop: Header=BB241_6 Depth=1
	v_div_scale_f64 v[9:10], s[30:31], v[5:6], v[5:6], v[3:4]
	v_rcp_f64_e32 v[11:12], v[9:10]
	v_fma_f64 v[16:17], -v[9:10], v[11:12], 1.0
	v_fma_f64 v[11:12], v[11:12], v[16:17], v[11:12]
	v_div_scale_f64 v[16:17], vcc, v[3:4], v[5:6], v[3:4]
	v_fma_f64 v[18:19], -v[9:10], v[11:12], 1.0
	v_fma_f64 v[11:12], v[11:12], v[18:19], v[11:12]
	v_mul_f64 v[18:19], v[16:17], v[11:12]
	v_fma_f64 v[9:10], -v[9:10], v[18:19], v[16:17]
	v_div_fmas_f64 v[9:10], v[9:10], v[11:12], v[18:19]
	v_div_fixup_f64 v[9:10], v[9:10], v[5:6], v[3:4]
	v_fma_f64 v[3:4], v[3:4], v[9:10], v[5:6]
	v_div_scale_f64 v[5:6], s[30:31], v[3:4], v[3:4], 1.0
	v_div_scale_f64 v[18:19], vcc, 1.0, v[3:4], 1.0
	v_rcp_f64_e32 v[11:12], v[5:6]
	v_fma_f64 v[16:17], -v[5:6], v[11:12], 1.0
	v_fma_f64 v[11:12], v[11:12], v[16:17], v[11:12]
	v_fma_f64 v[16:17], -v[5:6], v[11:12], 1.0
	v_fma_f64 v[11:12], v[11:12], v[16:17], v[11:12]
	v_mul_f64 v[16:17], v[18:19], v[11:12]
	v_fma_f64 v[5:6], -v[5:6], v[16:17], v[18:19]
	v_div_fmas_f64 v[5:6], v[5:6], v[11:12], v[16:17]
	v_div_fixup_f64 v[11:12], v[5:6], v[3:4], 1.0
                                        ; implicit-def: $vgpr3_vgpr4
	v_mul_f64 v[9:10], v[9:10], v[11:12]
	v_xor_b32_e32 v12, 0x80000000, v12
.LBB241_12:                             ;   in Loop: Header=BB241_6 Depth=1
	s_andn2_saveexec_b64 s[28:29], s[28:29]
	s_cbranch_execz .LBB241_3
; %bb.13:                               ;   in Loop: Header=BB241_6 Depth=1
	v_div_scale_f64 v[9:10], s[30:31], v[3:4], v[3:4], v[5:6]
	v_rcp_f64_e32 v[11:12], v[9:10]
	v_fma_f64 v[16:17], -v[9:10], v[11:12], 1.0
	v_fma_f64 v[11:12], v[11:12], v[16:17], v[11:12]
	v_div_scale_f64 v[16:17], vcc, v[5:6], v[3:4], v[5:6]
	v_fma_f64 v[18:19], -v[9:10], v[11:12], 1.0
	v_fma_f64 v[11:12], v[11:12], v[18:19], v[11:12]
	v_mul_f64 v[18:19], v[16:17], v[11:12]
	v_fma_f64 v[9:10], -v[9:10], v[18:19], v[16:17]
	v_div_fmas_f64 v[9:10], v[9:10], v[11:12], v[18:19]
	v_div_fixup_f64 v[11:12], v[9:10], v[3:4], v[5:6]
	v_fma_f64 v[3:4], v[5:6], v[11:12], v[3:4]
	v_div_scale_f64 v[5:6], s[30:31], v[3:4], v[3:4], 1.0
	v_div_scale_f64 v[18:19], vcc, 1.0, v[3:4], 1.0
	v_rcp_f64_e32 v[9:10], v[5:6]
	v_fma_f64 v[16:17], -v[5:6], v[9:10], 1.0
	v_fma_f64 v[9:10], v[9:10], v[16:17], v[9:10]
	v_fma_f64 v[16:17], -v[5:6], v[9:10], 1.0
	v_fma_f64 v[9:10], v[9:10], v[16:17], v[9:10]
	v_mul_f64 v[16:17], v[18:19], v[9:10]
	v_fma_f64 v[5:6], -v[5:6], v[16:17], v[18:19]
	v_div_fmas_f64 v[5:6], v[5:6], v[9:10], v[16:17]
	v_div_fixup_f64 v[9:10], v[5:6], v[3:4], 1.0
	v_mul_f64 v[11:12], v[11:12], -v[9:10]
	s_branch .LBB241_3
.LBB241_14:
	s_mov_b64 s[0:1], src_shared_base
	s_load_dword s0, s[20:21], 0xc
	s_mov_b32 s23, s1
	s_mov_b32 s25, 0
	s_mov_b64 s[10:11], s[22:23]
	s_waitcnt lgkmcnt(0)
	s_and_b32 s24, s0, 0xffff
.LBB241_15:
	s_mul_i32 s7, s7, s6
	v_add_u32_e32 v3, s7, v2
	v_mov_b32_e32 v4, 0
	v_cmp_gt_i64_e32 vcc, s[14:15], v[3:4]
	s_and_saveexec_b64 s[0:1], vcc
	s_cbranch_execz .LBB241_39
; %bb.16:
	v_mov_b32_e32 v1, v4
	v_cmp_gt_i64_e32 vcc, s[12:13], v[0:1]
	s_and_b64 exec, exec, vcc
	s_cbranch_execz .LBB241_39
; %bb.17:
	s_load_dwordx8 s[36:43], s[4:5], 0x48
	s_waitcnt lgkmcnt(0)
	s_mul_i32 s1, s43, s8
	s_mul_hi_u32 s9, s42, s8
	v_mad_u64_u32 v[4:5], s[6:7], s40, v3, 0
	s_mul_i32 s0, s42, s8
	s_add_i32 s1, s9, s1
	s_lshl_b64 s[0:1], s[0:1], 4
	s_add_u32 s6, s36, s0
	s_addc_u32 s7, s37, s1
	v_mad_u64_u32 v[5:6], s[0:1], s41, v3, v[5:6]
	s_lshl_b64 s[0:1], s[38:39], 4
	s_add_u32 s0, s6, s0
	v_lshlrev_b64 v[3:4], 4, v[4:5]
	s_addc_u32 s1, s7, s1
	v_mov_b32_e32 v5, s1
	v_add_co_u32_e32 v3, vcc, s0, v3
	v_addc_co_u32_e32 v4, vcc, v5, v4, vcc
	v_lshlrev_b32_e32 v5, 4, v0
	v_add_co_u32_e32 v9, vcc, v3, v5
	v_addc_co_u32_e32 v10, vcc, 0, v4, vcc
	global_load_dwordx4 v[11:14], v[9:10], off
	v_cmp_lt_u64_e64 s[0:1], s[12:13], 2
	s_add_u32 s6, s12, -1
	s_addc_u32 s7, s13, -1
	s_and_b64 vcc, exec, s[0:1]
	s_waitcnt vmcnt(0)
	v_mul_f64 v[3:4], s[18:19], v[13:14]
	v_mul_f64 v[6:7], s[16:17], v[13:14]
	v_fma_f64 v[3:4], s[16:17], v[11:12], -v[3:4]
	v_fma_f64 v[11:12], s[18:19], v[11:12], v[6:7]
	s_cbranch_vccnz .LBB241_30
; %bb.18:
	v_mad_u64_u32 v[6:7], s[0:1], v0, s24, v[0:1]
	s_load_dword s4, s[4:5], 0x0
	v_mov_b32_e32 v16, s11
	v_mad_u64_u32 v[7:8], s[0:1], v0, s25, v[7:8]
	v_add_co_u32_e32 v13, vcc, s10, v5
	v_lshlrev_b64 v[5:6], 4, v[6:7]
	v_addc_co_u32_e32 v14, vcc, 0, v16, vcc
	s_waitcnt lgkmcnt(0)
	s_cmpk_eq_i32 s4, 0x71
	v_add_co_u32_e32 v15, vcc, s10, v5
	s_cselect_b64 s[0:1], -1, 0
	v_addc_co_u32_e32 v16, vcc, v16, v6, vcc
	v_lshl_add_u32 v2, v2, 4, 0
	s_lshl_b64 s[4:5], s[24:25], 4
	s_mov_b64 s[8:9], 0
	s_branch .LBB241_20
.LBB241_19:                             ;   in Loop: Header=BB241_20 Depth=1
	s_or_b64 exec, exec, s[12:13]
	s_add_u32 s8, s8, 1
	s_addc_u32 s9, s9, 0
	v_mov_b32_e32 v5, s5
	v_add_co_u32_e32 v13, vcc, s4, v13
	s_cmp_eq_u64 s[6:7], s[8:9]
	v_addc_co_u32_e32 v14, vcc, v14, v5, vcc
	s_cbranch_scc1 .LBB241_30
.LBB241_20:                             ; =>This Inner Loop Header: Depth=1
	v_cmp_eq_u64_e32 vcc, s[8:9], v[0:1]
	s_barrier
	s_and_saveexec_b64 s[12:13], vcc
	s_cbranch_execz .LBB241_28
; %bb.21:                               ;   in Loop: Header=BB241_20 Depth=1
	flat_load_dwordx4 v[5:8], v[15:16]
	s_andn2_b64 vcc, exec, s[2:3]
	s_cbranch_vccnz .LBB241_27
; %bb.22:                               ;   in Loop: Header=BB241_20 Depth=1
	s_waitcnt vmcnt(0) lgkmcnt(0)
	v_cmp_ngt_f64_e64 s[14:15], |v[5:6]|, |v[7:8]|
	s_and_saveexec_b64 s[16:17], s[14:15]
	s_xor_b64 s[14:15], exec, s[16:17]
	s_cbranch_execz .LBB241_24
; %bb.23:                               ;   in Loop: Header=BB241_20 Depth=1
	v_div_scale_f64 v[17:18], s[16:17], v[7:8], v[7:8], v[5:6]
	v_rcp_f64_e32 v[19:20], v[17:18]
	v_fma_f64 v[21:22], -v[17:18], v[19:20], 1.0
	v_fma_f64 v[19:20], v[19:20], v[21:22], v[19:20]
	v_div_scale_f64 v[21:22], vcc, v[5:6], v[7:8], v[5:6]
	v_fma_f64 v[23:24], -v[17:18], v[19:20], 1.0
	v_fma_f64 v[19:20], v[19:20], v[23:24], v[19:20]
	v_mul_f64 v[23:24], v[21:22], v[19:20]
	v_fma_f64 v[17:18], -v[17:18], v[23:24], v[21:22]
	v_div_fmas_f64 v[17:18], v[17:18], v[19:20], v[23:24]
	v_div_fixup_f64 v[17:18], v[17:18], v[7:8], v[5:6]
	v_fma_f64 v[5:6], v[5:6], v[17:18], v[7:8]
	v_div_scale_f64 v[7:8], s[16:17], v[5:6], v[5:6], 1.0
	v_div_scale_f64 v[23:24], vcc, 1.0, v[5:6], 1.0
	v_rcp_f64_e32 v[19:20], v[7:8]
	v_fma_f64 v[21:22], -v[7:8], v[19:20], 1.0
	v_fma_f64 v[19:20], v[19:20], v[21:22], v[19:20]
	v_fma_f64 v[21:22], -v[7:8], v[19:20], 1.0
	v_fma_f64 v[19:20], v[19:20], v[21:22], v[19:20]
	v_mul_f64 v[21:22], v[23:24], v[19:20]
	v_fma_f64 v[7:8], -v[7:8], v[21:22], v[23:24]
	v_div_fmas_f64 v[7:8], v[7:8], v[19:20], v[21:22]
	v_div_fixup_f64 v[7:8], v[7:8], v[5:6], 1.0
	v_mul_f64 v[5:6], v[17:18], v[7:8]
	v_xor_b32_e32 v8, 0x80000000, v8
.LBB241_24:                             ;   in Loop: Header=BB241_20 Depth=1
	s_andn2_saveexec_b64 s[14:15], s[14:15]
	s_cbranch_execz .LBB241_26
; %bb.25:                               ;   in Loop: Header=BB241_20 Depth=1
	v_div_scale_f64 v[17:18], s[16:17], v[5:6], v[5:6], v[7:8]
	v_rcp_f64_e32 v[19:20], v[17:18]
	v_fma_f64 v[21:22], -v[17:18], v[19:20], 1.0
	v_fma_f64 v[19:20], v[19:20], v[21:22], v[19:20]
	v_div_scale_f64 v[21:22], vcc, v[7:8], v[5:6], v[7:8]
	v_fma_f64 v[23:24], -v[17:18], v[19:20], 1.0
	v_fma_f64 v[19:20], v[19:20], v[23:24], v[19:20]
	v_mul_f64 v[23:24], v[21:22], v[19:20]
	v_fma_f64 v[17:18], -v[17:18], v[23:24], v[21:22]
	v_div_fmas_f64 v[17:18], v[17:18], v[19:20], v[23:24]
	v_div_fixup_f64 v[17:18], v[17:18], v[5:6], v[7:8]
	v_fma_f64 v[5:6], v[7:8], v[17:18], v[5:6]
	v_div_scale_f64 v[7:8], s[16:17], v[5:6], v[5:6], 1.0
	v_div_scale_f64 v[23:24], vcc, 1.0, v[5:6], 1.0
	v_rcp_f64_e32 v[19:20], v[7:8]
	v_fma_f64 v[21:22], -v[7:8], v[19:20], 1.0
	v_fma_f64 v[19:20], v[19:20], v[21:22], v[19:20]
	v_fma_f64 v[21:22], -v[7:8], v[19:20], 1.0
	v_fma_f64 v[19:20], v[19:20], v[21:22], v[19:20]
	v_mul_f64 v[21:22], v[23:24], v[19:20]
	v_fma_f64 v[7:8], -v[7:8], v[21:22], v[23:24]
	v_div_fmas_f64 v[7:8], v[7:8], v[19:20], v[21:22]
	v_div_fixup_f64 v[5:6], v[7:8], v[5:6], 1.0
	v_mul_f64 v[7:8], v[17:18], -v[5:6]
.LBB241_26:                             ;   in Loop: Header=BB241_20 Depth=1
	s_or_b64 exec, exec, s[14:15]
.LBB241_27:                             ;   in Loop: Header=BB241_20 Depth=1
	s_waitcnt vmcnt(0) lgkmcnt(0)
	v_mul_f64 v[17:18], v[11:12], v[7:8]
	v_mul_f64 v[7:8], v[3:4], v[7:8]
	v_fma_f64 v[3:4], v[3:4], v[5:6], -v[17:18]
	v_fma_f64 v[11:12], v[11:12], v[5:6], v[7:8]
	ds_write2_b64 v2, v[3:4], v[11:12] offset1:1
.LBB241_28:                             ;   in Loop: Header=BB241_20 Depth=1
	s_or_b64 exec, exec, s[12:13]
	v_cmp_lt_u64_e32 vcc, s[8:9], v[0:1]
	s_waitcnt lgkmcnt(0)
	s_barrier
	s_and_saveexec_b64 s[12:13], vcc
	s_cbranch_execz .LBB241_19
; %bb.29:                               ;   in Loop: Header=BB241_20 Depth=1
	flat_load_dwordx4 v[5:8], v[13:14]
	ds_read2_b64 v[17:20], v2 offset1:1
	s_waitcnt vmcnt(0) lgkmcnt(0)
	v_xor_b32_e32 v21, 0x80000000, v8
	v_cndmask_b32_e64 v8, v8, v21, s[0:1]
	v_mul_f64 v[21:22], v[7:8], v[19:20]
	v_mul_f64 v[19:20], v[5:6], v[19:20]
	v_fma_f64 v[5:6], v[5:6], v[17:18], -v[21:22]
	v_fma_f64 v[7:8], v[7:8], v[17:18], v[19:20]
	v_add_f64 v[3:4], v[3:4], -v[5:6]
	v_add_f64 v[11:12], v[11:12], -v[7:8]
	s_branch .LBB241_19
.LBB241_30:
	v_cmp_eq_u64_e32 vcc, s[6:7], v[0:1]
	s_and_saveexec_b64 s[0:1], vcc
	s_cbranch_execz .LBB241_38
; %bb.31:
	v_mad_u64_u32 v[1:2], s[4:5], v0, s24, v[0:1]
	v_mad_u64_u32 v[5:6], s[4:5], v0, s25, v[2:3]
	v_mov_b32_e32 v6, s11
	v_mov_b32_e32 v2, v5
	v_lshlrev_b64 v[0:1], 4, v[1:2]
	v_add_co_u32_e32 v0, vcc, s10, v0
	v_addc_co_u32_e32 v1, vcc, v6, v1, vcc
	flat_load_dwordx4 v[5:8], v[0:1]
	s_andn2_b64 vcc, exec, s[2:3]
	s_cbranch_vccnz .LBB241_37
; %bb.32:
	s_waitcnt vmcnt(0) lgkmcnt(0)
	v_cmp_ngt_f64_e64 s[2:3], |v[5:6]|, |v[7:8]|
	s_and_saveexec_b64 s[4:5], s[2:3]
	s_xor_b64 s[2:3], exec, s[4:5]
	s_cbranch_execz .LBB241_34
; %bb.33:
	v_div_scale_f64 v[0:1], s[4:5], v[7:8], v[7:8], v[5:6]
	v_rcp_f64_e32 v[13:14], v[0:1]
	v_fma_f64 v[15:16], -v[0:1], v[13:14], 1.0
	v_fma_f64 v[13:14], v[13:14], v[15:16], v[13:14]
	v_div_scale_f64 v[15:16], vcc, v[5:6], v[7:8], v[5:6]
	v_fma_f64 v[17:18], -v[0:1], v[13:14], 1.0
	v_fma_f64 v[13:14], v[13:14], v[17:18], v[13:14]
	v_mul_f64 v[17:18], v[15:16], v[13:14]
	v_fma_f64 v[0:1], -v[0:1], v[17:18], v[15:16]
	v_div_fmas_f64 v[0:1], v[0:1], v[13:14], v[17:18]
	v_div_fixup_f64 v[0:1], v[0:1], v[7:8], v[5:6]
	v_fma_f64 v[5:6], v[5:6], v[0:1], v[7:8]
	v_div_scale_f64 v[7:8], s[4:5], v[5:6], v[5:6], 1.0
	v_div_scale_f64 v[17:18], vcc, 1.0, v[5:6], 1.0
	v_rcp_f64_e32 v[13:14], v[7:8]
	v_fma_f64 v[15:16], -v[7:8], v[13:14], 1.0
	v_fma_f64 v[13:14], v[13:14], v[15:16], v[13:14]
	v_fma_f64 v[15:16], -v[7:8], v[13:14], 1.0
	v_fma_f64 v[13:14], v[13:14], v[15:16], v[13:14]
	v_mul_f64 v[15:16], v[17:18], v[13:14]
	v_fma_f64 v[7:8], -v[7:8], v[15:16], v[17:18]
	v_div_fmas_f64 v[7:8], v[7:8], v[13:14], v[15:16]
	v_div_fixup_f64 v[7:8], v[7:8], v[5:6], 1.0
	v_mul_f64 v[5:6], v[0:1], v[7:8]
	v_xor_b32_e32 v8, 0x80000000, v8
.LBB241_34:
	s_andn2_saveexec_b64 s[2:3], s[2:3]
	s_cbranch_execz .LBB241_36
; %bb.35:
	v_div_scale_f64 v[0:1], s[4:5], v[5:6], v[5:6], v[7:8]
	v_rcp_f64_e32 v[13:14], v[0:1]
	v_fma_f64 v[15:16], -v[0:1], v[13:14], 1.0
	v_fma_f64 v[13:14], v[13:14], v[15:16], v[13:14]
	v_div_scale_f64 v[15:16], vcc, v[7:8], v[5:6], v[7:8]
	v_fma_f64 v[17:18], -v[0:1], v[13:14], 1.0
	v_fma_f64 v[13:14], v[13:14], v[17:18], v[13:14]
	v_mul_f64 v[17:18], v[15:16], v[13:14]
	v_fma_f64 v[0:1], -v[0:1], v[17:18], v[15:16]
	v_div_fmas_f64 v[0:1], v[0:1], v[13:14], v[17:18]
	v_div_fixup_f64 v[0:1], v[0:1], v[5:6], v[7:8]
	v_fma_f64 v[5:6], v[7:8], v[0:1], v[5:6]
	v_div_scale_f64 v[7:8], s[4:5], v[5:6], v[5:6], 1.0
	v_div_scale_f64 v[17:18], vcc, 1.0, v[5:6], 1.0
	v_rcp_f64_e32 v[13:14], v[7:8]
	v_fma_f64 v[15:16], -v[7:8], v[13:14], 1.0
	v_fma_f64 v[13:14], v[13:14], v[15:16], v[13:14]
	v_fma_f64 v[15:16], -v[7:8], v[13:14], 1.0
	v_fma_f64 v[13:14], v[13:14], v[15:16], v[13:14]
	v_mul_f64 v[15:16], v[17:18], v[13:14]
	v_fma_f64 v[7:8], -v[7:8], v[15:16], v[17:18]
	v_div_fmas_f64 v[7:8], v[7:8], v[13:14], v[15:16]
	v_div_fixup_f64 v[5:6], v[7:8], v[5:6], 1.0
	v_mul_f64 v[7:8], v[0:1], -v[5:6]
.LBB241_36:
	s_or_b64 exec, exec, s[2:3]
.LBB241_37:
	s_waitcnt vmcnt(0) lgkmcnt(0)
	v_mul_f64 v[0:1], v[11:12], v[7:8]
	v_mul_f64 v[11:12], v[11:12], v[5:6]
	v_fma_f64 v[0:1], v[3:4], v[5:6], -v[0:1]
	v_fma_f64 v[11:12], v[3:4], v[7:8], v[11:12]
	v_mov_b32_e32 v4, v1
	v_mov_b32_e32 v3, v0
.LBB241_38:
	s_or_b64 exec, exec, s[0:1]
	v_mov_b32_e32 v5, v11
	v_mov_b32_e32 v6, v12
	global_store_dwordx4 v[9:10], v[3:6], off
.LBB241_39:
	s_endpgm
	.section	.rodata,"a",@progbits
	.p2align	6, 0x0
	.amdhsa_kernel _ZL39rocblas_trsm_block_forward_substitutionI19rocblas_complex_numIdES1_PKS1_PS1_Lb0ELb0ELb0EEv18rocblas_operation_llT0_T1_lllT2_lllib
		.amdhsa_group_segment_fixed_size 0
		.amdhsa_private_segment_fixed_size 0
		.amdhsa_kernarg_size 368
		.amdhsa_user_sgpr_count 6
		.amdhsa_user_sgpr_private_segment_buffer 1
		.amdhsa_user_sgpr_dispatch_ptr 0
		.amdhsa_user_sgpr_queue_ptr 0
		.amdhsa_user_sgpr_kernarg_segment_ptr 1
		.amdhsa_user_sgpr_dispatch_id 0
		.amdhsa_user_sgpr_flat_scratch_init 0
		.amdhsa_user_sgpr_private_segment_size 0
		.amdhsa_uses_dynamic_stack 0
		.amdhsa_system_sgpr_private_segment_wavefront_offset 0
		.amdhsa_system_sgpr_workgroup_id_x 1
		.amdhsa_system_sgpr_workgroup_id_y 1
		.amdhsa_system_sgpr_workgroup_id_z 1
		.amdhsa_system_sgpr_workgroup_info 0
		.amdhsa_system_vgpr_workitem_id 1
		.amdhsa_next_free_vgpr 25
		.amdhsa_next_free_sgpr 44
		.amdhsa_reserve_vcc 1
		.amdhsa_reserve_flat_scratch 0
		.amdhsa_float_round_mode_32 0
		.amdhsa_float_round_mode_16_64 0
		.amdhsa_float_denorm_mode_32 3
		.amdhsa_float_denorm_mode_16_64 3
		.amdhsa_dx10_clamp 1
		.amdhsa_ieee_mode 1
		.amdhsa_fp16_overflow 0
		.amdhsa_exception_fp_ieee_invalid_op 0
		.amdhsa_exception_fp_denorm_src 0
		.amdhsa_exception_fp_ieee_div_zero 0
		.amdhsa_exception_fp_ieee_overflow 0
		.amdhsa_exception_fp_ieee_underflow 0
		.amdhsa_exception_fp_ieee_inexact 0
		.amdhsa_exception_int_div_zero 0
	.end_amdhsa_kernel
	.section	.text._ZL39rocblas_trsm_block_forward_substitutionI19rocblas_complex_numIdES1_PKS1_PS1_Lb0ELb0ELb0EEv18rocblas_operation_llT0_T1_lllT2_lllib,"axG",@progbits,_ZL39rocblas_trsm_block_forward_substitutionI19rocblas_complex_numIdES1_PKS1_PS1_Lb0ELb0ELb0EEv18rocblas_operation_llT0_T1_lllT2_lllib,comdat
.Lfunc_end241:
	.size	_ZL39rocblas_trsm_block_forward_substitutionI19rocblas_complex_numIdES1_PKS1_PS1_Lb0ELb0ELb0EEv18rocblas_operation_llT0_T1_lllT2_lllib, .Lfunc_end241-_ZL39rocblas_trsm_block_forward_substitutionI19rocblas_complex_numIdES1_PKS1_PS1_Lb0ELb0ELb0EEv18rocblas_operation_llT0_T1_lllT2_lllib
                                        ; -- End function
	.set _ZL39rocblas_trsm_block_forward_substitutionI19rocblas_complex_numIdES1_PKS1_PS1_Lb0ELb0ELb0EEv18rocblas_operation_llT0_T1_lllT2_lllib.num_vgpr, 25
	.set _ZL39rocblas_trsm_block_forward_substitutionI19rocblas_complex_numIdES1_PKS1_PS1_Lb0ELb0ELb0EEv18rocblas_operation_llT0_T1_lllT2_lllib.num_agpr, 0
	.set _ZL39rocblas_trsm_block_forward_substitutionI19rocblas_complex_numIdES1_PKS1_PS1_Lb0ELb0ELb0EEv18rocblas_operation_llT0_T1_lllT2_lllib.numbered_sgpr, 44
	.set _ZL39rocblas_trsm_block_forward_substitutionI19rocblas_complex_numIdES1_PKS1_PS1_Lb0ELb0ELb0EEv18rocblas_operation_llT0_T1_lllT2_lllib.num_named_barrier, 0
	.set _ZL39rocblas_trsm_block_forward_substitutionI19rocblas_complex_numIdES1_PKS1_PS1_Lb0ELb0ELb0EEv18rocblas_operation_llT0_T1_lllT2_lllib.private_seg_size, 0
	.set _ZL39rocblas_trsm_block_forward_substitutionI19rocblas_complex_numIdES1_PKS1_PS1_Lb0ELb0ELb0EEv18rocblas_operation_llT0_T1_lllT2_lllib.uses_vcc, 1
	.set _ZL39rocblas_trsm_block_forward_substitutionI19rocblas_complex_numIdES1_PKS1_PS1_Lb0ELb0ELb0EEv18rocblas_operation_llT0_T1_lllT2_lllib.uses_flat_scratch, 0
	.set _ZL39rocblas_trsm_block_forward_substitutionI19rocblas_complex_numIdES1_PKS1_PS1_Lb0ELb0ELb0EEv18rocblas_operation_llT0_T1_lllT2_lllib.has_dyn_sized_stack, 0
	.set _ZL39rocblas_trsm_block_forward_substitutionI19rocblas_complex_numIdES1_PKS1_PS1_Lb0ELb0ELb0EEv18rocblas_operation_llT0_T1_lllT2_lllib.has_recursion, 0
	.set _ZL39rocblas_trsm_block_forward_substitutionI19rocblas_complex_numIdES1_PKS1_PS1_Lb0ELb0ELb0EEv18rocblas_operation_llT0_T1_lllT2_lllib.has_indirect_call, 0
	.section	.AMDGPU.csdata,"",@progbits
; Kernel info:
; codeLenInByte = 2388
; TotalNumSgprs: 48
; NumVgprs: 25
; ScratchSize: 0
; MemoryBound: 1
; FloatMode: 240
; IeeeMode: 1
; LDSByteSize: 0 bytes/workgroup (compile time only)
; SGPRBlocks: 5
; VGPRBlocks: 6
; NumSGPRsForWavesPerEU: 48
; NumVGPRsForWavesPerEU: 25
; Occupancy: 9
; WaveLimiterHint : 1
; COMPUTE_PGM_RSRC2:SCRATCH_EN: 0
; COMPUTE_PGM_RSRC2:USER_SGPR: 6
; COMPUTE_PGM_RSRC2:TRAP_HANDLER: 0
; COMPUTE_PGM_RSRC2:TGID_X_EN: 1
; COMPUTE_PGM_RSRC2:TGID_Y_EN: 1
; COMPUTE_PGM_RSRC2:TGID_Z_EN: 1
; COMPUTE_PGM_RSRC2:TIDIG_COMP_CNT: 1
	.section	.text._ZL40rocblas_trsm_block_backward_substitutionI19rocblas_complex_numIdES1_PKS1_PS1_Lb0ELb0ELb0EEv18rocblas_operation_llT0_T1_lllT2_lllib,"axG",@progbits,_ZL40rocblas_trsm_block_backward_substitutionI19rocblas_complex_numIdES1_PKS1_PS1_Lb0ELb0ELb0EEv18rocblas_operation_llT0_T1_lllT2_lllib,comdat
	.globl	_ZL40rocblas_trsm_block_backward_substitutionI19rocblas_complex_numIdES1_PKS1_PS1_Lb0ELb0ELb0EEv18rocblas_operation_llT0_T1_lllT2_lllib ; -- Begin function _ZL40rocblas_trsm_block_backward_substitutionI19rocblas_complex_numIdES1_PKS1_PS1_Lb0ELb0ELb0EEv18rocblas_operation_llT0_T1_lllT2_lllib
	.p2align	8
	.type	_ZL40rocblas_trsm_block_backward_substitutionI19rocblas_complex_numIdES1_PKS1_PS1_Lb0ELb0ELb0EEv18rocblas_operation_llT0_T1_lllT2_lllib,@function
_ZL40rocblas_trsm_block_backward_substitutionI19rocblas_complex_numIdES1_PKS1_PS1_Lb0ELb0ELb0EEv18rocblas_operation_llT0_T1_lllT2_lllib: ; @_ZL40rocblas_trsm_block_backward_substitutionI19rocblas_complex_numIdES1_PKS1_PS1_Lb0ELb0ELb0EEv18rocblas_operation_llT0_T1_lllT2_lllib
; %bb.0:
	s_load_dword s0, s[4:5], 0x6c
	s_load_dwordx16 s[12:27], s[4:5], 0x8
	s_load_dword s6, s[4:5], 0x7c
	v_mov_b32_e32 v2, v1
	s_waitcnt lgkmcnt(0)
	s_bitcmp1_b32 s0, 0
	s_cselect_b64 s[0:1], -1, 0
	s_xor_b64 s[10:11], s[0:1], -1
	s_mul_i32 s0, s27, s8
	s_mul_hi_u32 s1, s26, s8
	s_add_i32 s1, s1, s0
	s_mul_i32 s0, s26, s8
	s_lshl_b64 s[0:1], s[0:1], 4
	s_add_u32 s2, s20, s0
	s_addc_u32 s3, s21, s1
	s_lshl_b64 s[0:1], s[22:23], 4
	s_add_u32 s2, s2, s0
	s_addc_u32 s3, s3, s1
	s_add_u32 s26, s4, 0x70
	s_addc_u32 s27, s5, 0
	s_lshr_b32 s6, s6, 16
	s_mov_b64 s[22:23], 1
	s_and_b64 vcc, exec, s[10:11]
	s_cbranch_vccnz .LBB242_15
; %bb.1:
	s_lshl_b32 s0, s6, 4
	s_add_i32 s28, s0, 0
	v_cmp_lt_i64_e64 s[0:1], s[12:13], 1
	s_mov_b64 s[20:21], 1
	s_and_b64 vcc, exec, s[0:1]
	s_cbranch_vccnz .LBB242_16
; %bb.2:
	v_mad_u64_u32 v[3:4], s[0:1], s24, v0, 0
	v_lshlrev_b32_e32 v6, 4, v0
	v_add_u32_e32 v14, s28, v6
	v_mov_b32_e32 v1, v4
	v_mad_u64_u32 v[4:5], s[0:1], s25, v0, v[1:2]
	v_mov_b32_e32 v1, 0
	v_cmp_le_u64_e64 s[22:23], s[12:13], v[0:1]
	v_lshlrev_b64 v[3:4], 4, v[3:4]
	v_cmp_gt_u64_e64 s[0:1], s[12:13], v[0:1]
	v_mov_b32_e32 v5, s3
	v_add_co_u32_e32 v1, vcc, s2, v3
	v_addc_co_u32_e32 v15, vcc, v5, v4, vcc
	v_add_co_u32_e32 v7, vcc, v1, v6
	v_addc_co_u32_e32 v8, vcc, 0, v15, vcc
	s_xor_b64 s[24:25], s[22:23], -1
	s_mov_b32 s9, s6
	v_mov_b32_e32 v9, v2
	s_branch .LBB242_5
.LBB242_3:                              ;   in Loop: Header=BB242_5 Depth=1
	s_or_b64 exec, exec, s[30:31]
	s_load_dword s29, s[26:27], 0xc
	s_waitcnt lgkmcnt(0)
	s_and_b32 s29, s29, 0xffff
	v_mul_u32_u24_e32 v3, s29, v0
	v_lshl_add_u32 v3, v3, 4, v14
	ds_write2_b64 v3, v[10:11], v[12:13] offset1:1
.LBB242_4:                              ;   in Loop: Header=BB242_5 Depth=1
	s_or_b64 exec, exec, s[2:3]
	s_ashr_i32 s2, s9, 31
	v_mov_b32_e32 v3, s9
	v_mov_b32_e32 v4, s2
	v_cmp_le_i64_e32 vcc, s[12:13], v[3:4]
	v_add_u32_e32 v9, s6, v9
	s_add_i32 s9, s9, s6
	s_cbranch_vccnz .LBB242_16
.LBB242_5:                              ; =>This Inner Loop Header: Depth=1
	s_mov_b64 s[34:35], s[22:23]
	s_and_saveexec_b64 s[30:31], s[0:1]
	s_cbranch_execz .LBB242_9
; %bb.6:                                ;   in Loop: Header=BB242_5 Depth=1
	v_ashrrev_i32_e32 v10, 31, v9
	v_cmp_gt_i64_e32 vcc, s[12:13], v[9:10]
	v_cmp_lt_i32_e64 s[2:3], v0, v9
	s_and_b64 s[36:37], s[2:3], vcc
	s_mov_b64 s[34:35], -1
	s_and_saveexec_b64 s[2:3], s[36:37]
	s_cbranch_execz .LBB242_8
; %bb.7:                                ;   in Loop: Header=BB242_5 Depth=1
	v_lshlrev_b64 v[3:4], 4, v[9:10]
	s_load_dword s29, s[26:27], 0xc
	v_add_co_u32_e32 v3, vcc, v1, v3
	v_addc_co_u32_e32 v4, vcc, v15, v4, vcc
	global_load_dwordx4 v[3:6], v[3:4], off
	s_waitcnt lgkmcnt(0)
	s_and_b32 s29, s29, 0xffff
	v_mul_lo_u32 v10, v9, s29
	s_xor_b64 s[34:35], exec, -1
	v_lshl_add_u32 v10, v10, 4, v14
	s_waitcnt vmcnt(0)
	ds_write2_b64 v10, v[3:4], v[5:6] offset1:1
.LBB242_8:                              ;   in Loop: Header=BB242_5 Depth=1
	s_or_b64 exec, exec, s[2:3]
	s_andn2_b64 s[2:3], s[22:23], exec
	s_and_b64 s[34:35], s[34:35], exec
	s_or_b64 s[34:35], s[2:3], s[34:35]
.LBB242_9:                              ;   in Loop: Header=BB242_5 Depth=1
	s_or_b64 exec, exec, s[30:31]
	s_and_saveexec_b64 s[2:3], s[34:35]
	s_cbranch_execz .LBB242_4
; %bb.10:                               ;   in Loop: Header=BB242_5 Depth=1
	v_cmp_eq_u32_e32 vcc, v0, v9
	s_and_b64 s[30:31], s[24:25], vcc
	s_and_b64 exec, exec, s[30:31]
	s_cbranch_execz .LBB242_4
; %bb.11:                               ;   in Loop: Header=BB242_5 Depth=1
	global_load_dwordx4 v[3:6], v[7:8], off
                                        ; implicit-def: $vgpr10_vgpr11
	s_waitcnt vmcnt(0)
	v_cmp_ngt_f64_e64 s[30:31], |v[3:4]|, |v[5:6]|
	s_and_saveexec_b64 s[34:35], s[30:31]
	s_xor_b64 s[30:31], exec, s[34:35]
                                        ; implicit-def: $vgpr12_vgpr13
	s_cbranch_execz .LBB242_13
; %bb.12:                               ;   in Loop: Header=BB242_5 Depth=1
	v_div_scale_f64 v[10:11], s[34:35], v[5:6], v[5:6], v[3:4]
	v_rcp_f64_e32 v[12:13], v[10:11]
	v_fma_f64 v[16:17], -v[10:11], v[12:13], 1.0
	v_fma_f64 v[12:13], v[12:13], v[16:17], v[12:13]
	v_div_scale_f64 v[16:17], vcc, v[3:4], v[5:6], v[3:4]
	v_fma_f64 v[18:19], -v[10:11], v[12:13], 1.0
	v_fma_f64 v[12:13], v[12:13], v[18:19], v[12:13]
	v_mul_f64 v[18:19], v[16:17], v[12:13]
	v_fma_f64 v[10:11], -v[10:11], v[18:19], v[16:17]
	v_div_fmas_f64 v[10:11], v[10:11], v[12:13], v[18:19]
	v_div_fixup_f64 v[10:11], v[10:11], v[5:6], v[3:4]
	v_fma_f64 v[3:4], v[3:4], v[10:11], v[5:6]
	v_div_scale_f64 v[5:6], s[34:35], v[3:4], v[3:4], 1.0
	v_div_scale_f64 v[18:19], vcc, 1.0, v[3:4], 1.0
	v_rcp_f64_e32 v[12:13], v[5:6]
	v_fma_f64 v[16:17], -v[5:6], v[12:13], 1.0
	v_fma_f64 v[12:13], v[12:13], v[16:17], v[12:13]
	v_fma_f64 v[16:17], -v[5:6], v[12:13], 1.0
	v_fma_f64 v[12:13], v[12:13], v[16:17], v[12:13]
	v_mul_f64 v[16:17], v[18:19], v[12:13]
	v_fma_f64 v[5:6], -v[5:6], v[16:17], v[18:19]
	v_div_fmas_f64 v[5:6], v[5:6], v[12:13], v[16:17]
	v_div_fixup_f64 v[12:13], v[5:6], v[3:4], 1.0
                                        ; implicit-def: $vgpr3_vgpr4
	v_mul_f64 v[10:11], v[10:11], v[12:13]
	v_xor_b32_e32 v13, 0x80000000, v13
.LBB242_13:                             ;   in Loop: Header=BB242_5 Depth=1
	s_andn2_saveexec_b64 s[30:31], s[30:31]
	s_cbranch_execz .LBB242_3
; %bb.14:                               ;   in Loop: Header=BB242_5 Depth=1
	v_div_scale_f64 v[10:11], s[34:35], v[3:4], v[3:4], v[5:6]
	v_rcp_f64_e32 v[12:13], v[10:11]
	v_fma_f64 v[16:17], -v[10:11], v[12:13], 1.0
	v_fma_f64 v[12:13], v[12:13], v[16:17], v[12:13]
	v_div_scale_f64 v[16:17], vcc, v[5:6], v[3:4], v[5:6]
	v_fma_f64 v[18:19], -v[10:11], v[12:13], 1.0
	v_fma_f64 v[12:13], v[12:13], v[18:19], v[12:13]
	v_mul_f64 v[18:19], v[16:17], v[12:13]
	v_fma_f64 v[10:11], -v[10:11], v[18:19], v[16:17]
	v_div_fmas_f64 v[10:11], v[10:11], v[12:13], v[18:19]
	v_div_fixup_f64 v[12:13], v[10:11], v[3:4], v[5:6]
	v_fma_f64 v[3:4], v[5:6], v[12:13], v[3:4]
	v_div_scale_f64 v[5:6], s[34:35], v[3:4], v[3:4], 1.0
	v_div_scale_f64 v[18:19], vcc, 1.0, v[3:4], 1.0
	v_rcp_f64_e32 v[10:11], v[5:6]
	v_fma_f64 v[16:17], -v[5:6], v[10:11], 1.0
	v_fma_f64 v[10:11], v[10:11], v[16:17], v[10:11]
	v_fma_f64 v[16:17], -v[5:6], v[10:11], 1.0
	v_fma_f64 v[10:11], v[10:11], v[16:17], v[10:11]
	v_mul_f64 v[16:17], v[18:19], v[10:11]
	v_fma_f64 v[5:6], -v[5:6], v[16:17], v[18:19]
	v_div_fmas_f64 v[5:6], v[5:6], v[10:11], v[16:17]
	v_div_fixup_f64 v[10:11], v[5:6], v[3:4], 1.0
	v_mul_f64 v[12:13], v[12:13], -v[10:11]
	s_branch .LBB242_3
.LBB242_15:
	s_mov_b64 s[20:21], s[24:25]
	s_branch .LBB242_17
.LBB242_16:
	s_mov_b64 s[0:1], src_shared_base
	s_load_dword s0, s[26:27], 0xc
	s_mov_b32 s29, s1
	s_mov_b32 s23, 0
	s_mov_b64 s[2:3], s[28:29]
	s_waitcnt lgkmcnt(0)
	s_and_b32 s22, s0, 0xffff
.LBB242_17:
	s_mul_i32 s7, s7, s6
	v_add_u32_e32 v3, s7, v2
	v_mov_b32_e32 v4, 0
	v_cmp_gt_i64_e32 vcc, s[14:15], v[3:4]
	s_and_saveexec_b64 s[0:1], vcc
	s_cbranch_execz .LBB242_42
; %bb.18:
	v_mov_b32_e32 v1, v4
	v_cmp_gt_i64_e32 vcc, s[12:13], v[0:1]
	s_and_b64 exec, exec, vcc
	s_cbranch_execz .LBB242_42
; %bb.19:
	s_load_dwordx8 s[24:31], s[4:5], 0x48
	v_lshlrev_b64 v[3:4], 4, v[3:4]
	s_waitcnt lgkmcnt(0)
	s_mul_i32 s1, s31, s8
	s_mul_hi_u32 s9, s30, s8
	v_mad_u64_u32 v[5:6], s[6:7], s28, v0, 0
	s_mul_i32 s0, s30, s8
	s_add_i32 s1, s9, s1
	s_lshl_b64 s[0:1], s[0:1], 4
	s_add_u32 s6, s24, s0
	s_addc_u32 s7, s25, s1
	v_mad_u64_u32 v[6:7], s[0:1], s29, v0, v[6:7]
	s_lshl_b64 s[0:1], s[26:27], 4
	s_add_u32 s0, s6, s0
	v_lshlrev_b64 v[5:6], 4, v[5:6]
	s_addc_u32 s1, s7, s1
	v_mov_b32_e32 v7, s1
	v_add_co_u32_e32 v5, vcc, s0, v5
	v_addc_co_u32_e32 v6, vcc, v7, v6, vcc
	v_add_co_u32_e32 v9, vcc, v5, v3
	v_addc_co_u32_e32 v10, vcc, v6, v4, vcc
	global_load_dwordx4 v[5:8], v[9:10], off
	v_cmp_lt_u64_e64 s[0:1], s[12:13], 2
	s_and_b64 vcc, exec, s[0:1]
	s_waitcnt vmcnt(0)
	v_mul_f64 v[3:4], s[18:19], v[7:8]
	v_mul_f64 v[7:8], s[16:17], v[7:8]
	v_fma_f64 v[3:4], s[16:17], v[5:6], -v[3:4]
	v_fma_f64 v[11:12], s[18:19], v[5:6], v[7:8]
	s_cbranch_vccnz .LBB242_33
; %bb.20:
	s_load_dword s0, s[4:5], 0x0
	v_mov_b32_e32 v17, s3
	v_lshl_add_u32 v2, v2, 4, 0
	s_waitcnt lgkmcnt(0)
	s_cmpk_eq_i32 s0, 0x71
	s_cselect_b64 s[0:1], -1, 0
	s_add_u32 s4, s22, s20
	v_mad_u64_u32 v[5:6], s[4:5], s4, v0, 0
	v_mad_u64_u32 v[7:8], s[4:5], s20, v0, 0
	s_addc_u32 s4, s23, s21
	v_mad_u64_u32 v[13:14], s[4:5], s4, v0, v[6:7]
	v_mov_b32_e32 v6, v8
	v_mad_u64_u32 v[15:16], s[4:5], s21, v0, v[6:7]
	v_mov_b32_e32 v6, v13
	s_add_u32 s4, s12, -1
	v_lshlrev_b64 v[5:6], 4, v[5:6]
	s_addc_u32 s5, s13, -1
	s_mul_i32 s6, s22, s5
	s_mul_hi_u32 s7, s22, s4
	v_add_co_u32_e32 v13, vcc, s2, v5
	v_mov_b32_e32 v8, v15
	s_add_i32 s7, s7, s6
	s_mul_i32 s6, s22, s4
	v_addc_co_u32_e32 v14, vcc, v17, v6, vcc
	s_lshl_b64 s[6:7], s[6:7], 4
	v_lshlrev_b64 v[5:6], 4, v[7:8]
	s_add_u32 s6, s2, s6
	s_addc_u32 s7, s3, s7
	v_add_co_u32_e32 v15, vcc, s6, v5
	s_lshl_b32 s6, s22, 4
	v_mov_b32_e32 v7, s7
	s_sub_u32 s12, 0, s6
	v_addc_co_u32_e32 v16, vcc, v7, v6, vcc
	s_subb_u32 s13, 0, 0
.LBB242_21:                             ; =>This Inner Loop Header: Depth=1
	v_cmp_eq_u64_e32 vcc, s[4:5], v[0:1]
	s_barrier
	s_and_saveexec_b64 s[6:7], vcc
	s_cbranch_execz .LBB242_29
; %bb.22:                               ;   in Loop: Header=BB242_21 Depth=1
	flat_load_dwordx4 v[5:8], v[13:14]
	s_andn2_b64 vcc, exec, s[10:11]
	s_cbranch_vccnz .LBB242_28
; %bb.23:                               ;   in Loop: Header=BB242_21 Depth=1
	s_waitcnt vmcnt(0) lgkmcnt(0)
	v_cmp_ngt_f64_e64 s[8:9], |v[5:6]|, |v[7:8]|
	s_and_saveexec_b64 s[14:15], s[8:9]
	s_xor_b64 s[8:9], exec, s[14:15]
	s_cbranch_execz .LBB242_25
; %bb.24:                               ;   in Loop: Header=BB242_21 Depth=1
	v_div_scale_f64 v[17:18], s[14:15], v[7:8], v[7:8], v[5:6]
	v_rcp_f64_e32 v[19:20], v[17:18]
	v_fma_f64 v[21:22], -v[17:18], v[19:20], 1.0
	v_fma_f64 v[19:20], v[19:20], v[21:22], v[19:20]
	v_div_scale_f64 v[21:22], vcc, v[5:6], v[7:8], v[5:6]
	v_fma_f64 v[23:24], -v[17:18], v[19:20], 1.0
	v_fma_f64 v[19:20], v[19:20], v[23:24], v[19:20]
	v_mul_f64 v[23:24], v[21:22], v[19:20]
	v_fma_f64 v[17:18], -v[17:18], v[23:24], v[21:22]
	v_div_fmas_f64 v[17:18], v[17:18], v[19:20], v[23:24]
	v_div_fixup_f64 v[17:18], v[17:18], v[7:8], v[5:6]
	v_fma_f64 v[5:6], v[5:6], v[17:18], v[7:8]
	v_div_scale_f64 v[7:8], s[14:15], v[5:6], v[5:6], 1.0
	v_div_scale_f64 v[23:24], vcc, 1.0, v[5:6], 1.0
	v_rcp_f64_e32 v[19:20], v[7:8]
	v_fma_f64 v[21:22], -v[7:8], v[19:20], 1.0
	v_fma_f64 v[19:20], v[19:20], v[21:22], v[19:20]
	v_fma_f64 v[21:22], -v[7:8], v[19:20], 1.0
	v_fma_f64 v[19:20], v[19:20], v[21:22], v[19:20]
	v_mul_f64 v[21:22], v[23:24], v[19:20]
	v_fma_f64 v[7:8], -v[7:8], v[21:22], v[23:24]
	v_div_fmas_f64 v[7:8], v[7:8], v[19:20], v[21:22]
	v_div_fixup_f64 v[7:8], v[7:8], v[5:6], 1.0
	v_mul_f64 v[5:6], v[17:18], v[7:8]
	v_xor_b32_e32 v8, 0x80000000, v8
.LBB242_25:                             ;   in Loop: Header=BB242_21 Depth=1
	s_andn2_saveexec_b64 s[8:9], s[8:9]
	s_cbranch_execz .LBB242_27
; %bb.26:                               ;   in Loop: Header=BB242_21 Depth=1
	v_div_scale_f64 v[17:18], s[14:15], v[5:6], v[5:6], v[7:8]
	v_rcp_f64_e32 v[19:20], v[17:18]
	v_fma_f64 v[21:22], -v[17:18], v[19:20], 1.0
	v_fma_f64 v[19:20], v[19:20], v[21:22], v[19:20]
	v_div_scale_f64 v[21:22], vcc, v[7:8], v[5:6], v[7:8]
	v_fma_f64 v[23:24], -v[17:18], v[19:20], 1.0
	v_fma_f64 v[19:20], v[19:20], v[23:24], v[19:20]
	v_mul_f64 v[23:24], v[21:22], v[19:20]
	v_fma_f64 v[17:18], -v[17:18], v[23:24], v[21:22]
	v_div_fmas_f64 v[17:18], v[17:18], v[19:20], v[23:24]
	v_div_fixup_f64 v[17:18], v[17:18], v[5:6], v[7:8]
	v_fma_f64 v[5:6], v[7:8], v[17:18], v[5:6]
	v_div_scale_f64 v[7:8], s[14:15], v[5:6], v[5:6], 1.0
	v_div_scale_f64 v[23:24], vcc, 1.0, v[5:6], 1.0
	v_rcp_f64_e32 v[19:20], v[7:8]
	v_fma_f64 v[21:22], -v[7:8], v[19:20], 1.0
	v_fma_f64 v[19:20], v[19:20], v[21:22], v[19:20]
	v_fma_f64 v[21:22], -v[7:8], v[19:20], 1.0
	v_fma_f64 v[19:20], v[19:20], v[21:22], v[19:20]
	v_mul_f64 v[21:22], v[23:24], v[19:20]
	v_fma_f64 v[7:8], -v[7:8], v[21:22], v[23:24]
	v_div_fmas_f64 v[7:8], v[7:8], v[19:20], v[21:22]
	v_div_fixup_f64 v[5:6], v[7:8], v[5:6], 1.0
	v_mul_f64 v[7:8], v[17:18], -v[5:6]
.LBB242_27:                             ;   in Loop: Header=BB242_21 Depth=1
	s_or_b64 exec, exec, s[8:9]
.LBB242_28:                             ;   in Loop: Header=BB242_21 Depth=1
	s_waitcnt vmcnt(0) lgkmcnt(0)
	v_mul_f64 v[17:18], v[11:12], v[7:8]
	v_mul_f64 v[7:8], v[3:4], v[7:8]
	v_fma_f64 v[3:4], v[3:4], v[5:6], -v[17:18]
	v_fma_f64 v[11:12], v[11:12], v[5:6], v[7:8]
	ds_write2_b64 v2, v[3:4], v[11:12] offset1:1
.LBB242_29:                             ;   in Loop: Header=BB242_21 Depth=1
	s_or_b64 exec, exec, s[6:7]
	v_cmp_gt_i64_e32 vcc, s[4:5], v[0:1]
	s_waitcnt lgkmcnt(0)
	s_barrier
	s_and_saveexec_b64 s[6:7], vcc
	s_cbranch_execz .LBB242_31
; %bb.30:                               ;   in Loop: Header=BB242_21 Depth=1
	flat_load_dwordx4 v[5:8], v[15:16]
	ds_read2_b64 v[17:20], v2 offset1:1
	s_waitcnt vmcnt(0) lgkmcnt(0)
	v_xor_b32_e32 v21, 0x80000000, v8
	v_cndmask_b32_e64 v8, v8, v21, s[0:1]
	v_mul_f64 v[21:22], v[7:8], v[19:20]
	v_mul_f64 v[19:20], v[5:6], v[19:20]
	v_fma_f64 v[5:6], v[5:6], v[17:18], -v[21:22]
	v_fma_f64 v[7:8], v[7:8], v[17:18], v[19:20]
	v_add_f64 v[3:4], v[3:4], -v[5:6]
	v_add_f64 v[11:12], v[11:12], -v[7:8]
.LBB242_31:                             ;   in Loop: Header=BB242_21 Depth=1
	s_or_b64 exec, exec, s[6:7]
	s_add_u32 s6, s4, -1
	s_addc_u32 s7, s5, -1
	s_add_u32 s4, s4, 1
	s_addc_u32 s5, s5, 0
	v_mov_b32_e32 v5, s13
	v_cmp_lt_u64_e64 s[4:5], s[4:5], 3
	v_add_co_u32_e32 v15, vcc, s12, v15
	v_addc_co_u32_e32 v16, vcc, v16, v5, vcc
	s_and_b64 vcc, exec, s[4:5]
	s_cbranch_vccnz .LBB242_33
; %bb.32:                               ;   in Loop: Header=BB242_21 Depth=1
	s_mov_b64 s[4:5], s[6:7]
	s_branch .LBB242_21
.LBB242_33:
	v_cmp_eq_u32_e32 vcc, 0, v0
	s_and_saveexec_b64 s[0:1], vcc
	s_cbranch_execz .LBB242_41
; %bb.34:
	s_add_u32 s4, s22, s20
	v_mad_u64_u32 v[1:2], s[4:5], s4, v0, 0
	s_addc_u32 s4, s23, s21
	v_mad_u64_u32 v[5:6], s[4:5], s4, v0, v[2:3]
	v_mov_b32_e32 v6, s3
	v_mov_b32_e32 v2, v5
	v_lshlrev_b64 v[0:1], 4, v[1:2]
	v_add_co_u32_e32 v0, vcc, s2, v0
	v_addc_co_u32_e32 v1, vcc, v6, v1, vcc
	flat_load_dwordx4 v[5:8], v[0:1]
	s_andn2_b64 vcc, exec, s[10:11]
	s_cbranch_vccnz .LBB242_40
; %bb.35:
	s_waitcnt vmcnt(0) lgkmcnt(0)
	v_cmp_ngt_f64_e64 s[2:3], |v[5:6]|, |v[7:8]|
	s_and_saveexec_b64 s[4:5], s[2:3]
	s_xor_b64 s[2:3], exec, s[4:5]
	s_cbranch_execz .LBB242_37
; %bb.36:
	v_div_scale_f64 v[0:1], s[4:5], v[7:8], v[7:8], v[5:6]
	v_rcp_f64_e32 v[13:14], v[0:1]
	v_fma_f64 v[15:16], -v[0:1], v[13:14], 1.0
	v_fma_f64 v[13:14], v[13:14], v[15:16], v[13:14]
	v_div_scale_f64 v[15:16], vcc, v[5:6], v[7:8], v[5:6]
	v_fma_f64 v[17:18], -v[0:1], v[13:14], 1.0
	v_fma_f64 v[13:14], v[13:14], v[17:18], v[13:14]
	v_mul_f64 v[17:18], v[15:16], v[13:14]
	v_fma_f64 v[0:1], -v[0:1], v[17:18], v[15:16]
	v_div_fmas_f64 v[0:1], v[0:1], v[13:14], v[17:18]
	v_div_fixup_f64 v[0:1], v[0:1], v[7:8], v[5:6]
	v_fma_f64 v[5:6], v[5:6], v[0:1], v[7:8]
	v_div_scale_f64 v[7:8], s[4:5], v[5:6], v[5:6], 1.0
	v_div_scale_f64 v[17:18], vcc, 1.0, v[5:6], 1.0
	v_rcp_f64_e32 v[13:14], v[7:8]
	v_fma_f64 v[15:16], -v[7:8], v[13:14], 1.0
	v_fma_f64 v[13:14], v[13:14], v[15:16], v[13:14]
	v_fma_f64 v[15:16], -v[7:8], v[13:14], 1.0
	v_fma_f64 v[13:14], v[13:14], v[15:16], v[13:14]
	v_mul_f64 v[15:16], v[17:18], v[13:14]
	v_fma_f64 v[7:8], -v[7:8], v[15:16], v[17:18]
	v_div_fmas_f64 v[7:8], v[7:8], v[13:14], v[15:16]
	v_div_fixup_f64 v[7:8], v[7:8], v[5:6], 1.0
	v_mul_f64 v[5:6], v[0:1], v[7:8]
	v_xor_b32_e32 v8, 0x80000000, v8
.LBB242_37:
	s_andn2_saveexec_b64 s[2:3], s[2:3]
	s_cbranch_execz .LBB242_39
; %bb.38:
	v_div_scale_f64 v[0:1], s[4:5], v[5:6], v[5:6], v[7:8]
	v_rcp_f64_e32 v[13:14], v[0:1]
	v_fma_f64 v[15:16], -v[0:1], v[13:14], 1.0
	v_fma_f64 v[13:14], v[13:14], v[15:16], v[13:14]
	v_div_scale_f64 v[15:16], vcc, v[7:8], v[5:6], v[7:8]
	v_fma_f64 v[17:18], -v[0:1], v[13:14], 1.0
	v_fma_f64 v[13:14], v[13:14], v[17:18], v[13:14]
	v_mul_f64 v[17:18], v[15:16], v[13:14]
	v_fma_f64 v[0:1], -v[0:1], v[17:18], v[15:16]
	v_div_fmas_f64 v[0:1], v[0:1], v[13:14], v[17:18]
	v_div_fixup_f64 v[0:1], v[0:1], v[5:6], v[7:8]
	v_fma_f64 v[5:6], v[7:8], v[0:1], v[5:6]
	v_div_scale_f64 v[7:8], s[4:5], v[5:6], v[5:6], 1.0
	v_div_scale_f64 v[17:18], vcc, 1.0, v[5:6], 1.0
	v_rcp_f64_e32 v[13:14], v[7:8]
	v_fma_f64 v[15:16], -v[7:8], v[13:14], 1.0
	v_fma_f64 v[13:14], v[13:14], v[15:16], v[13:14]
	v_fma_f64 v[15:16], -v[7:8], v[13:14], 1.0
	v_fma_f64 v[13:14], v[13:14], v[15:16], v[13:14]
	v_mul_f64 v[15:16], v[17:18], v[13:14]
	v_fma_f64 v[7:8], -v[7:8], v[15:16], v[17:18]
	v_div_fmas_f64 v[7:8], v[7:8], v[13:14], v[15:16]
	v_div_fixup_f64 v[5:6], v[7:8], v[5:6], 1.0
	v_mul_f64 v[7:8], v[0:1], -v[5:6]
.LBB242_39:
	s_or_b64 exec, exec, s[2:3]
.LBB242_40:
	s_waitcnt vmcnt(0) lgkmcnt(0)
	v_mul_f64 v[0:1], v[11:12], v[7:8]
	v_mul_f64 v[11:12], v[11:12], v[5:6]
	v_fma_f64 v[0:1], v[3:4], v[5:6], -v[0:1]
	v_fma_f64 v[11:12], v[3:4], v[7:8], v[11:12]
	v_mov_b32_e32 v4, v1
	v_mov_b32_e32 v3, v0
.LBB242_41:
	s_or_b64 exec, exec, s[0:1]
	v_mov_b32_e32 v5, v11
	v_mov_b32_e32 v6, v12
	global_store_dwordx4 v[9:10], v[3:6], off
.LBB242_42:
	s_endpgm
	.section	.rodata,"a",@progbits
	.p2align	6, 0x0
	.amdhsa_kernel _ZL40rocblas_trsm_block_backward_substitutionI19rocblas_complex_numIdES1_PKS1_PS1_Lb0ELb0ELb0EEv18rocblas_operation_llT0_T1_lllT2_lllib
		.amdhsa_group_segment_fixed_size 0
		.amdhsa_private_segment_fixed_size 0
		.amdhsa_kernarg_size 368
		.amdhsa_user_sgpr_count 6
		.amdhsa_user_sgpr_private_segment_buffer 1
		.amdhsa_user_sgpr_dispatch_ptr 0
		.amdhsa_user_sgpr_queue_ptr 0
		.amdhsa_user_sgpr_kernarg_segment_ptr 1
		.amdhsa_user_sgpr_dispatch_id 0
		.amdhsa_user_sgpr_flat_scratch_init 0
		.amdhsa_user_sgpr_private_segment_size 0
		.amdhsa_uses_dynamic_stack 0
		.amdhsa_system_sgpr_private_segment_wavefront_offset 0
		.amdhsa_system_sgpr_workgroup_id_x 1
		.amdhsa_system_sgpr_workgroup_id_y 1
		.amdhsa_system_sgpr_workgroup_id_z 1
		.amdhsa_system_sgpr_workgroup_info 0
		.amdhsa_system_vgpr_workitem_id 1
		.amdhsa_next_free_vgpr 25
		.amdhsa_next_free_sgpr 38
		.amdhsa_reserve_vcc 1
		.amdhsa_reserve_flat_scratch 0
		.amdhsa_float_round_mode_32 0
		.amdhsa_float_round_mode_16_64 0
		.amdhsa_float_denorm_mode_32 3
		.amdhsa_float_denorm_mode_16_64 3
		.amdhsa_dx10_clamp 1
		.amdhsa_ieee_mode 1
		.amdhsa_fp16_overflow 0
		.amdhsa_exception_fp_ieee_invalid_op 0
		.amdhsa_exception_fp_denorm_src 0
		.amdhsa_exception_fp_ieee_div_zero 0
		.amdhsa_exception_fp_ieee_overflow 0
		.amdhsa_exception_fp_ieee_underflow 0
		.amdhsa_exception_fp_ieee_inexact 0
		.amdhsa_exception_int_div_zero 0
	.end_amdhsa_kernel
	.section	.text._ZL40rocblas_trsm_block_backward_substitutionI19rocblas_complex_numIdES1_PKS1_PS1_Lb0ELb0ELb0EEv18rocblas_operation_llT0_T1_lllT2_lllib,"axG",@progbits,_ZL40rocblas_trsm_block_backward_substitutionI19rocblas_complex_numIdES1_PKS1_PS1_Lb0ELb0ELb0EEv18rocblas_operation_llT0_T1_lllT2_lllib,comdat
.Lfunc_end242:
	.size	_ZL40rocblas_trsm_block_backward_substitutionI19rocblas_complex_numIdES1_PKS1_PS1_Lb0ELb0ELb0EEv18rocblas_operation_llT0_T1_lllT2_lllib, .Lfunc_end242-_ZL40rocblas_trsm_block_backward_substitutionI19rocblas_complex_numIdES1_PKS1_PS1_Lb0ELb0ELb0EEv18rocblas_operation_llT0_T1_lllT2_lllib
                                        ; -- End function
	.set _ZL40rocblas_trsm_block_backward_substitutionI19rocblas_complex_numIdES1_PKS1_PS1_Lb0ELb0ELb0EEv18rocblas_operation_llT0_T1_lllT2_lllib.num_vgpr, 25
	.set _ZL40rocblas_trsm_block_backward_substitutionI19rocblas_complex_numIdES1_PKS1_PS1_Lb0ELb0ELb0EEv18rocblas_operation_llT0_T1_lllT2_lllib.num_agpr, 0
	.set _ZL40rocblas_trsm_block_backward_substitutionI19rocblas_complex_numIdES1_PKS1_PS1_Lb0ELb0ELb0EEv18rocblas_operation_llT0_T1_lllT2_lllib.numbered_sgpr, 38
	.set _ZL40rocblas_trsm_block_backward_substitutionI19rocblas_complex_numIdES1_PKS1_PS1_Lb0ELb0ELb0EEv18rocblas_operation_llT0_T1_lllT2_lllib.num_named_barrier, 0
	.set _ZL40rocblas_trsm_block_backward_substitutionI19rocblas_complex_numIdES1_PKS1_PS1_Lb0ELb0ELb0EEv18rocblas_operation_llT0_T1_lllT2_lllib.private_seg_size, 0
	.set _ZL40rocblas_trsm_block_backward_substitutionI19rocblas_complex_numIdES1_PKS1_PS1_Lb0ELb0ELb0EEv18rocblas_operation_llT0_T1_lllT2_lllib.uses_vcc, 1
	.set _ZL40rocblas_trsm_block_backward_substitutionI19rocblas_complex_numIdES1_PKS1_PS1_Lb0ELb0ELb0EEv18rocblas_operation_llT0_T1_lllT2_lllib.uses_flat_scratch, 0
	.set _ZL40rocblas_trsm_block_backward_substitutionI19rocblas_complex_numIdES1_PKS1_PS1_Lb0ELb0ELb0EEv18rocblas_operation_llT0_T1_lllT2_lllib.has_dyn_sized_stack, 0
	.set _ZL40rocblas_trsm_block_backward_substitutionI19rocblas_complex_numIdES1_PKS1_PS1_Lb0ELb0ELb0EEv18rocblas_operation_llT0_T1_lllT2_lllib.has_recursion, 0
	.set _ZL40rocblas_trsm_block_backward_substitutionI19rocblas_complex_numIdES1_PKS1_PS1_Lb0ELb0ELb0EEv18rocblas_operation_llT0_T1_lllT2_lllib.has_indirect_call, 0
	.section	.AMDGPU.csdata,"",@progbits
; Kernel info:
; codeLenInByte = 2516
; TotalNumSgprs: 42
; NumVgprs: 25
; ScratchSize: 0
; MemoryBound: 1
; FloatMode: 240
; IeeeMode: 1
; LDSByteSize: 0 bytes/workgroup (compile time only)
; SGPRBlocks: 5
; VGPRBlocks: 6
; NumSGPRsForWavesPerEU: 42
; NumVGPRsForWavesPerEU: 25
; Occupancy: 9
; WaveLimiterHint : 1
; COMPUTE_PGM_RSRC2:SCRATCH_EN: 0
; COMPUTE_PGM_RSRC2:USER_SGPR: 6
; COMPUTE_PGM_RSRC2:TRAP_HANDLER: 0
; COMPUTE_PGM_RSRC2:TGID_X_EN: 1
; COMPUTE_PGM_RSRC2:TGID_Y_EN: 1
; COMPUTE_PGM_RSRC2:TGID_Z_EN: 1
; COMPUTE_PGM_RSRC2:TIDIG_COMP_CNT: 1
	.section	.text._ZL39rocblas_trsm_block_forward_substitutionI19rocblas_complex_numIdES1_PKS1_PS1_Lb0ELb0ELb1EEv18rocblas_operation_llT0_T1_lllT2_lllib,"axG",@progbits,_ZL39rocblas_trsm_block_forward_substitutionI19rocblas_complex_numIdES1_PKS1_PS1_Lb0ELb0ELb1EEv18rocblas_operation_llT0_T1_lllT2_lllib,comdat
	.globl	_ZL39rocblas_trsm_block_forward_substitutionI19rocblas_complex_numIdES1_PKS1_PS1_Lb0ELb0ELb1EEv18rocblas_operation_llT0_T1_lllT2_lllib ; -- Begin function _ZL39rocblas_trsm_block_forward_substitutionI19rocblas_complex_numIdES1_PKS1_PS1_Lb0ELb0ELb1EEv18rocblas_operation_llT0_T1_lllT2_lllib
	.p2align	8
	.type	_ZL39rocblas_trsm_block_forward_substitutionI19rocblas_complex_numIdES1_PKS1_PS1_Lb0ELb0ELb1EEv18rocblas_operation_llT0_T1_lllT2_lllib,@function
_ZL39rocblas_trsm_block_forward_substitutionI19rocblas_complex_numIdES1_PKS1_PS1_Lb0ELb0ELb1EEv18rocblas_operation_llT0_T1_lllT2_lllib: ; @_ZL39rocblas_trsm_block_forward_substitutionI19rocblas_complex_numIdES1_PKS1_PS1_Lb0ELb0ELb1EEv18rocblas_operation_llT0_T1_lllT2_lllib
; %bb.0:
	s_load_dwordx16 s[12:27], s[4:5], 0x8
	s_load_dword s9, s[4:5], 0x6c
	s_load_dword s6, s[4:5], 0x7c
	v_mov_b32_e32 v2, v1
	s_waitcnt lgkmcnt(0)
	s_mul_i32 s0, s27, s8
	s_mul_hi_u32 s1, s26, s8
	s_add_i32 s1, s1, s0
	s_mul_i32 s0, s26, s8
	s_lshl_b64 s[0:1], s[0:1], 4
	s_add_u32 s2, s20, s0
	s_addc_u32 s3, s21, s1
	s_lshl_b64 s[0:1], s[22:23], 4
	s_add_u32 s2, s2, s0
	s_addc_u32 s3, s3, s1
	s_add_u32 s10, s4, 0x70
	s_addc_u32 s11, s5, 0
	s_lshr_b32 s6, s6, 16
	s_bitcmp0_b32 s9, 0
	s_cbranch_scc1 .LBB243_7
; %bb.1:
	v_cmp_lt_i64_e64 s[0:1], s[12:13], 1
	s_lshl_b32 s9, s6, 4
	s_add_i32 s20, s9, 0
	s_and_b64 vcc, exec, s[0:1]
	s_cbranch_vccnz .LBB243_6
; %bb.2:
	v_lshlrev_b32_e32 v4, 4, v0
	v_mov_b32_e32 v1, 0
	v_cmp_gt_u64_e64 s[0:1], s[12:13], v[0:1]
	v_mov_b32_e32 v5, s3
	v_add_co_u32_e32 v1, vcc, s2, v4
	v_add_u32_e32 v3, s20, v4
	v_addc_co_u32_e32 v4, vcc, 0, v5, vcc
	s_mov_b32 s9, 0
	s_branch .LBB243_4
.LBB243_3:                              ;   in Loop: Header=BB243_4 Depth=1
	s_or_b64 exec, exec, s[2:3]
	s_add_i32 s9, s9, s6
	s_ashr_i32 s2, s9, 31
	v_mov_b32_e32 v5, s9
	v_mov_b32_e32 v6, s2
	v_cmp_le_i64_e32 vcc, s[12:13], v[5:6]
	s_cbranch_vccnz .LBB243_6
.LBB243_4:                              ; =>This Inner Loop Header: Depth=1
	v_add_u32_e32 v5, s9, v2
	v_cmp_gt_i32_e32 vcc, v0, v5
	s_and_b64 s[22:23], s[0:1], vcc
	s_and_saveexec_b64 s[2:3], s[22:23]
	s_cbranch_execz .LBB243_3
; %bb.5:                                ;   in Loop: Header=BB243_4 Depth=1
	v_ashrrev_i32_e32 v8, 31, v5
	v_mul_lo_u32 v9, s25, v5
	v_mad_u64_u32 v[6:7], s[22:23], s24, v5, 0
	v_mul_lo_u32 v8, s24, v8
	s_load_dword s21, s[10:11], 0xc
	v_add3_u32 v7, v7, v8, v9
	v_lshlrev_b64 v[6:7], 4, v[6:7]
	s_waitcnt lgkmcnt(0)
	s_and_b32 s21, s21, 0xffff
	v_add_co_u32_e32 v6, vcc, v1, v6
	v_addc_co_u32_e32 v7, vcc, v4, v7, vcc
	global_load_dwordx4 v[6:9], v[6:7], off
	v_mul_lo_u32 v5, v5, s21
	v_lshl_add_u32 v5, v5, 4, v3
	s_waitcnt vmcnt(0)
	ds_write2_b64 v5, v[6:7], v[8:9] offset1:1
	s_branch .LBB243_3
.LBB243_6:
	s_mov_b64 s[0:1], src_shared_base
	s_load_dword s0, s[10:11], 0xc
	s_mov_b32 s21, s1
	s_mov_b32 s25, 0
	s_mov_b64 s[2:3], s[20:21]
	s_waitcnt lgkmcnt(0)
	s_and_b32 s24, s0, 0xffff
.LBB243_7:
	s_mul_i32 s7, s7, s6
	v_add_u32_e32 v3, s7, v2
	v_mov_b32_e32 v4, 0
	v_cmp_gt_i64_e32 vcc, s[14:15], v[3:4]
	s_and_saveexec_b64 s[0:1], vcc
	s_cbranch_execz .LBB243_17
; %bb.8:
	v_mov_b32_e32 v1, v4
	v_cmp_gt_i64_e32 vcc, s[12:13], v[0:1]
	s_and_b64 exec, exec, vcc
	s_cbranch_execz .LBB243_17
; %bb.9:
	s_load_dwordx8 s[36:43], s[4:5], 0x48
	v_lshlrev_b32_e32 v9, 4, v0
	s_waitcnt lgkmcnt(0)
	s_mul_i32 s1, s43, s8
	s_mul_hi_u32 s9, s42, s8
	v_mad_u64_u32 v[4:5], s[6:7], s40, v3, 0
	s_mul_i32 s0, s42, s8
	s_add_i32 s1, s9, s1
	s_lshl_b64 s[0:1], s[0:1], 4
	s_add_u32 s6, s36, s0
	s_addc_u32 s7, s37, s1
	v_mad_u64_u32 v[5:6], s[0:1], s41, v3, v[5:6]
	s_lshl_b64 s[0:1], s[38:39], 4
	s_add_u32 s0, s6, s0
	v_lshlrev_b64 v[3:4], 4, v[4:5]
	s_addc_u32 s1, s7, s1
	v_mov_b32_e32 v5, s1
	v_add_co_u32_e32 v3, vcc, s0, v3
	v_addc_co_u32_e32 v4, vcc, v5, v4, vcc
	v_add_co_u32_e32 v7, vcc, v3, v9
	v_addc_co_u32_e32 v8, vcc, 0, v4, vcc
	global_load_dwordx4 v[10:13], v[7:8], off
	v_cmp_lt_u64_e64 s[0:1], s[12:13], 2
	s_and_b64 vcc, exec, s[0:1]
	s_waitcnt vmcnt(0)
	v_mul_f64 v[3:4], s[18:19], v[12:13]
	v_mul_f64 v[5:6], s[16:17], v[12:13]
	v_fma_f64 v[3:4], s[16:17], v[10:11], -v[3:4]
	v_fma_f64 v[5:6], s[18:19], v[10:11], v[5:6]
	s_cbranch_vccnz .LBB243_16
; %bb.10:
	s_load_dword s0, s[4:5], 0x0
	v_mov_b32_e32 v10, s3
	v_add_co_u32_e32 v9, vcc, s2, v9
	v_addc_co_u32_e32 v10, vcc, 0, v10, vcc
	s_waitcnt lgkmcnt(0)
	s_cmpk_eq_i32 s0, 0x71
	s_cselect_b64 vcc, -1, 0
	s_add_u32 s2, s12, -1
	v_lshl_add_u32 v2, v2, 4, 0
	s_addc_u32 s3, s13, -1
	s_lshl_b64 s[4:5], s[24:25], 4
	s_mov_b64 s[6:7], 0
	s_branch .LBB243_12
.LBB243_11:                             ;   in Loop: Header=BB243_12 Depth=1
	s_or_b64 exec, exec, s[8:9]
	s_add_u32 s6, s6, 1
	s_addc_u32 s7, s7, 0
	v_mov_b32_e32 v11, s5
	v_add_co_u32_e64 v9, s[0:1], s4, v9
	s_cmp_eq_u64 s[2:3], s[6:7]
	v_addc_co_u32_e64 v10, s[0:1], v10, v11, s[0:1]
	s_cbranch_scc1 .LBB243_16
.LBB243_12:                             ; =>This Inner Loop Header: Depth=1
	v_cmp_eq_u64_e64 s[0:1], s[6:7], v[0:1]
	s_barrier
	s_and_saveexec_b64 s[8:9], s[0:1]
; %bb.13:                               ;   in Loop: Header=BB243_12 Depth=1
	ds_write2_b64 v2, v[3:4], v[5:6] offset1:1
; %bb.14:                               ;   in Loop: Header=BB243_12 Depth=1
	s_or_b64 exec, exec, s[8:9]
	v_cmp_lt_u64_e64 s[0:1], s[6:7], v[0:1]
	s_waitcnt lgkmcnt(0)
	s_barrier
	s_and_saveexec_b64 s[8:9], s[0:1]
	s_cbranch_execz .LBB243_11
; %bb.15:                               ;   in Loop: Header=BB243_12 Depth=1
	flat_load_dwordx4 v[11:14], v[9:10]
	ds_read2_b64 v[15:18], v2 offset1:1
	s_waitcnt vmcnt(0) lgkmcnt(0)
	v_xor_b32_e32 v19, 0x80000000, v14
	v_cndmask_b32_e32 v14, v14, v19, vcc
	v_mul_f64 v[19:20], v[13:14], v[17:18]
	v_mul_f64 v[17:18], v[11:12], v[17:18]
	v_fma_f64 v[11:12], v[11:12], v[15:16], -v[19:20]
	v_fma_f64 v[13:14], v[13:14], v[15:16], v[17:18]
	v_add_f64 v[3:4], v[3:4], -v[11:12]
	v_add_f64 v[5:6], v[5:6], -v[13:14]
	s_branch .LBB243_11
.LBB243_16:
	global_store_dwordx4 v[7:8], v[3:6], off
.LBB243_17:
	s_endpgm
	.section	.rodata,"a",@progbits
	.p2align	6, 0x0
	.amdhsa_kernel _ZL39rocblas_trsm_block_forward_substitutionI19rocblas_complex_numIdES1_PKS1_PS1_Lb0ELb0ELb1EEv18rocblas_operation_llT0_T1_lllT2_lllib
		.amdhsa_group_segment_fixed_size 0
		.amdhsa_private_segment_fixed_size 0
		.amdhsa_kernarg_size 368
		.amdhsa_user_sgpr_count 6
		.amdhsa_user_sgpr_private_segment_buffer 1
		.amdhsa_user_sgpr_dispatch_ptr 0
		.amdhsa_user_sgpr_queue_ptr 0
		.amdhsa_user_sgpr_kernarg_segment_ptr 1
		.amdhsa_user_sgpr_dispatch_id 0
		.amdhsa_user_sgpr_flat_scratch_init 0
		.amdhsa_user_sgpr_private_segment_size 0
		.amdhsa_uses_dynamic_stack 0
		.amdhsa_system_sgpr_private_segment_wavefront_offset 0
		.amdhsa_system_sgpr_workgroup_id_x 1
		.amdhsa_system_sgpr_workgroup_id_y 1
		.amdhsa_system_sgpr_workgroup_id_z 1
		.amdhsa_system_sgpr_workgroup_info 0
		.amdhsa_system_vgpr_workitem_id 1
		.amdhsa_next_free_vgpr 21
		.amdhsa_next_free_sgpr 44
		.amdhsa_reserve_vcc 1
		.amdhsa_reserve_flat_scratch 0
		.amdhsa_float_round_mode_32 0
		.amdhsa_float_round_mode_16_64 0
		.amdhsa_float_denorm_mode_32 3
		.amdhsa_float_denorm_mode_16_64 3
		.amdhsa_dx10_clamp 1
		.amdhsa_ieee_mode 1
		.amdhsa_fp16_overflow 0
		.amdhsa_exception_fp_ieee_invalid_op 0
		.amdhsa_exception_fp_denorm_src 0
		.amdhsa_exception_fp_ieee_div_zero 0
		.amdhsa_exception_fp_ieee_overflow 0
		.amdhsa_exception_fp_ieee_underflow 0
		.amdhsa_exception_fp_ieee_inexact 0
		.amdhsa_exception_int_div_zero 0
	.end_amdhsa_kernel
	.section	.text._ZL39rocblas_trsm_block_forward_substitutionI19rocblas_complex_numIdES1_PKS1_PS1_Lb0ELb0ELb1EEv18rocblas_operation_llT0_T1_lllT2_lllib,"axG",@progbits,_ZL39rocblas_trsm_block_forward_substitutionI19rocblas_complex_numIdES1_PKS1_PS1_Lb0ELb0ELb1EEv18rocblas_operation_llT0_T1_lllT2_lllib,comdat
.Lfunc_end243:
	.size	_ZL39rocblas_trsm_block_forward_substitutionI19rocblas_complex_numIdES1_PKS1_PS1_Lb0ELb0ELb1EEv18rocblas_operation_llT0_T1_lllT2_lllib, .Lfunc_end243-_ZL39rocblas_trsm_block_forward_substitutionI19rocblas_complex_numIdES1_PKS1_PS1_Lb0ELb0ELb1EEv18rocblas_operation_llT0_T1_lllT2_lllib
                                        ; -- End function
	.set _ZL39rocblas_trsm_block_forward_substitutionI19rocblas_complex_numIdES1_PKS1_PS1_Lb0ELb0ELb1EEv18rocblas_operation_llT0_T1_lllT2_lllib.num_vgpr, 21
	.set _ZL39rocblas_trsm_block_forward_substitutionI19rocblas_complex_numIdES1_PKS1_PS1_Lb0ELb0ELb1EEv18rocblas_operation_llT0_T1_lllT2_lllib.num_agpr, 0
	.set _ZL39rocblas_trsm_block_forward_substitutionI19rocblas_complex_numIdES1_PKS1_PS1_Lb0ELb0ELb1EEv18rocblas_operation_llT0_T1_lllT2_lllib.numbered_sgpr, 44
	.set _ZL39rocblas_trsm_block_forward_substitutionI19rocblas_complex_numIdES1_PKS1_PS1_Lb0ELb0ELb1EEv18rocblas_operation_llT0_T1_lllT2_lllib.num_named_barrier, 0
	.set _ZL39rocblas_trsm_block_forward_substitutionI19rocblas_complex_numIdES1_PKS1_PS1_Lb0ELb0ELb1EEv18rocblas_operation_llT0_T1_lllT2_lllib.private_seg_size, 0
	.set _ZL39rocblas_trsm_block_forward_substitutionI19rocblas_complex_numIdES1_PKS1_PS1_Lb0ELb0ELb1EEv18rocblas_operation_llT0_T1_lllT2_lllib.uses_vcc, 1
	.set _ZL39rocblas_trsm_block_forward_substitutionI19rocblas_complex_numIdES1_PKS1_PS1_Lb0ELb0ELb1EEv18rocblas_operation_llT0_T1_lllT2_lllib.uses_flat_scratch, 0
	.set _ZL39rocblas_trsm_block_forward_substitutionI19rocblas_complex_numIdES1_PKS1_PS1_Lb0ELb0ELb1EEv18rocblas_operation_llT0_T1_lllT2_lllib.has_dyn_sized_stack, 0
	.set _ZL39rocblas_trsm_block_forward_substitutionI19rocblas_complex_numIdES1_PKS1_PS1_Lb0ELb0ELb1EEv18rocblas_operation_llT0_T1_lllT2_lllib.has_recursion, 0
	.set _ZL39rocblas_trsm_block_forward_substitutionI19rocblas_complex_numIdES1_PKS1_PS1_Lb0ELb0ELb1EEv18rocblas_operation_llT0_T1_lllT2_lllib.has_indirect_call, 0
	.section	.AMDGPU.csdata,"",@progbits
; Kernel info:
; codeLenInByte = 804
; TotalNumSgprs: 48
; NumVgprs: 21
; ScratchSize: 0
; MemoryBound: 0
; FloatMode: 240
; IeeeMode: 1
; LDSByteSize: 0 bytes/workgroup (compile time only)
; SGPRBlocks: 5
; VGPRBlocks: 5
; NumSGPRsForWavesPerEU: 48
; NumVGPRsForWavesPerEU: 21
; Occupancy: 10
; WaveLimiterHint : 1
; COMPUTE_PGM_RSRC2:SCRATCH_EN: 0
; COMPUTE_PGM_RSRC2:USER_SGPR: 6
; COMPUTE_PGM_RSRC2:TRAP_HANDLER: 0
; COMPUTE_PGM_RSRC2:TGID_X_EN: 1
; COMPUTE_PGM_RSRC2:TGID_Y_EN: 1
; COMPUTE_PGM_RSRC2:TGID_Z_EN: 1
; COMPUTE_PGM_RSRC2:TIDIG_COMP_CNT: 1
	.section	.text._ZL40rocblas_trsm_block_backward_substitutionI19rocblas_complex_numIdES1_PKS1_PS1_Lb0ELb0ELb1EEv18rocblas_operation_llT0_T1_lllT2_lllib,"axG",@progbits,_ZL40rocblas_trsm_block_backward_substitutionI19rocblas_complex_numIdES1_PKS1_PS1_Lb0ELb0ELb1EEv18rocblas_operation_llT0_T1_lllT2_lllib,comdat
	.globl	_ZL40rocblas_trsm_block_backward_substitutionI19rocblas_complex_numIdES1_PKS1_PS1_Lb0ELb0ELb1EEv18rocblas_operation_llT0_T1_lllT2_lllib ; -- Begin function _ZL40rocblas_trsm_block_backward_substitutionI19rocblas_complex_numIdES1_PKS1_PS1_Lb0ELb0ELb1EEv18rocblas_operation_llT0_T1_lllT2_lllib
	.p2align	8
	.type	_ZL40rocblas_trsm_block_backward_substitutionI19rocblas_complex_numIdES1_PKS1_PS1_Lb0ELb0ELb1EEv18rocblas_operation_llT0_T1_lllT2_lllib,@function
_ZL40rocblas_trsm_block_backward_substitutionI19rocblas_complex_numIdES1_PKS1_PS1_Lb0ELb0ELb1EEv18rocblas_operation_llT0_T1_lllT2_lllib: ; @_ZL40rocblas_trsm_block_backward_substitutionI19rocblas_complex_numIdES1_PKS1_PS1_Lb0ELb0ELb1EEv18rocblas_operation_llT0_T1_lllT2_lllib
; %bb.0:
	s_load_dwordx16 s[12:27], s[4:5], 0x8
	s_load_dword s9, s[4:5], 0x6c
	s_load_dword s6, s[4:5], 0x7c
	v_mov_b32_e32 v2, v1
	s_waitcnt lgkmcnt(0)
	s_mul_i32 s0, s27, s8
	s_mul_hi_u32 s1, s26, s8
	s_add_i32 s1, s1, s0
	s_mul_i32 s0, s26, s8
	s_lshl_b64 s[0:1], s[0:1], 4
	s_add_u32 s2, s20, s0
	s_addc_u32 s3, s21, s1
	s_lshl_b64 s[0:1], s[22:23], 4
	s_add_u32 s2, s2, s0
	s_addc_u32 s3, s3, s1
	s_add_u32 s22, s4, 0x70
	s_addc_u32 s23, s5, 0
	s_lshr_b32 s6, s6, 16
	s_bitcmp0_b32 s9, 0
	s_mov_b64 s[20:21], 1
	s_cbranch_scc1 .LBB244_6
; %bb.1:
	s_lshl_b32 s0, s6, 4
	s_add_i32 s26, s0, 0
	v_cmp_lt_i64_e64 s[0:1], s[12:13], 1
	s_mov_b64 s[10:11], 1
	s_and_b64 vcc, exec, s[0:1]
	s_cbranch_vccnz .LBB244_7
; %bb.2:
	v_mad_u64_u32 v[3:4], s[0:1], s24, v0, 0
	v_lshl_add_u32 v5, v0, 4, s26
	s_mov_b32 s9, 0
	v_mov_b32_e32 v1, v4
	v_mad_u64_u32 v[6:7], s[0:1], s25, v0, v[1:2]
	v_mov_b32_e32 v1, 0
	v_mov_b32_e32 v7, s3
	;; [unrolled: 1-line block ×3, first 2 shown]
	v_lshlrev_b64 v[3:4], 4, v[3:4]
	v_cmp_gt_u64_e64 s[0:1], s[12:13], v[0:1]
	v_add_co_u32_e32 v1, vcc, s2, v3
	v_addc_co_u32_e32 v6, vcc, v7, v4, vcc
	s_branch .LBB244_4
.LBB244_3:                              ;   in Loop: Header=BB244_4 Depth=1
	s_or_b64 exec, exec, s[2:3]
	s_add_i32 s9, s9, s6
	s_ashr_i32 s2, s9, 31
	v_mov_b32_e32 v3, s9
	v_mov_b32_e32 v4, s2
	v_cmp_le_i64_e32 vcc, s[12:13], v[3:4]
	s_cbranch_vccnz .LBB244_7
.LBB244_4:                              ; =>This Inner Loop Header: Depth=1
	v_add_u32_e32 v3, s9, v2
	v_ashrrev_i32_e32 v4, 31, v3
	v_cmp_gt_i64_e32 vcc, s[12:13], v[3:4]
	v_cmp_lt_i32_e64 s[2:3], v0, v3
	s_and_b64 s[2:3], s[2:3], vcc
	s_and_b64 s[20:21], s[0:1], s[2:3]
	s_and_saveexec_b64 s[2:3], s[20:21]
	s_cbranch_execz .LBB244_3
; %bb.5:                                ;   in Loop: Header=BB244_4 Depth=1
	v_lshlrev_b64 v[7:8], 4, v[3:4]
	s_load_dword s20, s[22:23], 0xc
	v_add_co_u32_e32 v7, vcc, v1, v7
	v_addc_co_u32_e32 v8, vcc, v6, v8, vcc
	global_load_dwordx4 v[7:10], v[7:8], off
	s_waitcnt lgkmcnt(0)
	s_and_b32 s20, s20, 0xffff
	v_mul_lo_u32 v3, v3, s20
	v_lshl_add_u32 v3, v3, 4, v5
	s_waitcnt vmcnt(0)
	ds_write2_b64 v3, v[7:8], v[9:10] offset1:1
	s_branch .LBB244_3
.LBB244_6:
	s_mov_b64 s[10:11], s[24:25]
	s_branch .LBB244_8
.LBB244_7:
	s_mov_b64 s[0:1], src_shared_base
	s_load_dword s0, s[22:23], 0xc
	s_mov_b32 s27, s1
	s_mov_b64 s[2:3], s[26:27]
	s_waitcnt lgkmcnt(0)
	s_and_b32 s20, s0, 0xffff
.LBB244_8:
	s_mul_i32 s7, s7, s6
	v_add_u32_e32 v3, s7, v2
	v_mov_b32_e32 v4, 0
	v_cmp_gt_i64_e32 vcc, s[14:15], v[3:4]
	s_and_saveexec_b64 s[0:1], vcc
	s_cbranch_execz .LBB244_19
; %bb.9:
	v_mov_b32_e32 v1, v4
	v_cmp_gt_i64_e32 vcc, s[12:13], v[0:1]
	s_and_b64 exec, exec, vcc
	s_cbranch_execz .LBB244_19
; %bb.10:
	s_load_dwordx8 s[24:31], s[4:5], 0x48
	v_lshlrev_b64 v[3:4], 4, v[3:4]
	s_waitcnt lgkmcnt(0)
	s_mul_i32 s1, s31, s8
	s_mul_hi_u32 s9, s30, s8
	v_mad_u64_u32 v[5:6], s[6:7], s28, v0, 0
	s_mul_i32 s0, s30, s8
	s_add_i32 s1, s9, s1
	s_lshl_b64 s[0:1], s[0:1], 4
	s_add_u32 s6, s24, s0
	s_addc_u32 s7, s25, s1
	v_mad_u64_u32 v[6:7], s[0:1], s29, v0, v[6:7]
	s_lshl_b64 s[0:1], s[26:27], 4
	s_add_u32 s0, s6, s0
	v_lshlrev_b64 v[5:6], 4, v[5:6]
	s_addc_u32 s1, s7, s1
	v_mov_b32_e32 v7, s1
	v_add_co_u32_e32 v5, vcc, s0, v5
	v_addc_co_u32_e32 v6, vcc, v7, v6, vcc
	v_add_co_u32_e32 v7, vcc, v5, v3
	v_addc_co_u32_e32 v8, vcc, v6, v4, vcc
	global_load_dwordx4 v[9:12], v[7:8], off
	v_cmp_lt_u64_e64 s[0:1], s[12:13], 2
	s_and_b64 vcc, exec, s[0:1]
	s_waitcnt vmcnt(0)
	v_mul_f64 v[3:4], s[18:19], v[11:12]
	v_mul_f64 v[5:6], s[16:17], v[11:12]
	v_fma_f64 v[3:4], s[16:17], v[9:10], -v[3:4]
	v_fma_f64 v[5:6], s[18:19], v[9:10], v[5:6]
	s_cbranch_vccnz .LBB244_18
; %bb.11:
	s_load_dword s4, s[4:5], 0x0
	v_mad_u64_u32 v[9:10], s[0:1], s10, v0, 0
	v_lshl_add_u32 v2, v2, 4, 0
	v_mad_u64_u32 v[10:11], s[0:1], s11, v0, v[10:11]
	s_waitcnt lgkmcnt(0)
	s_cmpk_eq_i32 s4, 0x71
	s_cselect_b64 s[0:1], -1, 0
	s_add_u32 s4, s12, -1
	s_addc_u32 s5, s13, -1
	s_mul_i32 s6, s20, s5
	s_mul_hi_u32 s7, s20, s4
	s_add_i32 s7, s7, s6
	s_mul_i32 s6, s20, s4
	s_lshl_b64 s[6:7], s[6:7], 4
	v_lshlrev_b64 v[9:10], 4, v[9:10]
	s_add_u32 s2, s2, s6
	s_addc_u32 s3, s3, s7
	v_add_co_u32_e32 v9, vcc, s2, v9
	s_lshl_b32 s2, s20, 4
	v_mov_b32_e32 v11, s3
	s_sub_u32 s6, 0, s2
	v_addc_co_u32_e32 v10, vcc, v11, v10, vcc
	s_subb_u32 s7, 0, 0
.LBB244_12:                             ; =>This Inner Loop Header: Depth=1
	v_cmp_eq_u64_e32 vcc, s[4:5], v[0:1]
	s_barrier
	s_and_saveexec_b64 s[2:3], vcc
; %bb.13:                               ;   in Loop: Header=BB244_12 Depth=1
	ds_write2_b64 v2, v[3:4], v[5:6] offset1:1
; %bb.14:                               ;   in Loop: Header=BB244_12 Depth=1
	s_or_b64 exec, exec, s[2:3]
	v_cmp_gt_i64_e32 vcc, s[4:5], v[0:1]
	s_waitcnt lgkmcnt(0)
	s_barrier
	s_and_saveexec_b64 s[2:3], vcc
	s_cbranch_execz .LBB244_16
; %bb.15:                               ;   in Loop: Header=BB244_12 Depth=1
	flat_load_dwordx4 v[11:14], v[9:10]
	ds_read2_b64 v[15:18], v2 offset1:1
	s_waitcnt vmcnt(0) lgkmcnt(0)
	v_xor_b32_e32 v19, 0x80000000, v14
	v_cndmask_b32_e64 v14, v14, v19, s[0:1]
	v_mul_f64 v[19:20], v[13:14], v[17:18]
	v_mul_f64 v[17:18], v[11:12], v[17:18]
	v_fma_f64 v[11:12], v[11:12], v[15:16], -v[19:20]
	v_fma_f64 v[13:14], v[13:14], v[15:16], v[17:18]
	v_add_f64 v[3:4], v[3:4], -v[11:12]
	v_add_f64 v[5:6], v[5:6], -v[13:14]
.LBB244_16:                             ;   in Loop: Header=BB244_12 Depth=1
	s_or_b64 exec, exec, s[2:3]
	s_add_u32 s2, s4, -1
	s_addc_u32 s3, s5, -1
	s_add_u32 s4, s4, 1
	s_addc_u32 s5, s5, 0
	v_mov_b32_e32 v11, s7
	v_cmp_lt_u64_e64 s[4:5], s[4:5], 3
	v_add_co_u32_e32 v9, vcc, s6, v9
	v_addc_co_u32_e32 v10, vcc, v10, v11, vcc
	s_and_b64 vcc, exec, s[4:5]
	s_cbranch_vccnz .LBB244_18
; %bb.17:                               ;   in Loop: Header=BB244_12 Depth=1
	s_mov_b64 s[4:5], s[2:3]
	s_branch .LBB244_12
.LBB244_18:
	global_store_dwordx4 v[7:8], v[3:6], off
.LBB244_19:
	s_endpgm
	.section	.rodata,"a",@progbits
	.p2align	6, 0x0
	.amdhsa_kernel _ZL40rocblas_trsm_block_backward_substitutionI19rocblas_complex_numIdES1_PKS1_PS1_Lb0ELb0ELb1EEv18rocblas_operation_llT0_T1_lllT2_lllib
		.amdhsa_group_segment_fixed_size 0
		.amdhsa_private_segment_fixed_size 0
		.amdhsa_kernarg_size 368
		.amdhsa_user_sgpr_count 6
		.amdhsa_user_sgpr_private_segment_buffer 1
		.amdhsa_user_sgpr_dispatch_ptr 0
		.amdhsa_user_sgpr_queue_ptr 0
		.amdhsa_user_sgpr_kernarg_segment_ptr 1
		.amdhsa_user_sgpr_dispatch_id 0
		.amdhsa_user_sgpr_flat_scratch_init 0
		.amdhsa_user_sgpr_private_segment_size 0
		.amdhsa_uses_dynamic_stack 0
		.amdhsa_system_sgpr_private_segment_wavefront_offset 0
		.amdhsa_system_sgpr_workgroup_id_x 1
		.amdhsa_system_sgpr_workgroup_id_y 1
		.amdhsa_system_sgpr_workgroup_id_z 1
		.amdhsa_system_sgpr_workgroup_info 0
		.amdhsa_system_vgpr_workitem_id 1
		.amdhsa_next_free_vgpr 21
		.amdhsa_next_free_sgpr 32
		.amdhsa_reserve_vcc 1
		.amdhsa_reserve_flat_scratch 0
		.amdhsa_float_round_mode_32 0
		.amdhsa_float_round_mode_16_64 0
		.amdhsa_float_denorm_mode_32 3
		.amdhsa_float_denorm_mode_16_64 3
		.amdhsa_dx10_clamp 1
		.amdhsa_ieee_mode 1
		.amdhsa_fp16_overflow 0
		.amdhsa_exception_fp_ieee_invalid_op 0
		.amdhsa_exception_fp_denorm_src 0
		.amdhsa_exception_fp_ieee_div_zero 0
		.amdhsa_exception_fp_ieee_overflow 0
		.amdhsa_exception_fp_ieee_underflow 0
		.amdhsa_exception_fp_ieee_inexact 0
		.amdhsa_exception_int_div_zero 0
	.end_amdhsa_kernel
	.section	.text._ZL40rocblas_trsm_block_backward_substitutionI19rocblas_complex_numIdES1_PKS1_PS1_Lb0ELb0ELb1EEv18rocblas_operation_llT0_T1_lllT2_lllib,"axG",@progbits,_ZL40rocblas_trsm_block_backward_substitutionI19rocblas_complex_numIdES1_PKS1_PS1_Lb0ELb0ELb1EEv18rocblas_operation_llT0_T1_lllT2_lllib,comdat
.Lfunc_end244:
	.size	_ZL40rocblas_trsm_block_backward_substitutionI19rocblas_complex_numIdES1_PKS1_PS1_Lb0ELb0ELb1EEv18rocblas_operation_llT0_T1_lllT2_lllib, .Lfunc_end244-_ZL40rocblas_trsm_block_backward_substitutionI19rocblas_complex_numIdES1_PKS1_PS1_Lb0ELb0ELb1EEv18rocblas_operation_llT0_T1_lllT2_lllib
                                        ; -- End function
	.set _ZL40rocblas_trsm_block_backward_substitutionI19rocblas_complex_numIdES1_PKS1_PS1_Lb0ELb0ELb1EEv18rocblas_operation_llT0_T1_lllT2_lllib.num_vgpr, 21
	.set _ZL40rocblas_trsm_block_backward_substitutionI19rocblas_complex_numIdES1_PKS1_PS1_Lb0ELb0ELb1EEv18rocblas_operation_llT0_T1_lllT2_lllib.num_agpr, 0
	.set _ZL40rocblas_trsm_block_backward_substitutionI19rocblas_complex_numIdES1_PKS1_PS1_Lb0ELb0ELb1EEv18rocblas_operation_llT0_T1_lllT2_lllib.numbered_sgpr, 32
	.set _ZL40rocblas_trsm_block_backward_substitutionI19rocblas_complex_numIdES1_PKS1_PS1_Lb0ELb0ELb1EEv18rocblas_operation_llT0_T1_lllT2_lllib.num_named_barrier, 0
	.set _ZL40rocblas_trsm_block_backward_substitutionI19rocblas_complex_numIdES1_PKS1_PS1_Lb0ELb0ELb1EEv18rocblas_operation_llT0_T1_lllT2_lllib.private_seg_size, 0
	.set _ZL40rocblas_trsm_block_backward_substitutionI19rocblas_complex_numIdES1_PKS1_PS1_Lb0ELb0ELb1EEv18rocblas_operation_llT0_T1_lllT2_lllib.uses_vcc, 1
	.set _ZL40rocblas_trsm_block_backward_substitutionI19rocblas_complex_numIdES1_PKS1_PS1_Lb0ELb0ELb1EEv18rocblas_operation_llT0_T1_lllT2_lllib.uses_flat_scratch, 0
	.set _ZL40rocblas_trsm_block_backward_substitutionI19rocblas_complex_numIdES1_PKS1_PS1_Lb0ELb0ELb1EEv18rocblas_operation_llT0_T1_lllT2_lllib.has_dyn_sized_stack, 0
	.set _ZL40rocblas_trsm_block_backward_substitutionI19rocblas_complex_numIdES1_PKS1_PS1_Lb0ELb0ELb1EEv18rocblas_operation_llT0_T1_lllT2_lllib.has_recursion, 0
	.set _ZL40rocblas_trsm_block_backward_substitutionI19rocblas_complex_numIdES1_PKS1_PS1_Lb0ELb0ELb1EEv18rocblas_operation_llT0_T1_lllT2_lllib.has_indirect_call, 0
	.section	.AMDGPU.csdata,"",@progbits
; Kernel info:
; codeLenInByte = 892
; TotalNumSgprs: 36
; NumVgprs: 21
; ScratchSize: 0
; MemoryBound: 0
; FloatMode: 240
; IeeeMode: 1
; LDSByteSize: 0 bytes/workgroup (compile time only)
; SGPRBlocks: 4
; VGPRBlocks: 5
; NumSGPRsForWavesPerEU: 36
; NumVGPRsForWavesPerEU: 21
; Occupancy: 10
; WaveLimiterHint : 1
; COMPUTE_PGM_RSRC2:SCRATCH_EN: 0
; COMPUTE_PGM_RSRC2:USER_SGPR: 6
; COMPUTE_PGM_RSRC2:TRAP_HANDLER: 0
; COMPUTE_PGM_RSRC2:TGID_X_EN: 1
; COMPUTE_PGM_RSRC2:TGID_Y_EN: 1
; COMPUTE_PGM_RSRC2:TGID_Z_EN: 1
; COMPUTE_PGM_RSRC2:TIDIG_COMP_CNT: 1
	.section	.text._ZL39rocblas_trsm_block_forward_substitutionI19rocblas_complex_numIdES1_PKS1_PS1_Lb0ELb1ELb0EEv18rocblas_operation_llT0_T1_lllT2_lllib,"axG",@progbits,_ZL39rocblas_trsm_block_forward_substitutionI19rocblas_complex_numIdES1_PKS1_PS1_Lb0ELb1ELb0EEv18rocblas_operation_llT0_T1_lllT2_lllib,comdat
	.globl	_ZL39rocblas_trsm_block_forward_substitutionI19rocblas_complex_numIdES1_PKS1_PS1_Lb0ELb1ELb0EEv18rocblas_operation_llT0_T1_lllT2_lllib ; -- Begin function _ZL39rocblas_trsm_block_forward_substitutionI19rocblas_complex_numIdES1_PKS1_PS1_Lb0ELb1ELb0EEv18rocblas_operation_llT0_T1_lllT2_lllib
	.p2align	8
	.type	_ZL39rocblas_trsm_block_forward_substitutionI19rocblas_complex_numIdES1_PKS1_PS1_Lb0ELb1ELb0EEv18rocblas_operation_llT0_T1_lllT2_lllib,@function
_ZL39rocblas_trsm_block_forward_substitutionI19rocblas_complex_numIdES1_PKS1_PS1_Lb0ELb1ELb0EEv18rocblas_operation_llT0_T1_lllT2_lllib: ; @_ZL39rocblas_trsm_block_forward_substitutionI19rocblas_complex_numIdES1_PKS1_PS1_Lb0ELb1ELb0EEv18rocblas_operation_llT0_T1_lllT2_lllib
; %bb.0:
	s_load_dword s0, s[4:5], 0x6c
	s_load_dwordx16 s[12:27], s[4:5], 0x8
	s_load_dword s6, s[4:5], 0x7c
	v_mov_b32_e32 v2, v1
	s_waitcnt lgkmcnt(0)
	s_bitcmp1_b32 s0, 0
	s_cselect_b64 s[0:1], -1, 0
	s_xor_b64 s[2:3], s[0:1], -1
	s_mul_i32 s0, s27, s8
	s_mul_hi_u32 s1, s26, s8
	s_add_i32 s1, s1, s0
	s_mul_i32 s0, s26, s8
	s_lshl_b64 s[0:1], s[0:1], 4
	s_add_u32 s9, s20, s0
	s_addc_u32 s11, s21, s1
	s_lshl_b64 s[0:1], s[22:23], 4
	s_add_u32 s10, s9, s0
	s_addc_u32 s11, s11, s1
	s_add_u32 s20, s4, 0x70
	s_addc_u32 s21, s5, 0
	s_lshr_b32 s6, s6, 16
	s_and_b64 vcc, exec, s[2:3]
	s_cbranch_vccnz .LBB245_15
; %bb.1:
	v_cmp_lt_i64_e64 s[0:1], s[12:13], 1
	s_lshl_b32 s9, s6, 4
	s_add_i32 s22, s9, 0
	s_and_b64 vcc, exec, s[0:1]
	s_cbranch_vccnz .LBB245_14
; %bb.2:
	v_mad_u64_u32 v[3:4], s[0:1], s24, v0, 0
	v_mov_b32_e32 v1, 0
	v_cmp_le_u64_e32 vcc, s[12:13], v[0:1]
	v_mov_b32_e32 v1, v4
	v_mad_u64_u32 v[4:5], s[0:1], s25, v0, v[1:2]
	v_lshlrev_b32_e32 v6, 4, v0
	v_mov_b32_e32 v7, s11
	v_add_co_u32_e64 v1, s[0:1], s10, v6
	v_lshlrev_b64 v[3:4], 4, v[3:4]
	v_addc_co_u32_e64 v14, s[0:1], 0, v7, s[0:1]
	v_add_co_u32_e64 v7, s[0:1], v1, v3
	v_addc_co_u32_e64 v8, s[0:1], v14, v4, s[0:1]
	v_add_u32_e32 v13, s22, v6
	s_xor_b64 s[0:1], vcc, -1
	s_mov_b32 s9, s6
	v_mov_b32_e32 v15, v2
	s_branch .LBB245_6
.LBB245_3:                              ;   in Loop: Header=BB245_6 Depth=1
	s_or_b64 exec, exec, s[28:29]
	s_load_dword s23, s[20:21], 0xc
	s_waitcnt lgkmcnt(0)
	s_and_b32 s23, s23, 0xffff
	v_mul_u32_u24_e32 v3, s23, v0
	v_lshl_add_u32 v3, v3, 4, v13
	ds_write2_b64 v3, v[9:10], v[11:12] offset1:1
.LBB245_4:                              ;   in Loop: Header=BB245_6 Depth=1
	s_or_b64 exec, exec, s[26:27]
.LBB245_5:                              ;   in Loop: Header=BB245_6 Depth=1
	s_or_b64 exec, exec, s[10:11]
	s_ashr_i32 s10, s9, 31
	v_mov_b32_e32 v3, s9
	v_mov_b32_e32 v4, s10
	v_cmp_le_i64_e32 vcc, s[12:13], v[3:4]
	v_add_u32_e32 v15, s6, v15
	s_add_i32 s9, s9, s6
	s_cbranch_vccnz .LBB245_14
.LBB245_6:                              ; =>This Inner Loop Header: Depth=1
	v_cmp_gt_i32_e32 vcc, v0, v15
	s_and_b64 s[10:11], s[0:1], vcc
	s_and_saveexec_b64 s[26:27], s[10:11]
	s_xor_b64 s[10:11], exec, s[26:27]
	s_cbranch_execz .LBB245_8
; %bb.7:                                ;   in Loop: Header=BB245_6 Depth=1
	v_ashrrev_i32_e32 v5, 31, v15
	v_mul_lo_u32 v6, s25, v15
	v_mad_u64_u32 v[3:4], s[26:27], s24, v15, 0
	v_mul_lo_u32 v5, s24, v5
	s_load_dword s23, s[20:21], 0xc
	v_add3_u32 v4, v4, v5, v6
	v_lshlrev_b64 v[3:4], 4, v[3:4]
	s_waitcnt lgkmcnt(0)
	s_and_b32 s23, s23, 0xffff
	v_add_co_u32_e32 v3, vcc, v1, v3
	v_addc_co_u32_e32 v4, vcc, v14, v4, vcc
	global_load_dwordx4 v[3:6], v[3:4], off
	v_mul_lo_u32 v9, v15, s23
	v_lshl_add_u32 v9, v9, 4, v13
	s_waitcnt vmcnt(0)
	ds_write2_b64 v9, v[3:4], v[5:6] offset1:1
.LBB245_8:                              ;   in Loop: Header=BB245_6 Depth=1
	s_andn2_saveexec_b64 s[10:11], s[10:11]
	s_cbranch_execz .LBB245_5
; %bb.9:                                ;   in Loop: Header=BB245_6 Depth=1
	v_cmp_eq_u32_e32 vcc, v0, v15
	s_and_b64 s[28:29], s[0:1], vcc
	s_and_saveexec_b64 s[26:27], s[28:29]
	s_cbranch_execz .LBB245_4
; %bb.10:                               ;   in Loop: Header=BB245_6 Depth=1
	global_load_dwordx4 v[3:6], v[7:8], off
                                        ; implicit-def: $vgpr9_vgpr10
	s_waitcnt vmcnt(0)
	v_cmp_ngt_f64_e64 s[28:29], |v[3:4]|, |v[5:6]|
	s_and_saveexec_b64 s[30:31], s[28:29]
	s_xor_b64 s[28:29], exec, s[30:31]
                                        ; implicit-def: $vgpr11_vgpr12
	s_cbranch_execz .LBB245_12
; %bb.11:                               ;   in Loop: Header=BB245_6 Depth=1
	v_div_scale_f64 v[9:10], s[30:31], v[5:6], v[5:6], v[3:4]
	v_rcp_f64_e32 v[11:12], v[9:10]
	v_fma_f64 v[16:17], -v[9:10], v[11:12], 1.0
	v_fma_f64 v[11:12], v[11:12], v[16:17], v[11:12]
	v_div_scale_f64 v[16:17], vcc, v[3:4], v[5:6], v[3:4]
	v_fma_f64 v[18:19], -v[9:10], v[11:12], 1.0
	v_fma_f64 v[11:12], v[11:12], v[18:19], v[11:12]
	v_mul_f64 v[18:19], v[16:17], v[11:12]
	v_fma_f64 v[9:10], -v[9:10], v[18:19], v[16:17]
	v_div_fmas_f64 v[9:10], v[9:10], v[11:12], v[18:19]
	v_div_fixup_f64 v[9:10], v[9:10], v[5:6], v[3:4]
	v_fma_f64 v[3:4], v[3:4], v[9:10], v[5:6]
	v_div_scale_f64 v[5:6], s[30:31], v[3:4], v[3:4], 1.0
	v_div_scale_f64 v[18:19], vcc, 1.0, v[3:4], 1.0
	v_rcp_f64_e32 v[11:12], v[5:6]
	v_fma_f64 v[16:17], -v[5:6], v[11:12], 1.0
	v_fma_f64 v[11:12], v[11:12], v[16:17], v[11:12]
	v_fma_f64 v[16:17], -v[5:6], v[11:12], 1.0
	v_fma_f64 v[11:12], v[11:12], v[16:17], v[11:12]
	v_mul_f64 v[16:17], v[18:19], v[11:12]
	v_fma_f64 v[5:6], -v[5:6], v[16:17], v[18:19]
	v_div_fmas_f64 v[5:6], v[5:6], v[11:12], v[16:17]
	v_div_fixup_f64 v[11:12], v[5:6], v[3:4], 1.0
                                        ; implicit-def: $vgpr3_vgpr4
	v_mul_f64 v[9:10], v[9:10], v[11:12]
	v_xor_b32_e32 v12, 0x80000000, v12
.LBB245_12:                             ;   in Loop: Header=BB245_6 Depth=1
	s_andn2_saveexec_b64 s[28:29], s[28:29]
	s_cbranch_execz .LBB245_3
; %bb.13:                               ;   in Loop: Header=BB245_6 Depth=1
	v_div_scale_f64 v[9:10], s[30:31], v[3:4], v[3:4], v[5:6]
	v_rcp_f64_e32 v[11:12], v[9:10]
	v_fma_f64 v[16:17], -v[9:10], v[11:12], 1.0
	v_fma_f64 v[11:12], v[11:12], v[16:17], v[11:12]
	v_div_scale_f64 v[16:17], vcc, v[5:6], v[3:4], v[5:6]
	v_fma_f64 v[18:19], -v[9:10], v[11:12], 1.0
	v_fma_f64 v[11:12], v[11:12], v[18:19], v[11:12]
	v_mul_f64 v[18:19], v[16:17], v[11:12]
	v_fma_f64 v[9:10], -v[9:10], v[18:19], v[16:17]
	v_div_fmas_f64 v[9:10], v[9:10], v[11:12], v[18:19]
	v_div_fixup_f64 v[11:12], v[9:10], v[3:4], v[5:6]
	v_fma_f64 v[3:4], v[5:6], v[11:12], v[3:4]
	v_div_scale_f64 v[5:6], s[30:31], v[3:4], v[3:4], 1.0
	v_div_scale_f64 v[18:19], vcc, 1.0, v[3:4], 1.0
	v_rcp_f64_e32 v[9:10], v[5:6]
	v_fma_f64 v[16:17], -v[5:6], v[9:10], 1.0
	v_fma_f64 v[9:10], v[9:10], v[16:17], v[9:10]
	v_fma_f64 v[16:17], -v[5:6], v[9:10], 1.0
	v_fma_f64 v[9:10], v[9:10], v[16:17], v[9:10]
	v_mul_f64 v[16:17], v[18:19], v[9:10]
	v_fma_f64 v[5:6], -v[5:6], v[16:17], v[18:19]
	v_div_fmas_f64 v[5:6], v[5:6], v[9:10], v[16:17]
	v_div_fixup_f64 v[9:10], v[5:6], v[3:4], 1.0
	v_mul_f64 v[11:12], v[11:12], -v[9:10]
	s_branch .LBB245_3
.LBB245_14:
	s_mov_b64 s[0:1], src_shared_base
	s_load_dword s0, s[20:21], 0xc
	s_mov_b32 s23, s1
	s_mov_b32 s25, 0
	s_mov_b64 s[10:11], s[22:23]
	s_waitcnt lgkmcnt(0)
	s_and_b32 s24, s0, 0xffff
.LBB245_15:
	s_mul_i32 s7, s7, s6
	v_add_u32_e32 v3, s7, v2
	v_mov_b32_e32 v4, 0
	v_cmp_gt_i64_e32 vcc, s[14:15], v[3:4]
	s_and_saveexec_b64 s[0:1], vcc
	s_cbranch_execz .LBB245_39
; %bb.16:
	v_mov_b32_e32 v1, v4
	v_cmp_gt_i64_e32 vcc, s[12:13], v[0:1]
	s_and_b64 exec, exec, vcc
	s_cbranch_execz .LBB245_39
; %bb.17:
	s_load_dwordx8 s[36:43], s[4:5], 0x48
	v_lshlrev_b64 v[3:4], 4, v[3:4]
	s_waitcnt lgkmcnt(0)
	s_mul_i32 s1, s43, s8
	s_mul_hi_u32 s9, s42, s8
	v_mad_u64_u32 v[5:6], s[6:7], s40, v0, 0
	s_mul_i32 s0, s42, s8
	s_add_i32 s1, s9, s1
	s_lshl_b64 s[0:1], s[0:1], 4
	s_add_u32 s6, s36, s0
	s_addc_u32 s7, s37, s1
	v_mad_u64_u32 v[6:7], s[0:1], s41, v0, v[6:7]
	s_lshl_b64 s[0:1], s[38:39], 4
	s_add_u32 s0, s6, s0
	v_lshlrev_b64 v[5:6], 4, v[5:6]
	s_addc_u32 s1, s7, s1
	v_mov_b32_e32 v7, s1
	v_add_co_u32_e32 v5, vcc, s0, v5
	v_addc_co_u32_e32 v6, vcc, v7, v6, vcc
	v_add_co_u32_e32 v9, vcc, v5, v3
	v_addc_co_u32_e32 v10, vcc, v6, v4, vcc
	global_load_dwordx4 v[5:8], v[9:10], off
	v_cmp_lt_u64_e64 s[0:1], s[12:13], 2
	s_add_u32 s6, s12, -1
	s_addc_u32 s7, s13, -1
	s_and_b64 vcc, exec, s[0:1]
	s_waitcnt vmcnt(0)
	v_mul_f64 v[3:4], s[18:19], v[7:8]
	v_mul_f64 v[7:8], s[16:17], v[7:8]
	v_fma_f64 v[3:4], s[16:17], v[5:6], -v[3:4]
	v_fma_f64 v[11:12], s[18:19], v[5:6], v[7:8]
	s_cbranch_vccnz .LBB245_30
; %bb.18:
	v_mad_u64_u32 v[5:6], s[0:1], v0, s24, v[0:1]
	s_load_dword s4, s[4:5], 0x0
	v_lshlrev_b32_e32 v8, 4, v0
	v_mad_u64_u32 v[6:7], s[0:1], v0, s25, v[6:7]
	v_mov_b32_e32 v16, s11
	v_add_co_u32_e32 v13, vcc, s10, v8
	v_lshlrev_b64 v[5:6], 4, v[5:6]
	v_addc_co_u32_e32 v14, vcc, 0, v16, vcc
	s_waitcnt lgkmcnt(0)
	s_cmpk_eq_i32 s4, 0x71
	v_add_co_u32_e32 v15, vcc, s10, v5
	s_cselect_b64 s[0:1], -1, 0
	v_addc_co_u32_e32 v16, vcc, v16, v6, vcc
	v_lshl_add_u32 v2, v2, 4, 0
	s_lshl_b64 s[4:5], s[24:25], 4
	s_mov_b64 s[8:9], 0
	s_branch .LBB245_20
.LBB245_19:                             ;   in Loop: Header=BB245_20 Depth=1
	s_or_b64 exec, exec, s[12:13]
	s_add_u32 s8, s8, 1
	s_addc_u32 s9, s9, 0
	v_mov_b32_e32 v5, s5
	v_add_co_u32_e32 v13, vcc, s4, v13
	s_cmp_eq_u64 s[6:7], s[8:9]
	v_addc_co_u32_e32 v14, vcc, v14, v5, vcc
	s_cbranch_scc1 .LBB245_30
.LBB245_20:                             ; =>This Inner Loop Header: Depth=1
	v_cmp_eq_u64_e32 vcc, s[8:9], v[0:1]
	s_barrier
	s_and_saveexec_b64 s[12:13], vcc
	s_cbranch_execz .LBB245_28
; %bb.21:                               ;   in Loop: Header=BB245_20 Depth=1
	flat_load_dwordx4 v[5:8], v[15:16]
	s_andn2_b64 vcc, exec, s[2:3]
	s_cbranch_vccnz .LBB245_27
; %bb.22:                               ;   in Loop: Header=BB245_20 Depth=1
	s_waitcnt vmcnt(0) lgkmcnt(0)
	v_cmp_ngt_f64_e64 s[14:15], |v[5:6]|, |v[7:8]|
	s_and_saveexec_b64 s[16:17], s[14:15]
	s_xor_b64 s[14:15], exec, s[16:17]
	s_cbranch_execz .LBB245_24
; %bb.23:                               ;   in Loop: Header=BB245_20 Depth=1
	v_div_scale_f64 v[17:18], s[16:17], v[7:8], v[7:8], v[5:6]
	v_rcp_f64_e32 v[19:20], v[17:18]
	v_fma_f64 v[21:22], -v[17:18], v[19:20], 1.0
	v_fma_f64 v[19:20], v[19:20], v[21:22], v[19:20]
	v_div_scale_f64 v[21:22], vcc, v[5:6], v[7:8], v[5:6]
	v_fma_f64 v[23:24], -v[17:18], v[19:20], 1.0
	v_fma_f64 v[19:20], v[19:20], v[23:24], v[19:20]
	v_mul_f64 v[23:24], v[21:22], v[19:20]
	v_fma_f64 v[17:18], -v[17:18], v[23:24], v[21:22]
	v_div_fmas_f64 v[17:18], v[17:18], v[19:20], v[23:24]
	v_div_fixup_f64 v[17:18], v[17:18], v[7:8], v[5:6]
	v_fma_f64 v[5:6], v[5:6], v[17:18], v[7:8]
	v_div_scale_f64 v[7:8], s[16:17], v[5:6], v[5:6], 1.0
	v_div_scale_f64 v[23:24], vcc, 1.0, v[5:6], 1.0
	v_rcp_f64_e32 v[19:20], v[7:8]
	v_fma_f64 v[21:22], -v[7:8], v[19:20], 1.0
	v_fma_f64 v[19:20], v[19:20], v[21:22], v[19:20]
	v_fma_f64 v[21:22], -v[7:8], v[19:20], 1.0
	v_fma_f64 v[19:20], v[19:20], v[21:22], v[19:20]
	v_mul_f64 v[21:22], v[23:24], v[19:20]
	v_fma_f64 v[7:8], -v[7:8], v[21:22], v[23:24]
	v_div_fmas_f64 v[7:8], v[7:8], v[19:20], v[21:22]
	v_div_fixup_f64 v[7:8], v[7:8], v[5:6], 1.0
	v_mul_f64 v[5:6], v[17:18], v[7:8]
	v_xor_b32_e32 v8, 0x80000000, v8
.LBB245_24:                             ;   in Loop: Header=BB245_20 Depth=1
	s_andn2_saveexec_b64 s[14:15], s[14:15]
	s_cbranch_execz .LBB245_26
; %bb.25:                               ;   in Loop: Header=BB245_20 Depth=1
	v_div_scale_f64 v[17:18], s[16:17], v[5:6], v[5:6], v[7:8]
	v_rcp_f64_e32 v[19:20], v[17:18]
	v_fma_f64 v[21:22], -v[17:18], v[19:20], 1.0
	v_fma_f64 v[19:20], v[19:20], v[21:22], v[19:20]
	v_div_scale_f64 v[21:22], vcc, v[7:8], v[5:6], v[7:8]
	v_fma_f64 v[23:24], -v[17:18], v[19:20], 1.0
	v_fma_f64 v[19:20], v[19:20], v[23:24], v[19:20]
	v_mul_f64 v[23:24], v[21:22], v[19:20]
	v_fma_f64 v[17:18], -v[17:18], v[23:24], v[21:22]
	v_div_fmas_f64 v[17:18], v[17:18], v[19:20], v[23:24]
	v_div_fixup_f64 v[17:18], v[17:18], v[5:6], v[7:8]
	v_fma_f64 v[5:6], v[7:8], v[17:18], v[5:6]
	v_div_scale_f64 v[7:8], s[16:17], v[5:6], v[5:6], 1.0
	v_div_scale_f64 v[23:24], vcc, 1.0, v[5:6], 1.0
	v_rcp_f64_e32 v[19:20], v[7:8]
	v_fma_f64 v[21:22], -v[7:8], v[19:20], 1.0
	v_fma_f64 v[19:20], v[19:20], v[21:22], v[19:20]
	v_fma_f64 v[21:22], -v[7:8], v[19:20], 1.0
	v_fma_f64 v[19:20], v[19:20], v[21:22], v[19:20]
	v_mul_f64 v[21:22], v[23:24], v[19:20]
	v_fma_f64 v[7:8], -v[7:8], v[21:22], v[23:24]
	v_div_fmas_f64 v[7:8], v[7:8], v[19:20], v[21:22]
	v_div_fixup_f64 v[5:6], v[7:8], v[5:6], 1.0
	v_mul_f64 v[7:8], v[17:18], -v[5:6]
.LBB245_26:                             ;   in Loop: Header=BB245_20 Depth=1
	s_or_b64 exec, exec, s[14:15]
.LBB245_27:                             ;   in Loop: Header=BB245_20 Depth=1
	s_waitcnt vmcnt(0) lgkmcnt(0)
	v_mul_f64 v[17:18], v[11:12], v[7:8]
	v_mul_f64 v[7:8], v[3:4], v[7:8]
	v_fma_f64 v[3:4], v[3:4], v[5:6], -v[17:18]
	v_fma_f64 v[11:12], v[11:12], v[5:6], v[7:8]
	ds_write2_b64 v2, v[3:4], v[11:12] offset1:1
.LBB245_28:                             ;   in Loop: Header=BB245_20 Depth=1
	s_or_b64 exec, exec, s[12:13]
	v_cmp_lt_u64_e32 vcc, s[8:9], v[0:1]
	s_waitcnt lgkmcnt(0)
	s_barrier
	s_and_saveexec_b64 s[12:13], vcc
	s_cbranch_execz .LBB245_19
; %bb.29:                               ;   in Loop: Header=BB245_20 Depth=1
	flat_load_dwordx4 v[5:8], v[13:14]
	ds_read2_b64 v[17:20], v2 offset1:1
	s_waitcnt vmcnt(0) lgkmcnt(0)
	v_xor_b32_e32 v21, 0x80000000, v8
	v_cndmask_b32_e64 v8, v8, v21, s[0:1]
	v_mul_f64 v[21:22], v[7:8], v[19:20]
	v_mul_f64 v[19:20], v[5:6], v[19:20]
	v_fma_f64 v[5:6], v[5:6], v[17:18], -v[21:22]
	v_fma_f64 v[7:8], v[7:8], v[17:18], v[19:20]
	v_add_f64 v[3:4], v[3:4], -v[5:6]
	v_add_f64 v[11:12], v[11:12], -v[7:8]
	s_branch .LBB245_19
.LBB245_30:
	v_cmp_eq_u64_e32 vcc, s[6:7], v[0:1]
	s_and_saveexec_b64 s[0:1], vcc
	s_cbranch_execz .LBB245_38
; %bb.31:
	v_mad_u64_u32 v[1:2], s[4:5], v0, s24, v[0:1]
	v_mad_u64_u32 v[5:6], s[4:5], v0, s25, v[2:3]
	v_mov_b32_e32 v6, s11
	v_mov_b32_e32 v2, v5
	v_lshlrev_b64 v[0:1], 4, v[1:2]
	v_add_co_u32_e32 v0, vcc, s10, v0
	v_addc_co_u32_e32 v1, vcc, v6, v1, vcc
	flat_load_dwordx4 v[5:8], v[0:1]
	s_andn2_b64 vcc, exec, s[2:3]
	s_cbranch_vccnz .LBB245_37
; %bb.32:
	s_waitcnt vmcnt(0) lgkmcnt(0)
	v_cmp_ngt_f64_e64 s[2:3], |v[5:6]|, |v[7:8]|
	s_and_saveexec_b64 s[4:5], s[2:3]
	s_xor_b64 s[2:3], exec, s[4:5]
	s_cbranch_execz .LBB245_34
; %bb.33:
	v_div_scale_f64 v[0:1], s[4:5], v[7:8], v[7:8], v[5:6]
	v_rcp_f64_e32 v[13:14], v[0:1]
	v_fma_f64 v[15:16], -v[0:1], v[13:14], 1.0
	v_fma_f64 v[13:14], v[13:14], v[15:16], v[13:14]
	v_div_scale_f64 v[15:16], vcc, v[5:6], v[7:8], v[5:6]
	v_fma_f64 v[17:18], -v[0:1], v[13:14], 1.0
	v_fma_f64 v[13:14], v[13:14], v[17:18], v[13:14]
	v_mul_f64 v[17:18], v[15:16], v[13:14]
	v_fma_f64 v[0:1], -v[0:1], v[17:18], v[15:16]
	v_div_fmas_f64 v[0:1], v[0:1], v[13:14], v[17:18]
	v_div_fixup_f64 v[0:1], v[0:1], v[7:8], v[5:6]
	v_fma_f64 v[5:6], v[5:6], v[0:1], v[7:8]
	v_div_scale_f64 v[7:8], s[4:5], v[5:6], v[5:6], 1.0
	v_div_scale_f64 v[17:18], vcc, 1.0, v[5:6], 1.0
	v_rcp_f64_e32 v[13:14], v[7:8]
	v_fma_f64 v[15:16], -v[7:8], v[13:14], 1.0
	v_fma_f64 v[13:14], v[13:14], v[15:16], v[13:14]
	v_fma_f64 v[15:16], -v[7:8], v[13:14], 1.0
	v_fma_f64 v[13:14], v[13:14], v[15:16], v[13:14]
	v_mul_f64 v[15:16], v[17:18], v[13:14]
	v_fma_f64 v[7:8], -v[7:8], v[15:16], v[17:18]
	v_div_fmas_f64 v[7:8], v[7:8], v[13:14], v[15:16]
	v_div_fixup_f64 v[7:8], v[7:8], v[5:6], 1.0
	v_mul_f64 v[5:6], v[0:1], v[7:8]
	v_xor_b32_e32 v8, 0x80000000, v8
.LBB245_34:
	s_andn2_saveexec_b64 s[2:3], s[2:3]
	s_cbranch_execz .LBB245_36
; %bb.35:
	v_div_scale_f64 v[0:1], s[4:5], v[5:6], v[5:6], v[7:8]
	v_rcp_f64_e32 v[13:14], v[0:1]
	v_fma_f64 v[15:16], -v[0:1], v[13:14], 1.0
	v_fma_f64 v[13:14], v[13:14], v[15:16], v[13:14]
	v_div_scale_f64 v[15:16], vcc, v[7:8], v[5:6], v[7:8]
	v_fma_f64 v[17:18], -v[0:1], v[13:14], 1.0
	v_fma_f64 v[13:14], v[13:14], v[17:18], v[13:14]
	v_mul_f64 v[17:18], v[15:16], v[13:14]
	v_fma_f64 v[0:1], -v[0:1], v[17:18], v[15:16]
	v_div_fmas_f64 v[0:1], v[0:1], v[13:14], v[17:18]
	v_div_fixup_f64 v[0:1], v[0:1], v[5:6], v[7:8]
	v_fma_f64 v[5:6], v[7:8], v[0:1], v[5:6]
	v_div_scale_f64 v[7:8], s[4:5], v[5:6], v[5:6], 1.0
	v_div_scale_f64 v[17:18], vcc, 1.0, v[5:6], 1.0
	v_rcp_f64_e32 v[13:14], v[7:8]
	v_fma_f64 v[15:16], -v[7:8], v[13:14], 1.0
	v_fma_f64 v[13:14], v[13:14], v[15:16], v[13:14]
	v_fma_f64 v[15:16], -v[7:8], v[13:14], 1.0
	v_fma_f64 v[13:14], v[13:14], v[15:16], v[13:14]
	v_mul_f64 v[15:16], v[17:18], v[13:14]
	v_fma_f64 v[7:8], -v[7:8], v[15:16], v[17:18]
	v_div_fmas_f64 v[7:8], v[7:8], v[13:14], v[15:16]
	v_div_fixup_f64 v[5:6], v[7:8], v[5:6], 1.0
	v_mul_f64 v[7:8], v[0:1], -v[5:6]
.LBB245_36:
	s_or_b64 exec, exec, s[2:3]
.LBB245_37:
	s_waitcnt vmcnt(0) lgkmcnt(0)
	v_mul_f64 v[0:1], v[11:12], v[7:8]
	v_mul_f64 v[11:12], v[11:12], v[5:6]
	v_fma_f64 v[0:1], v[3:4], v[5:6], -v[0:1]
	v_fma_f64 v[11:12], v[3:4], v[7:8], v[11:12]
	v_mov_b32_e32 v4, v1
	v_mov_b32_e32 v3, v0
.LBB245_38:
	s_or_b64 exec, exec, s[0:1]
	v_mov_b32_e32 v5, v11
	v_mov_b32_e32 v6, v12
	global_store_dwordx4 v[9:10], v[3:6], off
.LBB245_39:
	s_endpgm
	.section	.rodata,"a",@progbits
	.p2align	6, 0x0
	.amdhsa_kernel _ZL39rocblas_trsm_block_forward_substitutionI19rocblas_complex_numIdES1_PKS1_PS1_Lb0ELb1ELb0EEv18rocblas_operation_llT0_T1_lllT2_lllib
		.amdhsa_group_segment_fixed_size 0
		.amdhsa_private_segment_fixed_size 0
		.amdhsa_kernarg_size 368
		.amdhsa_user_sgpr_count 6
		.amdhsa_user_sgpr_private_segment_buffer 1
		.amdhsa_user_sgpr_dispatch_ptr 0
		.amdhsa_user_sgpr_queue_ptr 0
		.amdhsa_user_sgpr_kernarg_segment_ptr 1
		.amdhsa_user_sgpr_dispatch_id 0
		.amdhsa_user_sgpr_flat_scratch_init 0
		.amdhsa_user_sgpr_private_segment_size 0
		.amdhsa_uses_dynamic_stack 0
		.amdhsa_system_sgpr_private_segment_wavefront_offset 0
		.amdhsa_system_sgpr_workgroup_id_x 1
		.amdhsa_system_sgpr_workgroup_id_y 1
		.amdhsa_system_sgpr_workgroup_id_z 1
		.amdhsa_system_sgpr_workgroup_info 0
		.amdhsa_system_vgpr_workitem_id 1
		.amdhsa_next_free_vgpr 25
		.amdhsa_next_free_sgpr 44
		.amdhsa_reserve_vcc 1
		.amdhsa_reserve_flat_scratch 0
		.amdhsa_float_round_mode_32 0
		.amdhsa_float_round_mode_16_64 0
		.amdhsa_float_denorm_mode_32 3
		.amdhsa_float_denorm_mode_16_64 3
		.amdhsa_dx10_clamp 1
		.amdhsa_ieee_mode 1
		.amdhsa_fp16_overflow 0
		.amdhsa_exception_fp_ieee_invalid_op 0
		.amdhsa_exception_fp_denorm_src 0
		.amdhsa_exception_fp_ieee_div_zero 0
		.amdhsa_exception_fp_ieee_overflow 0
		.amdhsa_exception_fp_ieee_underflow 0
		.amdhsa_exception_fp_ieee_inexact 0
		.amdhsa_exception_int_div_zero 0
	.end_amdhsa_kernel
	.section	.text._ZL39rocblas_trsm_block_forward_substitutionI19rocblas_complex_numIdES1_PKS1_PS1_Lb0ELb1ELb0EEv18rocblas_operation_llT0_T1_lllT2_lllib,"axG",@progbits,_ZL39rocblas_trsm_block_forward_substitutionI19rocblas_complex_numIdES1_PKS1_PS1_Lb0ELb1ELb0EEv18rocblas_operation_llT0_T1_lllT2_lllib,comdat
.Lfunc_end245:
	.size	_ZL39rocblas_trsm_block_forward_substitutionI19rocblas_complex_numIdES1_PKS1_PS1_Lb0ELb1ELb0EEv18rocblas_operation_llT0_T1_lllT2_lllib, .Lfunc_end245-_ZL39rocblas_trsm_block_forward_substitutionI19rocblas_complex_numIdES1_PKS1_PS1_Lb0ELb1ELb0EEv18rocblas_operation_llT0_T1_lllT2_lllib
                                        ; -- End function
	.set _ZL39rocblas_trsm_block_forward_substitutionI19rocblas_complex_numIdES1_PKS1_PS1_Lb0ELb1ELb0EEv18rocblas_operation_llT0_T1_lllT2_lllib.num_vgpr, 25
	.set _ZL39rocblas_trsm_block_forward_substitutionI19rocblas_complex_numIdES1_PKS1_PS1_Lb0ELb1ELb0EEv18rocblas_operation_llT0_T1_lllT2_lllib.num_agpr, 0
	.set _ZL39rocblas_trsm_block_forward_substitutionI19rocblas_complex_numIdES1_PKS1_PS1_Lb0ELb1ELb0EEv18rocblas_operation_llT0_T1_lllT2_lllib.numbered_sgpr, 44
	.set _ZL39rocblas_trsm_block_forward_substitutionI19rocblas_complex_numIdES1_PKS1_PS1_Lb0ELb1ELb0EEv18rocblas_operation_llT0_T1_lllT2_lllib.num_named_barrier, 0
	.set _ZL39rocblas_trsm_block_forward_substitutionI19rocblas_complex_numIdES1_PKS1_PS1_Lb0ELb1ELb0EEv18rocblas_operation_llT0_T1_lllT2_lllib.private_seg_size, 0
	.set _ZL39rocblas_trsm_block_forward_substitutionI19rocblas_complex_numIdES1_PKS1_PS1_Lb0ELb1ELb0EEv18rocblas_operation_llT0_T1_lllT2_lllib.uses_vcc, 1
	.set _ZL39rocblas_trsm_block_forward_substitutionI19rocblas_complex_numIdES1_PKS1_PS1_Lb0ELb1ELb0EEv18rocblas_operation_llT0_T1_lllT2_lllib.uses_flat_scratch, 0
	.set _ZL39rocblas_trsm_block_forward_substitutionI19rocblas_complex_numIdES1_PKS1_PS1_Lb0ELb1ELb0EEv18rocblas_operation_llT0_T1_lllT2_lllib.has_dyn_sized_stack, 0
	.set _ZL39rocblas_trsm_block_forward_substitutionI19rocblas_complex_numIdES1_PKS1_PS1_Lb0ELb1ELb0EEv18rocblas_operation_llT0_T1_lllT2_lllib.has_recursion, 0
	.set _ZL39rocblas_trsm_block_forward_substitutionI19rocblas_complex_numIdES1_PKS1_PS1_Lb0ELb1ELb0EEv18rocblas_operation_llT0_T1_lllT2_lllib.has_indirect_call, 0
	.section	.AMDGPU.csdata,"",@progbits
; Kernel info:
; codeLenInByte = 2396
; TotalNumSgprs: 48
; NumVgprs: 25
; ScratchSize: 0
; MemoryBound: 1
; FloatMode: 240
; IeeeMode: 1
; LDSByteSize: 0 bytes/workgroup (compile time only)
; SGPRBlocks: 5
; VGPRBlocks: 6
; NumSGPRsForWavesPerEU: 48
; NumVGPRsForWavesPerEU: 25
; Occupancy: 9
; WaveLimiterHint : 1
; COMPUTE_PGM_RSRC2:SCRATCH_EN: 0
; COMPUTE_PGM_RSRC2:USER_SGPR: 6
; COMPUTE_PGM_RSRC2:TRAP_HANDLER: 0
; COMPUTE_PGM_RSRC2:TGID_X_EN: 1
; COMPUTE_PGM_RSRC2:TGID_Y_EN: 1
; COMPUTE_PGM_RSRC2:TGID_Z_EN: 1
; COMPUTE_PGM_RSRC2:TIDIG_COMP_CNT: 1
	.section	.text._ZL40rocblas_trsm_block_backward_substitutionI19rocblas_complex_numIdES1_PKS1_PS1_Lb0ELb1ELb0EEv18rocblas_operation_llT0_T1_lllT2_lllib,"axG",@progbits,_ZL40rocblas_trsm_block_backward_substitutionI19rocblas_complex_numIdES1_PKS1_PS1_Lb0ELb1ELb0EEv18rocblas_operation_llT0_T1_lllT2_lllib,comdat
	.globl	_ZL40rocblas_trsm_block_backward_substitutionI19rocblas_complex_numIdES1_PKS1_PS1_Lb0ELb1ELb0EEv18rocblas_operation_llT0_T1_lllT2_lllib ; -- Begin function _ZL40rocblas_trsm_block_backward_substitutionI19rocblas_complex_numIdES1_PKS1_PS1_Lb0ELb1ELb0EEv18rocblas_operation_llT0_T1_lllT2_lllib
	.p2align	8
	.type	_ZL40rocblas_trsm_block_backward_substitutionI19rocblas_complex_numIdES1_PKS1_PS1_Lb0ELb1ELb0EEv18rocblas_operation_llT0_T1_lllT2_lllib,@function
_ZL40rocblas_trsm_block_backward_substitutionI19rocblas_complex_numIdES1_PKS1_PS1_Lb0ELb1ELb0EEv18rocblas_operation_llT0_T1_lllT2_lllib: ; @_ZL40rocblas_trsm_block_backward_substitutionI19rocblas_complex_numIdES1_PKS1_PS1_Lb0ELb1ELb0EEv18rocblas_operation_llT0_T1_lllT2_lllib
; %bb.0:
	s_load_dword s0, s[4:5], 0x6c
	s_load_dwordx16 s[12:27], s[4:5], 0x8
	s_load_dword s6, s[4:5], 0x7c
	v_mov_b32_e32 v2, v1
	s_waitcnt lgkmcnt(0)
	s_bitcmp1_b32 s0, 0
	s_cselect_b64 s[0:1], -1, 0
	s_xor_b64 s[10:11], s[0:1], -1
	s_mul_i32 s0, s27, s8
	s_mul_hi_u32 s1, s26, s8
	s_add_i32 s1, s1, s0
	s_mul_i32 s0, s26, s8
	s_lshl_b64 s[0:1], s[0:1], 4
	s_add_u32 s2, s20, s0
	s_addc_u32 s3, s21, s1
	s_lshl_b64 s[0:1], s[22:23], 4
	s_add_u32 s2, s2, s0
	s_addc_u32 s3, s3, s1
	s_add_u32 s26, s4, 0x70
	s_addc_u32 s27, s5, 0
	s_lshr_b32 s6, s6, 16
	s_mov_b64 s[22:23], 1
	s_and_b64 vcc, exec, s[10:11]
	s_cbranch_vccnz .LBB246_15
; %bb.1:
	s_lshl_b32 s0, s6, 4
	s_add_i32 s28, s0, 0
	v_cmp_lt_i64_e64 s[0:1], s[12:13], 1
	s_mov_b64 s[20:21], 1
	s_and_b64 vcc, exec, s[0:1]
	s_cbranch_vccnz .LBB246_16
; %bb.2:
	v_mad_u64_u32 v[3:4], s[0:1], s24, v0, 0
	v_lshlrev_b32_e32 v6, 4, v0
	v_add_u32_e32 v14, s28, v6
	v_mov_b32_e32 v1, v4
	v_mad_u64_u32 v[4:5], s[0:1], s25, v0, v[1:2]
	v_mov_b32_e32 v1, 0
	v_cmp_le_u64_e64 s[22:23], s[12:13], v[0:1]
	v_lshlrev_b64 v[3:4], 4, v[3:4]
	v_cmp_gt_u64_e64 s[0:1], s[12:13], v[0:1]
	v_mov_b32_e32 v5, s3
	v_add_co_u32_e32 v1, vcc, s2, v3
	v_addc_co_u32_e32 v15, vcc, v5, v4, vcc
	v_add_co_u32_e32 v7, vcc, v1, v6
	v_addc_co_u32_e32 v8, vcc, 0, v15, vcc
	s_xor_b64 s[24:25], s[22:23], -1
	s_mov_b32 s9, s6
	v_mov_b32_e32 v9, v2
	s_branch .LBB246_5
.LBB246_3:                              ;   in Loop: Header=BB246_5 Depth=1
	s_or_b64 exec, exec, s[30:31]
	s_load_dword s29, s[26:27], 0xc
	s_waitcnt lgkmcnt(0)
	s_and_b32 s29, s29, 0xffff
	v_mul_u32_u24_e32 v3, s29, v0
	v_lshl_add_u32 v3, v3, 4, v14
	ds_write2_b64 v3, v[10:11], v[12:13] offset1:1
.LBB246_4:                              ;   in Loop: Header=BB246_5 Depth=1
	s_or_b64 exec, exec, s[2:3]
	s_ashr_i32 s2, s9, 31
	v_mov_b32_e32 v3, s9
	v_mov_b32_e32 v4, s2
	v_cmp_le_i64_e32 vcc, s[12:13], v[3:4]
	v_add_u32_e32 v9, s6, v9
	s_add_i32 s9, s9, s6
	s_cbranch_vccnz .LBB246_16
.LBB246_5:                              ; =>This Inner Loop Header: Depth=1
	s_mov_b64 s[34:35], s[22:23]
	s_and_saveexec_b64 s[30:31], s[0:1]
	s_cbranch_execz .LBB246_9
; %bb.6:                                ;   in Loop: Header=BB246_5 Depth=1
	v_ashrrev_i32_e32 v10, 31, v9
	v_cmp_gt_i64_e32 vcc, s[12:13], v[9:10]
	v_cmp_lt_i32_e64 s[2:3], v0, v9
	s_and_b64 s[36:37], s[2:3], vcc
	s_mov_b64 s[34:35], -1
	s_and_saveexec_b64 s[2:3], s[36:37]
	s_cbranch_execz .LBB246_8
; %bb.7:                                ;   in Loop: Header=BB246_5 Depth=1
	v_lshlrev_b64 v[3:4], 4, v[9:10]
	s_load_dword s29, s[26:27], 0xc
	v_add_co_u32_e32 v3, vcc, v1, v3
	v_addc_co_u32_e32 v4, vcc, v15, v4, vcc
	global_load_dwordx4 v[3:6], v[3:4], off
	s_waitcnt lgkmcnt(0)
	s_and_b32 s29, s29, 0xffff
	v_mul_lo_u32 v10, v9, s29
	s_xor_b64 s[34:35], exec, -1
	v_lshl_add_u32 v10, v10, 4, v14
	s_waitcnt vmcnt(0)
	ds_write2_b64 v10, v[3:4], v[5:6] offset1:1
.LBB246_8:                              ;   in Loop: Header=BB246_5 Depth=1
	s_or_b64 exec, exec, s[2:3]
	s_andn2_b64 s[2:3], s[22:23], exec
	s_and_b64 s[34:35], s[34:35], exec
	s_or_b64 s[34:35], s[2:3], s[34:35]
.LBB246_9:                              ;   in Loop: Header=BB246_5 Depth=1
	s_or_b64 exec, exec, s[30:31]
	s_and_saveexec_b64 s[2:3], s[34:35]
	s_cbranch_execz .LBB246_4
; %bb.10:                               ;   in Loop: Header=BB246_5 Depth=1
	v_cmp_eq_u32_e32 vcc, v0, v9
	s_and_b64 s[30:31], s[24:25], vcc
	s_and_b64 exec, exec, s[30:31]
	s_cbranch_execz .LBB246_4
; %bb.11:                               ;   in Loop: Header=BB246_5 Depth=1
	global_load_dwordx4 v[3:6], v[7:8], off
                                        ; implicit-def: $vgpr10_vgpr11
	s_waitcnt vmcnt(0)
	v_cmp_ngt_f64_e64 s[30:31], |v[3:4]|, |v[5:6]|
	s_and_saveexec_b64 s[34:35], s[30:31]
	s_xor_b64 s[30:31], exec, s[34:35]
                                        ; implicit-def: $vgpr12_vgpr13
	s_cbranch_execz .LBB246_13
; %bb.12:                               ;   in Loop: Header=BB246_5 Depth=1
	v_div_scale_f64 v[10:11], s[34:35], v[5:6], v[5:6], v[3:4]
	v_rcp_f64_e32 v[12:13], v[10:11]
	v_fma_f64 v[16:17], -v[10:11], v[12:13], 1.0
	v_fma_f64 v[12:13], v[12:13], v[16:17], v[12:13]
	v_div_scale_f64 v[16:17], vcc, v[3:4], v[5:6], v[3:4]
	v_fma_f64 v[18:19], -v[10:11], v[12:13], 1.0
	v_fma_f64 v[12:13], v[12:13], v[18:19], v[12:13]
	v_mul_f64 v[18:19], v[16:17], v[12:13]
	v_fma_f64 v[10:11], -v[10:11], v[18:19], v[16:17]
	v_div_fmas_f64 v[10:11], v[10:11], v[12:13], v[18:19]
	v_div_fixup_f64 v[10:11], v[10:11], v[5:6], v[3:4]
	v_fma_f64 v[3:4], v[3:4], v[10:11], v[5:6]
	v_div_scale_f64 v[5:6], s[34:35], v[3:4], v[3:4], 1.0
	v_div_scale_f64 v[18:19], vcc, 1.0, v[3:4], 1.0
	v_rcp_f64_e32 v[12:13], v[5:6]
	v_fma_f64 v[16:17], -v[5:6], v[12:13], 1.0
	v_fma_f64 v[12:13], v[12:13], v[16:17], v[12:13]
	v_fma_f64 v[16:17], -v[5:6], v[12:13], 1.0
	v_fma_f64 v[12:13], v[12:13], v[16:17], v[12:13]
	v_mul_f64 v[16:17], v[18:19], v[12:13]
	v_fma_f64 v[5:6], -v[5:6], v[16:17], v[18:19]
	v_div_fmas_f64 v[5:6], v[5:6], v[12:13], v[16:17]
	v_div_fixup_f64 v[12:13], v[5:6], v[3:4], 1.0
                                        ; implicit-def: $vgpr3_vgpr4
	v_mul_f64 v[10:11], v[10:11], v[12:13]
	v_xor_b32_e32 v13, 0x80000000, v13
.LBB246_13:                             ;   in Loop: Header=BB246_5 Depth=1
	s_andn2_saveexec_b64 s[30:31], s[30:31]
	s_cbranch_execz .LBB246_3
; %bb.14:                               ;   in Loop: Header=BB246_5 Depth=1
	v_div_scale_f64 v[10:11], s[34:35], v[3:4], v[3:4], v[5:6]
	v_rcp_f64_e32 v[12:13], v[10:11]
	v_fma_f64 v[16:17], -v[10:11], v[12:13], 1.0
	v_fma_f64 v[12:13], v[12:13], v[16:17], v[12:13]
	v_div_scale_f64 v[16:17], vcc, v[5:6], v[3:4], v[5:6]
	v_fma_f64 v[18:19], -v[10:11], v[12:13], 1.0
	v_fma_f64 v[12:13], v[12:13], v[18:19], v[12:13]
	v_mul_f64 v[18:19], v[16:17], v[12:13]
	v_fma_f64 v[10:11], -v[10:11], v[18:19], v[16:17]
	v_div_fmas_f64 v[10:11], v[10:11], v[12:13], v[18:19]
	v_div_fixup_f64 v[12:13], v[10:11], v[3:4], v[5:6]
	v_fma_f64 v[3:4], v[5:6], v[12:13], v[3:4]
	v_div_scale_f64 v[5:6], s[34:35], v[3:4], v[3:4], 1.0
	v_div_scale_f64 v[18:19], vcc, 1.0, v[3:4], 1.0
	v_rcp_f64_e32 v[10:11], v[5:6]
	v_fma_f64 v[16:17], -v[5:6], v[10:11], 1.0
	v_fma_f64 v[10:11], v[10:11], v[16:17], v[10:11]
	v_fma_f64 v[16:17], -v[5:6], v[10:11], 1.0
	v_fma_f64 v[10:11], v[10:11], v[16:17], v[10:11]
	v_mul_f64 v[16:17], v[18:19], v[10:11]
	v_fma_f64 v[5:6], -v[5:6], v[16:17], v[18:19]
	v_div_fmas_f64 v[5:6], v[5:6], v[10:11], v[16:17]
	v_div_fixup_f64 v[10:11], v[5:6], v[3:4], 1.0
	v_mul_f64 v[12:13], v[12:13], -v[10:11]
	s_branch .LBB246_3
.LBB246_15:
	s_mov_b64 s[20:21], s[24:25]
	s_branch .LBB246_17
.LBB246_16:
	s_mov_b64 s[0:1], src_shared_base
	s_load_dword s0, s[26:27], 0xc
	s_mov_b32 s29, s1
	s_mov_b32 s23, 0
	s_mov_b64 s[2:3], s[28:29]
	s_waitcnt lgkmcnt(0)
	s_and_b32 s22, s0, 0xffff
.LBB246_17:
	s_mul_i32 s7, s7, s6
	v_add_u32_e32 v3, s7, v2
	v_mov_b32_e32 v4, 0
	v_cmp_gt_i64_e32 vcc, s[14:15], v[3:4]
	s_and_saveexec_b64 s[0:1], vcc
	s_cbranch_execz .LBB246_42
; %bb.18:
	v_mov_b32_e32 v1, v4
	v_cmp_gt_i64_e32 vcc, s[12:13], v[0:1]
	s_and_b64 exec, exec, vcc
	s_cbranch_execz .LBB246_42
; %bb.19:
	s_load_dwordx8 s[24:31], s[4:5], 0x48
	s_waitcnt lgkmcnt(0)
	s_mul_i32 s1, s31, s8
	s_mul_hi_u32 s9, s30, s8
	v_mad_u64_u32 v[4:5], s[6:7], s28, v3, 0
	s_mul_i32 s0, s30, s8
	s_add_i32 s1, s9, s1
	s_lshl_b64 s[0:1], s[0:1], 4
	s_add_u32 s6, s24, s0
	s_addc_u32 s7, s25, s1
	v_mad_u64_u32 v[5:6], s[0:1], s29, v3, v[5:6]
	s_lshl_b64 s[0:1], s[26:27], 4
	s_add_u32 s0, s6, s0
	v_lshlrev_b64 v[3:4], 4, v[4:5]
	s_addc_u32 s1, s7, s1
	v_mov_b32_e32 v5, s1
	v_add_co_u32_e32 v3, vcc, s0, v3
	v_addc_co_u32_e32 v4, vcc, v5, v4, vcc
	v_lshlrev_b32_e32 v5, 4, v0
	v_add_co_u32_e32 v9, vcc, v3, v5
	v_addc_co_u32_e32 v10, vcc, 0, v4, vcc
	global_load_dwordx4 v[5:8], v[9:10], off
	v_cmp_lt_u64_e64 s[0:1], s[12:13], 2
	s_and_b64 vcc, exec, s[0:1]
	s_waitcnt vmcnt(0)
	v_mul_f64 v[3:4], s[18:19], v[7:8]
	v_mul_f64 v[7:8], s[16:17], v[7:8]
	v_fma_f64 v[3:4], s[16:17], v[5:6], -v[3:4]
	v_fma_f64 v[11:12], s[18:19], v[5:6], v[7:8]
	s_cbranch_vccnz .LBB246_33
; %bb.20:
	s_load_dword s0, s[4:5], 0x0
	v_mov_b32_e32 v17, s3
	v_lshl_add_u32 v2, v2, 4, 0
	s_waitcnt lgkmcnt(0)
	s_cmpk_eq_i32 s0, 0x71
	s_cselect_b64 s[0:1], -1, 0
	s_add_u32 s4, s22, s20
	v_mad_u64_u32 v[5:6], s[4:5], s4, v0, 0
	v_mad_u64_u32 v[7:8], s[4:5], s20, v0, 0
	s_addc_u32 s4, s23, s21
	v_mad_u64_u32 v[13:14], s[4:5], s4, v0, v[6:7]
	v_mov_b32_e32 v6, v8
	v_mad_u64_u32 v[15:16], s[4:5], s21, v0, v[6:7]
	v_mov_b32_e32 v6, v13
	s_add_u32 s4, s12, -1
	v_lshlrev_b64 v[5:6], 4, v[5:6]
	s_addc_u32 s5, s13, -1
	s_mul_i32 s6, s22, s5
	s_mul_hi_u32 s7, s22, s4
	v_add_co_u32_e32 v13, vcc, s2, v5
	v_mov_b32_e32 v8, v15
	s_add_i32 s7, s7, s6
	s_mul_i32 s6, s22, s4
	v_addc_co_u32_e32 v14, vcc, v17, v6, vcc
	s_lshl_b64 s[6:7], s[6:7], 4
	v_lshlrev_b64 v[5:6], 4, v[7:8]
	s_add_u32 s6, s2, s6
	s_addc_u32 s7, s3, s7
	v_add_co_u32_e32 v15, vcc, s6, v5
	s_lshl_b32 s6, s22, 4
	v_mov_b32_e32 v7, s7
	s_sub_u32 s12, 0, s6
	v_addc_co_u32_e32 v16, vcc, v7, v6, vcc
	s_subb_u32 s13, 0, 0
.LBB246_21:                             ; =>This Inner Loop Header: Depth=1
	v_cmp_eq_u64_e32 vcc, s[4:5], v[0:1]
	s_barrier
	s_and_saveexec_b64 s[6:7], vcc
	s_cbranch_execz .LBB246_29
; %bb.22:                               ;   in Loop: Header=BB246_21 Depth=1
	flat_load_dwordx4 v[5:8], v[13:14]
	s_andn2_b64 vcc, exec, s[10:11]
	s_cbranch_vccnz .LBB246_28
; %bb.23:                               ;   in Loop: Header=BB246_21 Depth=1
	s_waitcnt vmcnt(0) lgkmcnt(0)
	v_cmp_ngt_f64_e64 s[8:9], |v[5:6]|, |v[7:8]|
	s_and_saveexec_b64 s[14:15], s[8:9]
	s_xor_b64 s[8:9], exec, s[14:15]
	s_cbranch_execz .LBB246_25
; %bb.24:                               ;   in Loop: Header=BB246_21 Depth=1
	v_div_scale_f64 v[17:18], s[14:15], v[7:8], v[7:8], v[5:6]
	v_rcp_f64_e32 v[19:20], v[17:18]
	v_fma_f64 v[21:22], -v[17:18], v[19:20], 1.0
	v_fma_f64 v[19:20], v[19:20], v[21:22], v[19:20]
	v_div_scale_f64 v[21:22], vcc, v[5:6], v[7:8], v[5:6]
	v_fma_f64 v[23:24], -v[17:18], v[19:20], 1.0
	v_fma_f64 v[19:20], v[19:20], v[23:24], v[19:20]
	v_mul_f64 v[23:24], v[21:22], v[19:20]
	v_fma_f64 v[17:18], -v[17:18], v[23:24], v[21:22]
	v_div_fmas_f64 v[17:18], v[17:18], v[19:20], v[23:24]
	v_div_fixup_f64 v[17:18], v[17:18], v[7:8], v[5:6]
	v_fma_f64 v[5:6], v[5:6], v[17:18], v[7:8]
	v_div_scale_f64 v[7:8], s[14:15], v[5:6], v[5:6], 1.0
	v_div_scale_f64 v[23:24], vcc, 1.0, v[5:6], 1.0
	v_rcp_f64_e32 v[19:20], v[7:8]
	v_fma_f64 v[21:22], -v[7:8], v[19:20], 1.0
	v_fma_f64 v[19:20], v[19:20], v[21:22], v[19:20]
	v_fma_f64 v[21:22], -v[7:8], v[19:20], 1.0
	v_fma_f64 v[19:20], v[19:20], v[21:22], v[19:20]
	v_mul_f64 v[21:22], v[23:24], v[19:20]
	v_fma_f64 v[7:8], -v[7:8], v[21:22], v[23:24]
	v_div_fmas_f64 v[7:8], v[7:8], v[19:20], v[21:22]
	v_div_fixup_f64 v[7:8], v[7:8], v[5:6], 1.0
	v_mul_f64 v[5:6], v[17:18], v[7:8]
	v_xor_b32_e32 v8, 0x80000000, v8
.LBB246_25:                             ;   in Loop: Header=BB246_21 Depth=1
	s_andn2_saveexec_b64 s[8:9], s[8:9]
	s_cbranch_execz .LBB246_27
; %bb.26:                               ;   in Loop: Header=BB246_21 Depth=1
	v_div_scale_f64 v[17:18], s[14:15], v[5:6], v[5:6], v[7:8]
	v_rcp_f64_e32 v[19:20], v[17:18]
	v_fma_f64 v[21:22], -v[17:18], v[19:20], 1.0
	v_fma_f64 v[19:20], v[19:20], v[21:22], v[19:20]
	v_div_scale_f64 v[21:22], vcc, v[7:8], v[5:6], v[7:8]
	v_fma_f64 v[23:24], -v[17:18], v[19:20], 1.0
	v_fma_f64 v[19:20], v[19:20], v[23:24], v[19:20]
	v_mul_f64 v[23:24], v[21:22], v[19:20]
	v_fma_f64 v[17:18], -v[17:18], v[23:24], v[21:22]
	v_div_fmas_f64 v[17:18], v[17:18], v[19:20], v[23:24]
	v_div_fixup_f64 v[17:18], v[17:18], v[5:6], v[7:8]
	v_fma_f64 v[5:6], v[7:8], v[17:18], v[5:6]
	v_div_scale_f64 v[7:8], s[14:15], v[5:6], v[5:6], 1.0
	v_div_scale_f64 v[23:24], vcc, 1.0, v[5:6], 1.0
	v_rcp_f64_e32 v[19:20], v[7:8]
	v_fma_f64 v[21:22], -v[7:8], v[19:20], 1.0
	v_fma_f64 v[19:20], v[19:20], v[21:22], v[19:20]
	v_fma_f64 v[21:22], -v[7:8], v[19:20], 1.0
	v_fma_f64 v[19:20], v[19:20], v[21:22], v[19:20]
	v_mul_f64 v[21:22], v[23:24], v[19:20]
	v_fma_f64 v[7:8], -v[7:8], v[21:22], v[23:24]
	v_div_fmas_f64 v[7:8], v[7:8], v[19:20], v[21:22]
	v_div_fixup_f64 v[5:6], v[7:8], v[5:6], 1.0
	v_mul_f64 v[7:8], v[17:18], -v[5:6]
.LBB246_27:                             ;   in Loop: Header=BB246_21 Depth=1
	s_or_b64 exec, exec, s[8:9]
.LBB246_28:                             ;   in Loop: Header=BB246_21 Depth=1
	s_waitcnt vmcnt(0) lgkmcnt(0)
	v_mul_f64 v[17:18], v[11:12], v[7:8]
	v_mul_f64 v[7:8], v[3:4], v[7:8]
	v_fma_f64 v[3:4], v[3:4], v[5:6], -v[17:18]
	v_fma_f64 v[11:12], v[11:12], v[5:6], v[7:8]
	ds_write2_b64 v2, v[3:4], v[11:12] offset1:1
.LBB246_29:                             ;   in Loop: Header=BB246_21 Depth=1
	s_or_b64 exec, exec, s[6:7]
	v_cmp_gt_i64_e32 vcc, s[4:5], v[0:1]
	s_waitcnt lgkmcnt(0)
	s_barrier
	s_and_saveexec_b64 s[6:7], vcc
	s_cbranch_execz .LBB246_31
; %bb.30:                               ;   in Loop: Header=BB246_21 Depth=1
	flat_load_dwordx4 v[5:8], v[15:16]
	ds_read2_b64 v[17:20], v2 offset1:1
	s_waitcnt vmcnt(0) lgkmcnt(0)
	v_xor_b32_e32 v21, 0x80000000, v8
	v_cndmask_b32_e64 v8, v8, v21, s[0:1]
	v_mul_f64 v[21:22], v[7:8], v[19:20]
	v_mul_f64 v[19:20], v[5:6], v[19:20]
	v_fma_f64 v[5:6], v[5:6], v[17:18], -v[21:22]
	v_fma_f64 v[7:8], v[7:8], v[17:18], v[19:20]
	v_add_f64 v[3:4], v[3:4], -v[5:6]
	v_add_f64 v[11:12], v[11:12], -v[7:8]
.LBB246_31:                             ;   in Loop: Header=BB246_21 Depth=1
	s_or_b64 exec, exec, s[6:7]
	s_add_u32 s6, s4, -1
	s_addc_u32 s7, s5, -1
	s_add_u32 s4, s4, 1
	s_addc_u32 s5, s5, 0
	v_mov_b32_e32 v5, s13
	v_cmp_lt_u64_e64 s[4:5], s[4:5], 3
	v_add_co_u32_e32 v15, vcc, s12, v15
	v_addc_co_u32_e32 v16, vcc, v16, v5, vcc
	s_and_b64 vcc, exec, s[4:5]
	s_cbranch_vccnz .LBB246_33
; %bb.32:                               ;   in Loop: Header=BB246_21 Depth=1
	s_mov_b64 s[4:5], s[6:7]
	s_branch .LBB246_21
.LBB246_33:
	v_cmp_eq_u32_e32 vcc, 0, v0
	s_and_saveexec_b64 s[0:1], vcc
	s_cbranch_execz .LBB246_41
; %bb.34:
	s_add_u32 s4, s22, s20
	v_mad_u64_u32 v[1:2], s[4:5], s4, v0, 0
	s_addc_u32 s4, s23, s21
	v_mad_u64_u32 v[5:6], s[4:5], s4, v0, v[2:3]
	v_mov_b32_e32 v6, s3
	v_mov_b32_e32 v2, v5
	v_lshlrev_b64 v[0:1], 4, v[1:2]
	v_add_co_u32_e32 v0, vcc, s2, v0
	v_addc_co_u32_e32 v1, vcc, v6, v1, vcc
	flat_load_dwordx4 v[5:8], v[0:1]
	s_andn2_b64 vcc, exec, s[10:11]
	s_cbranch_vccnz .LBB246_40
; %bb.35:
	s_waitcnt vmcnt(0) lgkmcnt(0)
	v_cmp_ngt_f64_e64 s[2:3], |v[5:6]|, |v[7:8]|
	s_and_saveexec_b64 s[4:5], s[2:3]
	s_xor_b64 s[2:3], exec, s[4:5]
	s_cbranch_execz .LBB246_37
; %bb.36:
	v_div_scale_f64 v[0:1], s[4:5], v[7:8], v[7:8], v[5:6]
	v_rcp_f64_e32 v[13:14], v[0:1]
	v_fma_f64 v[15:16], -v[0:1], v[13:14], 1.0
	v_fma_f64 v[13:14], v[13:14], v[15:16], v[13:14]
	v_div_scale_f64 v[15:16], vcc, v[5:6], v[7:8], v[5:6]
	v_fma_f64 v[17:18], -v[0:1], v[13:14], 1.0
	v_fma_f64 v[13:14], v[13:14], v[17:18], v[13:14]
	v_mul_f64 v[17:18], v[15:16], v[13:14]
	v_fma_f64 v[0:1], -v[0:1], v[17:18], v[15:16]
	v_div_fmas_f64 v[0:1], v[0:1], v[13:14], v[17:18]
	v_div_fixup_f64 v[0:1], v[0:1], v[7:8], v[5:6]
	v_fma_f64 v[5:6], v[5:6], v[0:1], v[7:8]
	v_div_scale_f64 v[7:8], s[4:5], v[5:6], v[5:6], 1.0
	v_div_scale_f64 v[17:18], vcc, 1.0, v[5:6], 1.0
	v_rcp_f64_e32 v[13:14], v[7:8]
	v_fma_f64 v[15:16], -v[7:8], v[13:14], 1.0
	v_fma_f64 v[13:14], v[13:14], v[15:16], v[13:14]
	v_fma_f64 v[15:16], -v[7:8], v[13:14], 1.0
	v_fma_f64 v[13:14], v[13:14], v[15:16], v[13:14]
	v_mul_f64 v[15:16], v[17:18], v[13:14]
	v_fma_f64 v[7:8], -v[7:8], v[15:16], v[17:18]
	v_div_fmas_f64 v[7:8], v[7:8], v[13:14], v[15:16]
	v_div_fixup_f64 v[7:8], v[7:8], v[5:6], 1.0
	v_mul_f64 v[5:6], v[0:1], v[7:8]
	v_xor_b32_e32 v8, 0x80000000, v8
.LBB246_37:
	s_andn2_saveexec_b64 s[2:3], s[2:3]
	s_cbranch_execz .LBB246_39
; %bb.38:
	v_div_scale_f64 v[0:1], s[4:5], v[5:6], v[5:6], v[7:8]
	v_rcp_f64_e32 v[13:14], v[0:1]
	v_fma_f64 v[15:16], -v[0:1], v[13:14], 1.0
	v_fma_f64 v[13:14], v[13:14], v[15:16], v[13:14]
	v_div_scale_f64 v[15:16], vcc, v[7:8], v[5:6], v[7:8]
	v_fma_f64 v[17:18], -v[0:1], v[13:14], 1.0
	v_fma_f64 v[13:14], v[13:14], v[17:18], v[13:14]
	v_mul_f64 v[17:18], v[15:16], v[13:14]
	v_fma_f64 v[0:1], -v[0:1], v[17:18], v[15:16]
	v_div_fmas_f64 v[0:1], v[0:1], v[13:14], v[17:18]
	v_div_fixup_f64 v[0:1], v[0:1], v[5:6], v[7:8]
	v_fma_f64 v[5:6], v[7:8], v[0:1], v[5:6]
	v_div_scale_f64 v[7:8], s[4:5], v[5:6], v[5:6], 1.0
	v_div_scale_f64 v[17:18], vcc, 1.0, v[5:6], 1.0
	v_rcp_f64_e32 v[13:14], v[7:8]
	v_fma_f64 v[15:16], -v[7:8], v[13:14], 1.0
	v_fma_f64 v[13:14], v[13:14], v[15:16], v[13:14]
	v_fma_f64 v[15:16], -v[7:8], v[13:14], 1.0
	v_fma_f64 v[13:14], v[13:14], v[15:16], v[13:14]
	v_mul_f64 v[15:16], v[17:18], v[13:14]
	v_fma_f64 v[7:8], -v[7:8], v[15:16], v[17:18]
	v_div_fmas_f64 v[7:8], v[7:8], v[13:14], v[15:16]
	v_div_fixup_f64 v[5:6], v[7:8], v[5:6], 1.0
	v_mul_f64 v[7:8], v[0:1], -v[5:6]
.LBB246_39:
	s_or_b64 exec, exec, s[2:3]
.LBB246_40:
	s_waitcnt vmcnt(0) lgkmcnt(0)
	v_mul_f64 v[0:1], v[11:12], v[7:8]
	v_mul_f64 v[11:12], v[11:12], v[5:6]
	v_fma_f64 v[0:1], v[3:4], v[5:6], -v[0:1]
	v_fma_f64 v[11:12], v[3:4], v[7:8], v[11:12]
	v_mov_b32_e32 v4, v1
	v_mov_b32_e32 v3, v0
.LBB246_41:
	s_or_b64 exec, exec, s[0:1]
	v_mov_b32_e32 v5, v11
	v_mov_b32_e32 v6, v12
	global_store_dwordx4 v[9:10], v[3:6], off
.LBB246_42:
	s_endpgm
	.section	.rodata,"a",@progbits
	.p2align	6, 0x0
	.amdhsa_kernel _ZL40rocblas_trsm_block_backward_substitutionI19rocblas_complex_numIdES1_PKS1_PS1_Lb0ELb1ELb0EEv18rocblas_operation_llT0_T1_lllT2_lllib
		.amdhsa_group_segment_fixed_size 0
		.amdhsa_private_segment_fixed_size 0
		.amdhsa_kernarg_size 368
		.amdhsa_user_sgpr_count 6
		.amdhsa_user_sgpr_private_segment_buffer 1
		.amdhsa_user_sgpr_dispatch_ptr 0
		.amdhsa_user_sgpr_queue_ptr 0
		.amdhsa_user_sgpr_kernarg_segment_ptr 1
		.amdhsa_user_sgpr_dispatch_id 0
		.amdhsa_user_sgpr_flat_scratch_init 0
		.amdhsa_user_sgpr_private_segment_size 0
		.amdhsa_uses_dynamic_stack 0
		.amdhsa_system_sgpr_private_segment_wavefront_offset 0
		.amdhsa_system_sgpr_workgroup_id_x 1
		.amdhsa_system_sgpr_workgroup_id_y 1
		.amdhsa_system_sgpr_workgroup_id_z 1
		.amdhsa_system_sgpr_workgroup_info 0
		.amdhsa_system_vgpr_workitem_id 1
		.amdhsa_next_free_vgpr 25
		.amdhsa_next_free_sgpr 38
		.amdhsa_reserve_vcc 1
		.amdhsa_reserve_flat_scratch 0
		.amdhsa_float_round_mode_32 0
		.amdhsa_float_round_mode_16_64 0
		.amdhsa_float_denorm_mode_32 3
		.amdhsa_float_denorm_mode_16_64 3
		.amdhsa_dx10_clamp 1
		.amdhsa_ieee_mode 1
		.amdhsa_fp16_overflow 0
		.amdhsa_exception_fp_ieee_invalid_op 0
		.amdhsa_exception_fp_denorm_src 0
		.amdhsa_exception_fp_ieee_div_zero 0
		.amdhsa_exception_fp_ieee_overflow 0
		.amdhsa_exception_fp_ieee_underflow 0
		.amdhsa_exception_fp_ieee_inexact 0
		.amdhsa_exception_int_div_zero 0
	.end_amdhsa_kernel
	.section	.text._ZL40rocblas_trsm_block_backward_substitutionI19rocblas_complex_numIdES1_PKS1_PS1_Lb0ELb1ELb0EEv18rocblas_operation_llT0_T1_lllT2_lllib,"axG",@progbits,_ZL40rocblas_trsm_block_backward_substitutionI19rocblas_complex_numIdES1_PKS1_PS1_Lb0ELb1ELb0EEv18rocblas_operation_llT0_T1_lllT2_lllib,comdat
.Lfunc_end246:
	.size	_ZL40rocblas_trsm_block_backward_substitutionI19rocblas_complex_numIdES1_PKS1_PS1_Lb0ELb1ELb0EEv18rocblas_operation_llT0_T1_lllT2_lllib, .Lfunc_end246-_ZL40rocblas_trsm_block_backward_substitutionI19rocblas_complex_numIdES1_PKS1_PS1_Lb0ELb1ELb0EEv18rocblas_operation_llT0_T1_lllT2_lllib
                                        ; -- End function
	.set _ZL40rocblas_trsm_block_backward_substitutionI19rocblas_complex_numIdES1_PKS1_PS1_Lb0ELb1ELb0EEv18rocblas_operation_llT0_T1_lllT2_lllib.num_vgpr, 25
	.set _ZL40rocblas_trsm_block_backward_substitutionI19rocblas_complex_numIdES1_PKS1_PS1_Lb0ELb1ELb0EEv18rocblas_operation_llT0_T1_lllT2_lllib.num_agpr, 0
	.set _ZL40rocblas_trsm_block_backward_substitutionI19rocblas_complex_numIdES1_PKS1_PS1_Lb0ELb1ELb0EEv18rocblas_operation_llT0_T1_lllT2_lllib.numbered_sgpr, 38
	.set _ZL40rocblas_trsm_block_backward_substitutionI19rocblas_complex_numIdES1_PKS1_PS1_Lb0ELb1ELb0EEv18rocblas_operation_llT0_T1_lllT2_lllib.num_named_barrier, 0
	.set _ZL40rocblas_trsm_block_backward_substitutionI19rocblas_complex_numIdES1_PKS1_PS1_Lb0ELb1ELb0EEv18rocblas_operation_llT0_T1_lllT2_lllib.private_seg_size, 0
	.set _ZL40rocblas_trsm_block_backward_substitutionI19rocblas_complex_numIdES1_PKS1_PS1_Lb0ELb1ELb0EEv18rocblas_operation_llT0_T1_lllT2_lllib.uses_vcc, 1
	.set _ZL40rocblas_trsm_block_backward_substitutionI19rocblas_complex_numIdES1_PKS1_PS1_Lb0ELb1ELb0EEv18rocblas_operation_llT0_T1_lllT2_lllib.uses_flat_scratch, 0
	.set _ZL40rocblas_trsm_block_backward_substitutionI19rocblas_complex_numIdES1_PKS1_PS1_Lb0ELb1ELb0EEv18rocblas_operation_llT0_T1_lllT2_lllib.has_dyn_sized_stack, 0
	.set _ZL40rocblas_trsm_block_backward_substitutionI19rocblas_complex_numIdES1_PKS1_PS1_Lb0ELb1ELb0EEv18rocblas_operation_llT0_T1_lllT2_lllib.has_recursion, 0
	.set _ZL40rocblas_trsm_block_backward_substitutionI19rocblas_complex_numIdES1_PKS1_PS1_Lb0ELb1ELb0EEv18rocblas_operation_llT0_T1_lllT2_lllib.has_indirect_call, 0
	.section	.AMDGPU.csdata,"",@progbits
; Kernel info:
; codeLenInByte = 2512
; TotalNumSgprs: 42
; NumVgprs: 25
; ScratchSize: 0
; MemoryBound: 1
; FloatMode: 240
; IeeeMode: 1
; LDSByteSize: 0 bytes/workgroup (compile time only)
; SGPRBlocks: 5
; VGPRBlocks: 6
; NumSGPRsForWavesPerEU: 42
; NumVGPRsForWavesPerEU: 25
; Occupancy: 9
; WaveLimiterHint : 1
; COMPUTE_PGM_RSRC2:SCRATCH_EN: 0
; COMPUTE_PGM_RSRC2:USER_SGPR: 6
; COMPUTE_PGM_RSRC2:TRAP_HANDLER: 0
; COMPUTE_PGM_RSRC2:TGID_X_EN: 1
; COMPUTE_PGM_RSRC2:TGID_Y_EN: 1
; COMPUTE_PGM_RSRC2:TGID_Z_EN: 1
; COMPUTE_PGM_RSRC2:TIDIG_COMP_CNT: 1
	.section	.text._ZL39rocblas_trsm_block_forward_substitutionI19rocblas_complex_numIdES1_PKS1_PS1_Lb0ELb1ELb1EEv18rocblas_operation_llT0_T1_lllT2_lllib,"axG",@progbits,_ZL39rocblas_trsm_block_forward_substitutionI19rocblas_complex_numIdES1_PKS1_PS1_Lb0ELb1ELb1EEv18rocblas_operation_llT0_T1_lllT2_lllib,comdat
	.globl	_ZL39rocblas_trsm_block_forward_substitutionI19rocblas_complex_numIdES1_PKS1_PS1_Lb0ELb1ELb1EEv18rocblas_operation_llT0_T1_lllT2_lllib ; -- Begin function _ZL39rocblas_trsm_block_forward_substitutionI19rocblas_complex_numIdES1_PKS1_PS1_Lb0ELb1ELb1EEv18rocblas_operation_llT0_T1_lllT2_lllib
	.p2align	8
	.type	_ZL39rocblas_trsm_block_forward_substitutionI19rocblas_complex_numIdES1_PKS1_PS1_Lb0ELb1ELb1EEv18rocblas_operation_llT0_T1_lllT2_lllib,@function
_ZL39rocblas_trsm_block_forward_substitutionI19rocblas_complex_numIdES1_PKS1_PS1_Lb0ELb1ELb1EEv18rocblas_operation_llT0_T1_lllT2_lllib: ; @_ZL39rocblas_trsm_block_forward_substitutionI19rocblas_complex_numIdES1_PKS1_PS1_Lb0ELb1ELb1EEv18rocblas_operation_llT0_T1_lllT2_lllib
; %bb.0:
	s_load_dwordx16 s[12:27], s[4:5], 0x8
	s_load_dword s9, s[4:5], 0x6c
	s_load_dword s6, s[4:5], 0x7c
	v_mov_b32_e32 v2, v1
	s_waitcnt lgkmcnt(0)
	s_mul_i32 s0, s27, s8
	s_mul_hi_u32 s1, s26, s8
	s_add_i32 s1, s1, s0
	s_mul_i32 s0, s26, s8
	s_lshl_b64 s[0:1], s[0:1], 4
	s_add_u32 s2, s20, s0
	s_addc_u32 s3, s21, s1
	s_lshl_b64 s[0:1], s[22:23], 4
	s_add_u32 s2, s2, s0
	s_addc_u32 s3, s3, s1
	s_add_u32 s10, s4, 0x70
	s_addc_u32 s11, s5, 0
	s_lshr_b32 s6, s6, 16
	s_bitcmp0_b32 s9, 0
	s_cbranch_scc1 .LBB247_7
; %bb.1:
	v_cmp_lt_i64_e64 s[0:1], s[12:13], 1
	s_lshl_b32 s9, s6, 4
	s_add_i32 s20, s9, 0
	s_and_b64 vcc, exec, s[0:1]
	s_cbranch_vccnz .LBB247_6
; %bb.2:
	v_lshlrev_b32_e32 v4, 4, v0
	v_mov_b32_e32 v1, 0
	v_cmp_gt_u64_e64 s[0:1], s[12:13], v[0:1]
	v_mov_b32_e32 v5, s3
	v_add_co_u32_e32 v1, vcc, s2, v4
	v_add_u32_e32 v3, s20, v4
	v_addc_co_u32_e32 v4, vcc, 0, v5, vcc
	s_mov_b32 s9, 0
	s_branch .LBB247_4
.LBB247_3:                              ;   in Loop: Header=BB247_4 Depth=1
	s_or_b64 exec, exec, s[2:3]
	s_add_i32 s9, s9, s6
	s_ashr_i32 s2, s9, 31
	v_mov_b32_e32 v5, s9
	v_mov_b32_e32 v6, s2
	v_cmp_le_i64_e32 vcc, s[12:13], v[5:6]
	s_cbranch_vccnz .LBB247_6
.LBB247_4:                              ; =>This Inner Loop Header: Depth=1
	v_add_u32_e32 v5, s9, v2
	v_cmp_gt_i32_e32 vcc, v0, v5
	s_and_b64 s[22:23], s[0:1], vcc
	s_and_saveexec_b64 s[2:3], s[22:23]
	s_cbranch_execz .LBB247_3
; %bb.5:                                ;   in Loop: Header=BB247_4 Depth=1
	v_ashrrev_i32_e32 v8, 31, v5
	v_mul_lo_u32 v9, s25, v5
	v_mad_u64_u32 v[6:7], s[22:23], s24, v5, 0
	v_mul_lo_u32 v8, s24, v8
	s_load_dword s21, s[10:11], 0xc
	v_add3_u32 v7, v7, v8, v9
	v_lshlrev_b64 v[6:7], 4, v[6:7]
	s_waitcnt lgkmcnt(0)
	s_and_b32 s21, s21, 0xffff
	v_add_co_u32_e32 v6, vcc, v1, v6
	v_addc_co_u32_e32 v7, vcc, v4, v7, vcc
	global_load_dwordx4 v[6:9], v[6:7], off
	v_mul_lo_u32 v5, v5, s21
	v_lshl_add_u32 v5, v5, 4, v3
	s_waitcnt vmcnt(0)
	ds_write2_b64 v5, v[6:7], v[8:9] offset1:1
	s_branch .LBB247_3
.LBB247_6:
	s_mov_b64 s[0:1], src_shared_base
	s_load_dword s0, s[10:11], 0xc
	s_mov_b32 s21, s1
	s_mov_b32 s25, 0
	s_mov_b64 s[2:3], s[20:21]
	s_waitcnt lgkmcnt(0)
	s_and_b32 s24, s0, 0xffff
.LBB247_7:
	s_mul_i32 s7, s7, s6
	v_add_u32_e32 v3, s7, v2
	v_mov_b32_e32 v4, 0
	v_cmp_gt_i64_e32 vcc, s[14:15], v[3:4]
	s_and_saveexec_b64 s[0:1], vcc
	s_cbranch_execz .LBB247_17
; %bb.8:
	v_mov_b32_e32 v1, v4
	v_cmp_gt_i64_e32 vcc, s[12:13], v[0:1]
	s_and_b64 exec, exec, vcc
	s_cbranch_execz .LBB247_17
; %bb.9:
	s_load_dwordx8 s[36:43], s[4:5], 0x48
	v_lshlrev_b64 v[3:4], 4, v[3:4]
	s_waitcnt lgkmcnt(0)
	s_mul_i32 s1, s43, s8
	s_mul_hi_u32 s9, s42, s8
	v_mad_u64_u32 v[5:6], s[6:7], s40, v0, 0
	s_mul_i32 s0, s42, s8
	s_add_i32 s1, s9, s1
	s_lshl_b64 s[0:1], s[0:1], 4
	s_add_u32 s6, s36, s0
	s_addc_u32 s7, s37, s1
	v_mad_u64_u32 v[6:7], s[0:1], s41, v0, v[6:7]
	s_lshl_b64 s[0:1], s[38:39], 4
	s_add_u32 s0, s6, s0
	v_lshlrev_b64 v[5:6], 4, v[5:6]
	s_addc_u32 s1, s7, s1
	v_mov_b32_e32 v7, s1
	v_add_co_u32_e32 v5, vcc, s0, v5
	v_addc_co_u32_e32 v6, vcc, v7, v6, vcc
	v_add_co_u32_e32 v7, vcc, v5, v3
	v_addc_co_u32_e32 v8, vcc, v6, v4, vcc
	global_load_dwordx4 v[9:12], v[7:8], off
	v_cmp_lt_u64_e64 s[0:1], s[12:13], 2
	s_and_b64 vcc, exec, s[0:1]
	s_waitcnt vmcnt(0)
	v_mul_f64 v[3:4], s[18:19], v[11:12]
	v_mul_f64 v[5:6], s[16:17], v[11:12]
	v_fma_f64 v[3:4], s[16:17], v[9:10], -v[3:4]
	v_fma_f64 v[5:6], s[18:19], v[9:10], v[5:6]
	s_cbranch_vccnz .LBB247_16
; %bb.10:
	s_load_dword s0, s[4:5], 0x0
	v_lshlrev_b32_e32 v9, 4, v0
	v_mov_b32_e32 v10, s3
	v_add_co_u32_e32 v9, vcc, s2, v9
	v_addc_co_u32_e32 v10, vcc, 0, v10, vcc
	s_waitcnt lgkmcnt(0)
	s_cmpk_eq_i32 s0, 0x71
	s_cselect_b64 vcc, -1, 0
	s_add_u32 s2, s12, -1
	v_lshl_add_u32 v2, v2, 4, 0
	s_addc_u32 s3, s13, -1
	s_lshl_b64 s[4:5], s[24:25], 4
	s_mov_b64 s[6:7], 0
	s_branch .LBB247_12
.LBB247_11:                             ;   in Loop: Header=BB247_12 Depth=1
	s_or_b64 exec, exec, s[8:9]
	s_add_u32 s6, s6, 1
	s_addc_u32 s7, s7, 0
	v_mov_b32_e32 v11, s5
	v_add_co_u32_e64 v9, s[0:1], s4, v9
	s_cmp_eq_u64 s[2:3], s[6:7]
	v_addc_co_u32_e64 v10, s[0:1], v10, v11, s[0:1]
	s_cbranch_scc1 .LBB247_16
.LBB247_12:                             ; =>This Inner Loop Header: Depth=1
	v_cmp_eq_u64_e64 s[0:1], s[6:7], v[0:1]
	s_barrier
	s_and_saveexec_b64 s[8:9], s[0:1]
; %bb.13:                               ;   in Loop: Header=BB247_12 Depth=1
	ds_write2_b64 v2, v[3:4], v[5:6] offset1:1
; %bb.14:                               ;   in Loop: Header=BB247_12 Depth=1
	s_or_b64 exec, exec, s[8:9]
	v_cmp_lt_u64_e64 s[0:1], s[6:7], v[0:1]
	s_waitcnt lgkmcnt(0)
	s_barrier
	s_and_saveexec_b64 s[8:9], s[0:1]
	s_cbranch_execz .LBB247_11
; %bb.15:                               ;   in Loop: Header=BB247_12 Depth=1
	flat_load_dwordx4 v[11:14], v[9:10]
	ds_read2_b64 v[15:18], v2 offset1:1
	s_waitcnt vmcnt(0) lgkmcnt(0)
	v_xor_b32_e32 v19, 0x80000000, v14
	v_cndmask_b32_e32 v14, v14, v19, vcc
	v_mul_f64 v[19:20], v[13:14], v[17:18]
	v_mul_f64 v[17:18], v[11:12], v[17:18]
	v_fma_f64 v[11:12], v[11:12], v[15:16], -v[19:20]
	v_fma_f64 v[13:14], v[13:14], v[15:16], v[17:18]
	v_add_f64 v[3:4], v[3:4], -v[11:12]
	v_add_f64 v[5:6], v[5:6], -v[13:14]
	s_branch .LBB247_11
.LBB247_16:
	global_store_dwordx4 v[7:8], v[3:6], off
.LBB247_17:
	s_endpgm
	.section	.rodata,"a",@progbits
	.p2align	6, 0x0
	.amdhsa_kernel _ZL39rocblas_trsm_block_forward_substitutionI19rocblas_complex_numIdES1_PKS1_PS1_Lb0ELb1ELb1EEv18rocblas_operation_llT0_T1_lllT2_lllib
		.amdhsa_group_segment_fixed_size 0
		.amdhsa_private_segment_fixed_size 0
		.amdhsa_kernarg_size 368
		.amdhsa_user_sgpr_count 6
		.amdhsa_user_sgpr_private_segment_buffer 1
		.amdhsa_user_sgpr_dispatch_ptr 0
		.amdhsa_user_sgpr_queue_ptr 0
		.amdhsa_user_sgpr_kernarg_segment_ptr 1
		.amdhsa_user_sgpr_dispatch_id 0
		.amdhsa_user_sgpr_flat_scratch_init 0
		.amdhsa_user_sgpr_private_segment_size 0
		.amdhsa_uses_dynamic_stack 0
		.amdhsa_system_sgpr_private_segment_wavefront_offset 0
		.amdhsa_system_sgpr_workgroup_id_x 1
		.amdhsa_system_sgpr_workgroup_id_y 1
		.amdhsa_system_sgpr_workgroup_id_z 1
		.amdhsa_system_sgpr_workgroup_info 0
		.amdhsa_system_vgpr_workitem_id 1
		.amdhsa_next_free_vgpr 21
		.amdhsa_next_free_sgpr 44
		.amdhsa_reserve_vcc 1
		.amdhsa_reserve_flat_scratch 0
		.amdhsa_float_round_mode_32 0
		.amdhsa_float_round_mode_16_64 0
		.amdhsa_float_denorm_mode_32 3
		.amdhsa_float_denorm_mode_16_64 3
		.amdhsa_dx10_clamp 1
		.amdhsa_ieee_mode 1
		.amdhsa_fp16_overflow 0
		.amdhsa_exception_fp_ieee_invalid_op 0
		.amdhsa_exception_fp_denorm_src 0
		.amdhsa_exception_fp_ieee_div_zero 0
		.amdhsa_exception_fp_ieee_overflow 0
		.amdhsa_exception_fp_ieee_underflow 0
		.amdhsa_exception_fp_ieee_inexact 0
		.amdhsa_exception_int_div_zero 0
	.end_amdhsa_kernel
	.section	.text._ZL39rocblas_trsm_block_forward_substitutionI19rocblas_complex_numIdES1_PKS1_PS1_Lb0ELb1ELb1EEv18rocblas_operation_llT0_T1_lllT2_lllib,"axG",@progbits,_ZL39rocblas_trsm_block_forward_substitutionI19rocblas_complex_numIdES1_PKS1_PS1_Lb0ELb1ELb1EEv18rocblas_operation_llT0_T1_lllT2_lllib,comdat
.Lfunc_end247:
	.size	_ZL39rocblas_trsm_block_forward_substitutionI19rocblas_complex_numIdES1_PKS1_PS1_Lb0ELb1ELb1EEv18rocblas_operation_llT0_T1_lllT2_lllib, .Lfunc_end247-_ZL39rocblas_trsm_block_forward_substitutionI19rocblas_complex_numIdES1_PKS1_PS1_Lb0ELb1ELb1EEv18rocblas_operation_llT0_T1_lllT2_lllib
                                        ; -- End function
	.set _ZL39rocblas_trsm_block_forward_substitutionI19rocblas_complex_numIdES1_PKS1_PS1_Lb0ELb1ELb1EEv18rocblas_operation_llT0_T1_lllT2_lllib.num_vgpr, 21
	.set _ZL39rocblas_trsm_block_forward_substitutionI19rocblas_complex_numIdES1_PKS1_PS1_Lb0ELb1ELb1EEv18rocblas_operation_llT0_T1_lllT2_lllib.num_agpr, 0
	.set _ZL39rocblas_trsm_block_forward_substitutionI19rocblas_complex_numIdES1_PKS1_PS1_Lb0ELb1ELb1EEv18rocblas_operation_llT0_T1_lllT2_lllib.numbered_sgpr, 44
	.set _ZL39rocblas_trsm_block_forward_substitutionI19rocblas_complex_numIdES1_PKS1_PS1_Lb0ELb1ELb1EEv18rocblas_operation_llT0_T1_lllT2_lllib.num_named_barrier, 0
	.set _ZL39rocblas_trsm_block_forward_substitutionI19rocblas_complex_numIdES1_PKS1_PS1_Lb0ELb1ELb1EEv18rocblas_operation_llT0_T1_lllT2_lllib.private_seg_size, 0
	.set _ZL39rocblas_trsm_block_forward_substitutionI19rocblas_complex_numIdES1_PKS1_PS1_Lb0ELb1ELb1EEv18rocblas_operation_llT0_T1_lllT2_lllib.uses_vcc, 1
	.set _ZL39rocblas_trsm_block_forward_substitutionI19rocblas_complex_numIdES1_PKS1_PS1_Lb0ELb1ELb1EEv18rocblas_operation_llT0_T1_lllT2_lllib.uses_flat_scratch, 0
	.set _ZL39rocblas_trsm_block_forward_substitutionI19rocblas_complex_numIdES1_PKS1_PS1_Lb0ELb1ELb1EEv18rocblas_operation_llT0_T1_lllT2_lllib.has_dyn_sized_stack, 0
	.set _ZL39rocblas_trsm_block_forward_substitutionI19rocblas_complex_numIdES1_PKS1_PS1_Lb0ELb1ELb1EEv18rocblas_operation_llT0_T1_lllT2_lllib.has_recursion, 0
	.set _ZL39rocblas_trsm_block_forward_substitutionI19rocblas_complex_numIdES1_PKS1_PS1_Lb0ELb1ELb1EEv18rocblas_operation_llT0_T1_lllT2_lllib.has_indirect_call, 0
	.section	.AMDGPU.csdata,"",@progbits
; Kernel info:
; codeLenInByte = 812
; TotalNumSgprs: 48
; NumVgprs: 21
; ScratchSize: 0
; MemoryBound: 0
; FloatMode: 240
; IeeeMode: 1
; LDSByteSize: 0 bytes/workgroup (compile time only)
; SGPRBlocks: 5
; VGPRBlocks: 5
; NumSGPRsForWavesPerEU: 48
; NumVGPRsForWavesPerEU: 21
; Occupancy: 10
; WaveLimiterHint : 1
; COMPUTE_PGM_RSRC2:SCRATCH_EN: 0
; COMPUTE_PGM_RSRC2:USER_SGPR: 6
; COMPUTE_PGM_RSRC2:TRAP_HANDLER: 0
; COMPUTE_PGM_RSRC2:TGID_X_EN: 1
; COMPUTE_PGM_RSRC2:TGID_Y_EN: 1
; COMPUTE_PGM_RSRC2:TGID_Z_EN: 1
; COMPUTE_PGM_RSRC2:TIDIG_COMP_CNT: 1
	.section	.text._ZL40rocblas_trsm_block_backward_substitutionI19rocblas_complex_numIdES1_PKS1_PS1_Lb0ELb1ELb1EEv18rocblas_operation_llT0_T1_lllT2_lllib,"axG",@progbits,_ZL40rocblas_trsm_block_backward_substitutionI19rocblas_complex_numIdES1_PKS1_PS1_Lb0ELb1ELb1EEv18rocblas_operation_llT0_T1_lllT2_lllib,comdat
	.globl	_ZL40rocblas_trsm_block_backward_substitutionI19rocblas_complex_numIdES1_PKS1_PS1_Lb0ELb1ELb1EEv18rocblas_operation_llT0_T1_lllT2_lllib ; -- Begin function _ZL40rocblas_trsm_block_backward_substitutionI19rocblas_complex_numIdES1_PKS1_PS1_Lb0ELb1ELb1EEv18rocblas_operation_llT0_T1_lllT2_lllib
	.p2align	8
	.type	_ZL40rocblas_trsm_block_backward_substitutionI19rocblas_complex_numIdES1_PKS1_PS1_Lb0ELb1ELb1EEv18rocblas_operation_llT0_T1_lllT2_lllib,@function
_ZL40rocblas_trsm_block_backward_substitutionI19rocblas_complex_numIdES1_PKS1_PS1_Lb0ELb1ELb1EEv18rocblas_operation_llT0_T1_lllT2_lllib: ; @_ZL40rocblas_trsm_block_backward_substitutionI19rocblas_complex_numIdES1_PKS1_PS1_Lb0ELb1ELb1EEv18rocblas_operation_llT0_T1_lllT2_lllib
; %bb.0:
	s_load_dwordx16 s[12:27], s[4:5], 0x8
	s_load_dword s9, s[4:5], 0x6c
	s_load_dword s6, s[4:5], 0x7c
	v_mov_b32_e32 v2, v1
	s_waitcnt lgkmcnt(0)
	s_mul_i32 s0, s27, s8
	s_mul_hi_u32 s1, s26, s8
	s_add_i32 s1, s1, s0
	s_mul_i32 s0, s26, s8
	s_lshl_b64 s[0:1], s[0:1], 4
	s_add_u32 s2, s20, s0
	s_addc_u32 s3, s21, s1
	s_lshl_b64 s[0:1], s[22:23], 4
	s_add_u32 s2, s2, s0
	s_addc_u32 s3, s3, s1
	s_add_u32 s22, s4, 0x70
	s_addc_u32 s23, s5, 0
	s_lshr_b32 s6, s6, 16
	s_bitcmp0_b32 s9, 0
	s_mov_b64 s[20:21], 1
	s_cbranch_scc1 .LBB248_6
; %bb.1:
	s_lshl_b32 s0, s6, 4
	s_add_i32 s26, s0, 0
	v_cmp_lt_i64_e64 s[0:1], s[12:13], 1
	s_mov_b64 s[10:11], 1
	s_and_b64 vcc, exec, s[0:1]
	s_cbranch_vccnz .LBB248_7
; %bb.2:
	v_mad_u64_u32 v[3:4], s[0:1], s24, v0, 0
	v_lshl_add_u32 v5, v0, 4, s26
	s_mov_b32 s9, 0
	v_mov_b32_e32 v1, v4
	v_mad_u64_u32 v[6:7], s[0:1], s25, v0, v[1:2]
	v_mov_b32_e32 v1, 0
	v_mov_b32_e32 v7, s3
	;; [unrolled: 1-line block ×3, first 2 shown]
	v_lshlrev_b64 v[3:4], 4, v[3:4]
	v_cmp_gt_u64_e64 s[0:1], s[12:13], v[0:1]
	v_add_co_u32_e32 v1, vcc, s2, v3
	v_addc_co_u32_e32 v6, vcc, v7, v4, vcc
	s_branch .LBB248_4
.LBB248_3:                              ;   in Loop: Header=BB248_4 Depth=1
	s_or_b64 exec, exec, s[2:3]
	s_add_i32 s9, s9, s6
	s_ashr_i32 s2, s9, 31
	v_mov_b32_e32 v3, s9
	v_mov_b32_e32 v4, s2
	v_cmp_le_i64_e32 vcc, s[12:13], v[3:4]
	s_cbranch_vccnz .LBB248_7
.LBB248_4:                              ; =>This Inner Loop Header: Depth=1
	v_add_u32_e32 v3, s9, v2
	v_ashrrev_i32_e32 v4, 31, v3
	v_cmp_gt_i64_e32 vcc, s[12:13], v[3:4]
	v_cmp_lt_i32_e64 s[2:3], v0, v3
	s_and_b64 s[2:3], s[2:3], vcc
	s_and_b64 s[20:21], s[0:1], s[2:3]
	s_and_saveexec_b64 s[2:3], s[20:21]
	s_cbranch_execz .LBB248_3
; %bb.5:                                ;   in Loop: Header=BB248_4 Depth=1
	v_lshlrev_b64 v[7:8], 4, v[3:4]
	s_load_dword s20, s[22:23], 0xc
	v_add_co_u32_e32 v7, vcc, v1, v7
	v_addc_co_u32_e32 v8, vcc, v6, v8, vcc
	global_load_dwordx4 v[7:10], v[7:8], off
	s_waitcnt lgkmcnt(0)
	s_and_b32 s20, s20, 0xffff
	v_mul_lo_u32 v3, v3, s20
	v_lshl_add_u32 v3, v3, 4, v5
	s_waitcnt vmcnt(0)
	ds_write2_b64 v3, v[7:8], v[9:10] offset1:1
	s_branch .LBB248_3
.LBB248_6:
	s_mov_b64 s[10:11], s[24:25]
	s_branch .LBB248_8
.LBB248_7:
	s_mov_b64 s[0:1], src_shared_base
	s_load_dword s0, s[22:23], 0xc
	s_mov_b32 s27, s1
	s_mov_b64 s[2:3], s[26:27]
	s_waitcnt lgkmcnt(0)
	s_and_b32 s20, s0, 0xffff
.LBB248_8:
	s_mul_i32 s7, s7, s6
	v_add_u32_e32 v3, s7, v2
	v_mov_b32_e32 v4, 0
	v_cmp_gt_i64_e32 vcc, s[14:15], v[3:4]
	s_and_saveexec_b64 s[0:1], vcc
	s_cbranch_execz .LBB248_19
; %bb.9:
	v_mov_b32_e32 v1, v4
	v_cmp_gt_i64_e32 vcc, s[12:13], v[0:1]
	s_and_b64 exec, exec, vcc
	s_cbranch_execz .LBB248_19
; %bb.10:
	s_load_dwordx8 s[24:31], s[4:5], 0x48
	s_waitcnt lgkmcnt(0)
	s_mul_i32 s1, s31, s8
	s_mul_hi_u32 s9, s30, s8
	v_mad_u64_u32 v[4:5], s[6:7], s28, v3, 0
	s_mul_i32 s0, s30, s8
	s_add_i32 s1, s9, s1
	s_lshl_b64 s[0:1], s[0:1], 4
	s_add_u32 s6, s24, s0
	s_addc_u32 s7, s25, s1
	v_mad_u64_u32 v[5:6], s[0:1], s29, v3, v[5:6]
	s_lshl_b64 s[0:1], s[26:27], 4
	s_add_u32 s0, s6, s0
	v_lshlrev_b64 v[3:4], 4, v[4:5]
	s_addc_u32 s1, s7, s1
	v_mov_b32_e32 v5, s1
	v_add_co_u32_e32 v3, vcc, s0, v3
	v_addc_co_u32_e32 v4, vcc, v5, v4, vcc
	v_lshlrev_b32_e32 v5, 4, v0
	v_add_co_u32_e32 v7, vcc, v3, v5
	v_addc_co_u32_e32 v8, vcc, 0, v4, vcc
	global_load_dwordx4 v[9:12], v[7:8], off
	v_cmp_lt_u64_e64 s[0:1], s[12:13], 2
	s_and_b64 vcc, exec, s[0:1]
	s_waitcnt vmcnt(0)
	v_mul_f64 v[3:4], s[18:19], v[11:12]
	v_mul_f64 v[5:6], s[16:17], v[11:12]
	v_fma_f64 v[3:4], s[16:17], v[9:10], -v[3:4]
	v_fma_f64 v[5:6], s[18:19], v[9:10], v[5:6]
	s_cbranch_vccnz .LBB248_18
; %bb.11:
	s_load_dword s4, s[4:5], 0x0
	v_mad_u64_u32 v[9:10], s[0:1], s10, v0, 0
	v_lshl_add_u32 v2, v2, 4, 0
	v_mad_u64_u32 v[10:11], s[0:1], s11, v0, v[10:11]
	s_waitcnt lgkmcnt(0)
	s_cmpk_eq_i32 s4, 0x71
	s_cselect_b64 s[0:1], -1, 0
	s_add_u32 s4, s12, -1
	s_addc_u32 s5, s13, -1
	s_mul_i32 s6, s20, s5
	s_mul_hi_u32 s7, s20, s4
	s_add_i32 s7, s7, s6
	s_mul_i32 s6, s20, s4
	s_lshl_b64 s[6:7], s[6:7], 4
	v_lshlrev_b64 v[9:10], 4, v[9:10]
	s_add_u32 s2, s2, s6
	s_addc_u32 s3, s3, s7
	v_add_co_u32_e32 v9, vcc, s2, v9
	s_lshl_b32 s2, s20, 4
	v_mov_b32_e32 v11, s3
	s_sub_u32 s6, 0, s2
	v_addc_co_u32_e32 v10, vcc, v11, v10, vcc
	s_subb_u32 s7, 0, 0
.LBB248_12:                             ; =>This Inner Loop Header: Depth=1
	v_cmp_eq_u64_e32 vcc, s[4:5], v[0:1]
	s_barrier
	s_and_saveexec_b64 s[2:3], vcc
; %bb.13:                               ;   in Loop: Header=BB248_12 Depth=1
	ds_write2_b64 v2, v[3:4], v[5:6] offset1:1
; %bb.14:                               ;   in Loop: Header=BB248_12 Depth=1
	s_or_b64 exec, exec, s[2:3]
	v_cmp_gt_i64_e32 vcc, s[4:5], v[0:1]
	s_waitcnt lgkmcnt(0)
	s_barrier
	s_and_saveexec_b64 s[2:3], vcc
	s_cbranch_execz .LBB248_16
; %bb.15:                               ;   in Loop: Header=BB248_12 Depth=1
	flat_load_dwordx4 v[11:14], v[9:10]
	ds_read2_b64 v[15:18], v2 offset1:1
	s_waitcnt vmcnt(0) lgkmcnt(0)
	v_xor_b32_e32 v19, 0x80000000, v14
	v_cndmask_b32_e64 v14, v14, v19, s[0:1]
	v_mul_f64 v[19:20], v[13:14], v[17:18]
	v_mul_f64 v[17:18], v[11:12], v[17:18]
	v_fma_f64 v[11:12], v[11:12], v[15:16], -v[19:20]
	v_fma_f64 v[13:14], v[13:14], v[15:16], v[17:18]
	v_add_f64 v[3:4], v[3:4], -v[11:12]
	v_add_f64 v[5:6], v[5:6], -v[13:14]
.LBB248_16:                             ;   in Loop: Header=BB248_12 Depth=1
	s_or_b64 exec, exec, s[2:3]
	s_add_u32 s2, s4, -1
	s_addc_u32 s3, s5, -1
	s_add_u32 s4, s4, 1
	s_addc_u32 s5, s5, 0
	v_mov_b32_e32 v11, s7
	v_cmp_lt_u64_e64 s[4:5], s[4:5], 3
	v_add_co_u32_e32 v9, vcc, s6, v9
	v_addc_co_u32_e32 v10, vcc, v10, v11, vcc
	s_and_b64 vcc, exec, s[4:5]
	s_cbranch_vccnz .LBB248_18
; %bb.17:                               ;   in Loop: Header=BB248_12 Depth=1
	s_mov_b64 s[4:5], s[2:3]
	s_branch .LBB248_12
.LBB248_18:
	global_store_dwordx4 v[7:8], v[3:6], off
.LBB248_19:
	s_endpgm
	.section	.rodata,"a",@progbits
	.p2align	6, 0x0
	.amdhsa_kernel _ZL40rocblas_trsm_block_backward_substitutionI19rocblas_complex_numIdES1_PKS1_PS1_Lb0ELb1ELb1EEv18rocblas_operation_llT0_T1_lllT2_lllib
		.amdhsa_group_segment_fixed_size 0
		.amdhsa_private_segment_fixed_size 0
		.amdhsa_kernarg_size 368
		.amdhsa_user_sgpr_count 6
		.amdhsa_user_sgpr_private_segment_buffer 1
		.amdhsa_user_sgpr_dispatch_ptr 0
		.amdhsa_user_sgpr_queue_ptr 0
		.amdhsa_user_sgpr_kernarg_segment_ptr 1
		.amdhsa_user_sgpr_dispatch_id 0
		.amdhsa_user_sgpr_flat_scratch_init 0
		.amdhsa_user_sgpr_private_segment_size 0
		.amdhsa_uses_dynamic_stack 0
		.amdhsa_system_sgpr_private_segment_wavefront_offset 0
		.amdhsa_system_sgpr_workgroup_id_x 1
		.amdhsa_system_sgpr_workgroup_id_y 1
		.amdhsa_system_sgpr_workgroup_id_z 1
		.amdhsa_system_sgpr_workgroup_info 0
		.amdhsa_system_vgpr_workitem_id 1
		.amdhsa_next_free_vgpr 21
		.amdhsa_next_free_sgpr 32
		.amdhsa_reserve_vcc 1
		.amdhsa_reserve_flat_scratch 0
		.amdhsa_float_round_mode_32 0
		.amdhsa_float_round_mode_16_64 0
		.amdhsa_float_denorm_mode_32 3
		.amdhsa_float_denorm_mode_16_64 3
		.amdhsa_dx10_clamp 1
		.amdhsa_ieee_mode 1
		.amdhsa_fp16_overflow 0
		.amdhsa_exception_fp_ieee_invalid_op 0
		.amdhsa_exception_fp_denorm_src 0
		.amdhsa_exception_fp_ieee_div_zero 0
		.amdhsa_exception_fp_ieee_overflow 0
		.amdhsa_exception_fp_ieee_underflow 0
		.amdhsa_exception_fp_ieee_inexact 0
		.amdhsa_exception_int_div_zero 0
	.end_amdhsa_kernel
	.section	.text._ZL40rocblas_trsm_block_backward_substitutionI19rocblas_complex_numIdES1_PKS1_PS1_Lb0ELb1ELb1EEv18rocblas_operation_llT0_T1_lllT2_lllib,"axG",@progbits,_ZL40rocblas_trsm_block_backward_substitutionI19rocblas_complex_numIdES1_PKS1_PS1_Lb0ELb1ELb1EEv18rocblas_operation_llT0_T1_lllT2_lllib,comdat
.Lfunc_end248:
	.size	_ZL40rocblas_trsm_block_backward_substitutionI19rocblas_complex_numIdES1_PKS1_PS1_Lb0ELb1ELb1EEv18rocblas_operation_llT0_T1_lllT2_lllib, .Lfunc_end248-_ZL40rocblas_trsm_block_backward_substitutionI19rocblas_complex_numIdES1_PKS1_PS1_Lb0ELb1ELb1EEv18rocblas_operation_llT0_T1_lllT2_lllib
                                        ; -- End function
	.set _ZL40rocblas_trsm_block_backward_substitutionI19rocblas_complex_numIdES1_PKS1_PS1_Lb0ELb1ELb1EEv18rocblas_operation_llT0_T1_lllT2_lllib.num_vgpr, 21
	.set _ZL40rocblas_trsm_block_backward_substitutionI19rocblas_complex_numIdES1_PKS1_PS1_Lb0ELb1ELb1EEv18rocblas_operation_llT0_T1_lllT2_lllib.num_agpr, 0
	.set _ZL40rocblas_trsm_block_backward_substitutionI19rocblas_complex_numIdES1_PKS1_PS1_Lb0ELb1ELb1EEv18rocblas_operation_llT0_T1_lllT2_lllib.numbered_sgpr, 32
	.set _ZL40rocblas_trsm_block_backward_substitutionI19rocblas_complex_numIdES1_PKS1_PS1_Lb0ELb1ELb1EEv18rocblas_operation_llT0_T1_lllT2_lllib.num_named_barrier, 0
	.set _ZL40rocblas_trsm_block_backward_substitutionI19rocblas_complex_numIdES1_PKS1_PS1_Lb0ELb1ELb1EEv18rocblas_operation_llT0_T1_lllT2_lllib.private_seg_size, 0
	.set _ZL40rocblas_trsm_block_backward_substitutionI19rocblas_complex_numIdES1_PKS1_PS1_Lb0ELb1ELb1EEv18rocblas_operation_llT0_T1_lllT2_lllib.uses_vcc, 1
	.set _ZL40rocblas_trsm_block_backward_substitutionI19rocblas_complex_numIdES1_PKS1_PS1_Lb0ELb1ELb1EEv18rocblas_operation_llT0_T1_lllT2_lllib.uses_flat_scratch, 0
	.set _ZL40rocblas_trsm_block_backward_substitutionI19rocblas_complex_numIdES1_PKS1_PS1_Lb0ELb1ELb1EEv18rocblas_operation_llT0_T1_lllT2_lllib.has_dyn_sized_stack, 0
	.set _ZL40rocblas_trsm_block_backward_substitutionI19rocblas_complex_numIdES1_PKS1_PS1_Lb0ELb1ELb1EEv18rocblas_operation_llT0_T1_lllT2_lllib.has_recursion, 0
	.set _ZL40rocblas_trsm_block_backward_substitutionI19rocblas_complex_numIdES1_PKS1_PS1_Lb0ELb1ELb1EEv18rocblas_operation_llT0_T1_lllT2_lllib.has_indirect_call, 0
	.section	.AMDGPU.csdata,"",@progbits
; Kernel info:
; codeLenInByte = 888
; TotalNumSgprs: 36
; NumVgprs: 21
; ScratchSize: 0
; MemoryBound: 0
; FloatMode: 240
; IeeeMode: 1
; LDSByteSize: 0 bytes/workgroup (compile time only)
; SGPRBlocks: 4
; VGPRBlocks: 5
; NumSGPRsForWavesPerEU: 36
; NumVGPRsForWavesPerEU: 21
; Occupancy: 10
; WaveLimiterHint : 1
; COMPUTE_PGM_RSRC2:SCRATCH_EN: 0
; COMPUTE_PGM_RSRC2:USER_SGPR: 6
; COMPUTE_PGM_RSRC2:TRAP_HANDLER: 0
; COMPUTE_PGM_RSRC2:TGID_X_EN: 1
; COMPUTE_PGM_RSRC2:TGID_Y_EN: 1
; COMPUTE_PGM_RSRC2:TGID_Z_EN: 1
; COMPUTE_PGM_RSRC2:TIDIG_COMP_CNT: 1
	.section	.text._ZL39rocblas_trsm_block_forward_substitutionI19rocblas_complex_numIdES1_PKS1_PS1_Lb1ELb1ELb0EEv18rocblas_operation_llT0_T1_lllT2_lllib,"axG",@progbits,_ZL39rocblas_trsm_block_forward_substitutionI19rocblas_complex_numIdES1_PKS1_PS1_Lb1ELb1ELb0EEv18rocblas_operation_llT0_T1_lllT2_lllib,comdat
	.globl	_ZL39rocblas_trsm_block_forward_substitutionI19rocblas_complex_numIdES1_PKS1_PS1_Lb1ELb1ELb0EEv18rocblas_operation_llT0_T1_lllT2_lllib ; -- Begin function _ZL39rocblas_trsm_block_forward_substitutionI19rocblas_complex_numIdES1_PKS1_PS1_Lb1ELb1ELb0EEv18rocblas_operation_llT0_T1_lllT2_lllib
	.p2align	8
	.type	_ZL39rocblas_trsm_block_forward_substitutionI19rocblas_complex_numIdES1_PKS1_PS1_Lb1ELb1ELb0EEv18rocblas_operation_llT0_T1_lllT2_lllib,@function
_ZL39rocblas_trsm_block_forward_substitutionI19rocblas_complex_numIdES1_PKS1_PS1_Lb1ELb1ELb0EEv18rocblas_operation_llT0_T1_lllT2_lllib: ; @_ZL39rocblas_trsm_block_forward_substitutionI19rocblas_complex_numIdES1_PKS1_PS1_Lb1ELb1ELb0EEv18rocblas_operation_llT0_T1_lllT2_lllib
; %bb.0:
	s_load_dword s0, s[4:5], 0x6c
	s_load_dwordx16 s[12:27], s[4:5], 0x8
	s_load_dword s6, s[4:5], 0x7c
	v_mov_b32_e32 v2, v1
	s_waitcnt lgkmcnt(0)
	s_bitcmp1_b32 s0, 0
	s_cselect_b64 s[0:1], -1, 0
	s_xor_b64 s[2:3], s[0:1], -1
	s_mul_i32 s0, s27, s8
	s_mul_hi_u32 s1, s26, s8
	s_add_i32 s1, s1, s0
	s_mul_i32 s0, s26, s8
	s_lshl_b64 s[0:1], s[0:1], 4
	s_add_u32 s9, s20, s0
	s_addc_u32 s10, s21, s1
	s_lshl_b64 s[0:1], s[22:23], 4
	s_add_u32 s20, s9, s0
	s_addc_u32 s21, s10, s1
	s_add_u32 s26, s4, 0x70
	s_addc_u32 s27, s5, 0
	s_lshr_b32 s6, s6, 16
	s_mov_b64 s[22:23], 1
	s_and_b64 vcc, exec, s[2:3]
	s_cbranch_vccnz .LBB249_14
; %bb.1:
	s_lshl_b32 s0, s6, 4
	s_add_i32 s28, s0, 0
	v_cmp_lt_i64_e64 s[0:1], s[12:13], 1
	s_mov_b64 s[10:11], 1
	s_and_b64 vcc, exec, s[0:1]
	s_cbranch_vccnz .LBB249_15
; %bb.2:
	v_mad_u64_u32 v[3:4], s[0:1], s24, v0, 0
	v_lshlrev_b32_e32 v6, 4, v0
	v_add_u32_e32 v14, s28, v6
	v_mov_b32_e32 v1, v4
	v_mad_u64_u32 v[4:5], s[0:1], s25, v0, v[1:2]
	v_mov_b32_e32 v1, 0
	v_cmp_le_u64_e32 vcc, s[12:13], v[0:1]
	v_lshlrev_b64 v[3:4], 4, v[3:4]
	v_mov_b32_e32 v5, s21
	v_add_co_u32_e64 v1, s[0:1], s20, v3
	v_addc_co_u32_e64 v15, s[0:1], v5, v4, s[0:1]
	v_add_co_u32_e64 v7, s[0:1], v1, v6
	v_addc_co_u32_e64 v8, s[0:1], 0, v15, s[0:1]
	s_xor_b64 s[0:1], vcc, -1
	s_mov_b32 s9, s6
	v_mov_b32_e32 v9, v2
	s_branch .LBB249_6
.LBB249_3:                              ;   in Loop: Header=BB249_6 Depth=1
	s_or_b64 exec, exec, s[24:25]
	s_load_dword s24, s[26:27], 0xc
	s_waitcnt lgkmcnt(0)
	s_and_b32 s24, s24, 0xffff
	v_mul_u32_u24_e32 v3, s24, v0
	v_lshl_add_u32 v3, v3, 4, v14
	ds_write2_b64 v3, v[10:11], v[12:13] offset1:1
.LBB249_4:                              ;   in Loop: Header=BB249_6 Depth=1
	s_or_b64 exec, exec, s[22:23]
.LBB249_5:                              ;   in Loop: Header=BB249_6 Depth=1
	s_or_b64 exec, exec, s[20:21]
	s_ashr_i32 s20, s9, 31
	v_mov_b32_e32 v3, s9
	v_mov_b32_e32 v4, s20
	v_cmp_le_i64_e32 vcc, s[12:13], v[3:4]
	v_add_u32_e32 v9, s6, v9
	s_add_i32 s9, s9, s6
	s_cbranch_vccnz .LBB249_15
.LBB249_6:                              ; =>This Inner Loop Header: Depth=1
	v_cmp_gt_i32_e32 vcc, v0, v9
	s_and_b64 s[20:21], s[0:1], vcc
	s_and_saveexec_b64 s[22:23], s[20:21]
	s_xor_b64 s[20:21], exec, s[22:23]
	s_cbranch_execz .LBB249_8
; %bb.7:                                ;   in Loop: Header=BB249_6 Depth=1
	v_ashrrev_i32_e32 v10, 31, v9
	v_lshlrev_b64 v[3:4], 4, v[9:10]
	s_load_dword s22, s[26:27], 0xc
	v_add_co_u32_e32 v3, vcc, v1, v3
	v_addc_co_u32_e32 v4, vcc, v15, v4, vcc
	global_load_dwordx4 v[3:6], v[3:4], off
	s_waitcnt lgkmcnt(0)
	s_and_b32 s22, s22, 0xffff
	v_mul_lo_u32 v10, v9, s22
	v_lshl_add_u32 v10, v10, 4, v14
	s_waitcnt vmcnt(0)
	ds_write2_b64 v10, v[3:4], v[5:6] offset1:1
.LBB249_8:                              ;   in Loop: Header=BB249_6 Depth=1
	s_andn2_saveexec_b64 s[20:21], s[20:21]
	s_cbranch_execz .LBB249_5
; %bb.9:                                ;   in Loop: Header=BB249_6 Depth=1
	v_cmp_eq_u32_e32 vcc, v0, v9
	s_and_b64 s[24:25], s[0:1], vcc
	s_and_saveexec_b64 s[22:23], s[24:25]
	s_cbranch_execz .LBB249_4
; %bb.10:                               ;   in Loop: Header=BB249_6 Depth=1
	global_load_dwordx4 v[3:6], v[7:8], off
                                        ; implicit-def: $vgpr10_vgpr11
	s_waitcnt vmcnt(0)
	v_cmp_ngt_f64_e64 s[24:25], |v[3:4]|, |v[5:6]|
	s_and_saveexec_b64 s[30:31], s[24:25]
	s_xor_b64 s[24:25], exec, s[30:31]
                                        ; implicit-def: $vgpr12_vgpr13
	s_cbranch_execz .LBB249_12
; %bb.11:                               ;   in Loop: Header=BB249_6 Depth=1
	v_div_scale_f64 v[10:11], s[30:31], v[5:6], v[5:6], v[3:4]
	v_rcp_f64_e32 v[12:13], v[10:11]
	v_fma_f64 v[16:17], -v[10:11], v[12:13], 1.0
	v_fma_f64 v[12:13], v[12:13], v[16:17], v[12:13]
	v_div_scale_f64 v[16:17], vcc, v[3:4], v[5:6], v[3:4]
	v_fma_f64 v[18:19], -v[10:11], v[12:13], 1.0
	v_fma_f64 v[12:13], v[12:13], v[18:19], v[12:13]
	v_mul_f64 v[18:19], v[16:17], v[12:13]
	v_fma_f64 v[10:11], -v[10:11], v[18:19], v[16:17]
	v_div_fmas_f64 v[10:11], v[10:11], v[12:13], v[18:19]
	v_div_fixup_f64 v[10:11], v[10:11], v[5:6], v[3:4]
	v_fma_f64 v[3:4], v[3:4], v[10:11], v[5:6]
	v_div_scale_f64 v[5:6], s[30:31], v[3:4], v[3:4], 1.0
	v_div_scale_f64 v[18:19], vcc, 1.0, v[3:4], 1.0
	v_rcp_f64_e32 v[12:13], v[5:6]
	v_fma_f64 v[16:17], -v[5:6], v[12:13], 1.0
	v_fma_f64 v[12:13], v[12:13], v[16:17], v[12:13]
	v_fma_f64 v[16:17], -v[5:6], v[12:13], 1.0
	v_fma_f64 v[12:13], v[12:13], v[16:17], v[12:13]
	v_mul_f64 v[16:17], v[18:19], v[12:13]
	v_fma_f64 v[5:6], -v[5:6], v[16:17], v[18:19]
	v_div_fmas_f64 v[5:6], v[5:6], v[12:13], v[16:17]
	v_div_fixup_f64 v[12:13], v[5:6], v[3:4], 1.0
                                        ; implicit-def: $vgpr3_vgpr4
	v_mul_f64 v[10:11], v[10:11], v[12:13]
	v_xor_b32_e32 v13, 0x80000000, v13
.LBB249_12:                             ;   in Loop: Header=BB249_6 Depth=1
	s_andn2_saveexec_b64 s[24:25], s[24:25]
	s_cbranch_execz .LBB249_3
; %bb.13:                               ;   in Loop: Header=BB249_6 Depth=1
	v_div_scale_f64 v[10:11], s[30:31], v[3:4], v[3:4], v[5:6]
	v_rcp_f64_e32 v[12:13], v[10:11]
	v_fma_f64 v[16:17], -v[10:11], v[12:13], 1.0
	v_fma_f64 v[12:13], v[12:13], v[16:17], v[12:13]
	v_div_scale_f64 v[16:17], vcc, v[5:6], v[3:4], v[5:6]
	v_fma_f64 v[18:19], -v[10:11], v[12:13], 1.0
	v_fma_f64 v[12:13], v[12:13], v[18:19], v[12:13]
	v_mul_f64 v[18:19], v[16:17], v[12:13]
	v_fma_f64 v[10:11], -v[10:11], v[18:19], v[16:17]
	v_div_fmas_f64 v[10:11], v[10:11], v[12:13], v[18:19]
	v_div_fixup_f64 v[12:13], v[10:11], v[3:4], v[5:6]
	v_fma_f64 v[3:4], v[5:6], v[12:13], v[3:4]
	v_div_scale_f64 v[5:6], s[30:31], v[3:4], v[3:4], 1.0
	v_div_scale_f64 v[18:19], vcc, 1.0, v[3:4], 1.0
	v_rcp_f64_e32 v[10:11], v[5:6]
	v_fma_f64 v[16:17], -v[5:6], v[10:11], 1.0
	v_fma_f64 v[10:11], v[10:11], v[16:17], v[10:11]
	v_fma_f64 v[16:17], -v[5:6], v[10:11], 1.0
	v_fma_f64 v[10:11], v[10:11], v[16:17], v[10:11]
	v_mul_f64 v[16:17], v[18:19], v[10:11]
	v_fma_f64 v[5:6], -v[5:6], v[16:17], v[18:19]
	v_div_fmas_f64 v[5:6], v[5:6], v[10:11], v[16:17]
	v_div_fixup_f64 v[10:11], v[5:6], v[3:4], 1.0
	v_mul_f64 v[12:13], v[12:13], -v[10:11]
	s_branch .LBB249_3
.LBB249_14:
	s_mov_b64 s[10:11], s[24:25]
	s_branch .LBB249_16
.LBB249_15:
	s_mov_b64 s[0:1], src_shared_base
	s_load_dword s0, s[26:27], 0xc
	s_mov_b32 s29, s1
	s_mov_b32 s23, 0
	s_mov_b64 s[20:21], s[28:29]
	s_waitcnt lgkmcnt(0)
	s_and_b32 s22, s0, 0xffff
.LBB249_16:
	s_mul_i32 s7, s7, s6
	v_add_u32_e32 v3, s7, v2
	v_mov_b32_e32 v4, 0
	v_cmp_gt_i64_e32 vcc, s[14:15], v[3:4]
	s_and_saveexec_b64 s[0:1], vcc
	s_cbranch_execz .LBB249_40
; %bb.17:
	v_mov_b32_e32 v1, v4
	v_cmp_gt_i64_e32 vcc, s[12:13], v[0:1]
	s_and_b64 exec, exec, vcc
	s_cbranch_execz .LBB249_40
; %bb.18:
	s_load_dwordx8 s[24:31], s[4:5], 0x48
	v_lshlrev_b64 v[3:4], 4, v[3:4]
	s_waitcnt lgkmcnt(0)
	s_mul_i32 s1, s31, s8
	s_mul_hi_u32 s9, s30, s8
	v_mad_u64_u32 v[5:6], s[6:7], s28, v0, 0
	s_mul_i32 s0, s30, s8
	s_add_i32 s1, s9, s1
	s_lshl_b64 s[0:1], s[0:1], 4
	s_add_u32 s6, s24, s0
	s_addc_u32 s7, s25, s1
	v_mad_u64_u32 v[6:7], s[0:1], s29, v0, v[6:7]
	s_lshl_b64 s[0:1], s[26:27], 4
	s_add_u32 s0, s6, s0
	v_lshlrev_b64 v[5:6], 4, v[5:6]
	s_addc_u32 s1, s7, s1
	v_mov_b32_e32 v7, s1
	v_add_co_u32_e32 v5, vcc, s0, v5
	v_addc_co_u32_e32 v6, vcc, v7, v6, vcc
	v_add_co_u32_e32 v9, vcc, v5, v3
	v_addc_co_u32_e32 v10, vcc, v6, v4, vcc
	global_load_dwordx4 v[5:8], v[9:10], off
	v_cmp_lt_u64_e64 s[0:1], s[12:13], 2
	s_add_u32 s6, s12, -1
	s_addc_u32 s7, s13, -1
	s_and_b64 vcc, exec, s[0:1]
	s_waitcnt vmcnt(0)
	v_mul_f64 v[3:4], s[18:19], v[7:8]
	v_mul_f64 v[7:8], s[16:17], v[7:8]
	v_fma_f64 v[3:4], s[16:17], v[5:6], -v[3:4]
	v_fma_f64 v[11:12], s[18:19], v[5:6], v[7:8]
	s_cbranch_vccnz .LBB249_31
; %bb.19:
	s_load_dword s0, s[4:5], 0x0
	v_mov_b32_e32 v17, s21
	v_lshl_add_u32 v2, v2, 4, 0
	s_waitcnt lgkmcnt(0)
	s_cmpk_eq_i32 s0, 0x71
	s_cselect_b64 s[0:1], -1, 0
	s_add_u32 s4, s22, s10
	v_mad_u64_u32 v[5:6], s[4:5], s4, v0, 0
	v_mad_u64_u32 v[7:8], s[4:5], s10, v0, 0
	s_addc_u32 s4, s23, s11
	s_lshl_b32 s14, s22, 4
	v_mad_u64_u32 v[13:14], s[4:5], s4, v0, v[6:7]
	v_mov_b32_e32 v6, v8
	v_mad_u64_u32 v[15:16], s[4:5], s11, v0, v[6:7]
	v_mov_b32_e32 v6, v13
	v_lshlrev_b64 v[5:6], 4, v[5:6]
	v_mov_b32_e32 v8, v15
	v_add_co_u32_e32 v13, vcc, s20, v5
	v_addc_co_u32_e32 v14, vcc, v17, v6, vcc
	v_lshlrev_b64 v[5:6], 4, v[7:8]
	s_mov_b64 s[4:5], 0
	v_add_co_u32_e32 v15, vcc, s20, v5
	v_addc_co_u32_e32 v16, vcc, v17, v6, vcc
	s_branch .LBB249_21
.LBB249_20:                             ;   in Loop: Header=BB249_21 Depth=1
	s_or_b64 exec, exec, s[8:9]
	s_add_u32 s4, s4, 1
	s_addc_u32 s5, s5, 0
	v_add_co_u32_e32 v15, vcc, s14, v15
	s_cmp_eq_u64 s[6:7], s[4:5]
	v_addc_co_u32_e32 v16, vcc, 0, v16, vcc
	s_cbranch_scc1 .LBB249_31
.LBB249_21:                             ; =>This Inner Loop Header: Depth=1
	v_cmp_eq_u64_e32 vcc, s[4:5], v[0:1]
	s_barrier
	s_and_saveexec_b64 s[8:9], vcc
	s_cbranch_execz .LBB249_29
; %bb.22:                               ;   in Loop: Header=BB249_21 Depth=1
	flat_load_dwordx4 v[5:8], v[13:14]
	s_andn2_b64 vcc, exec, s[2:3]
	s_cbranch_vccnz .LBB249_28
; %bb.23:                               ;   in Loop: Header=BB249_21 Depth=1
	s_waitcnt vmcnt(0) lgkmcnt(0)
	v_cmp_ngt_f64_e64 s[12:13], |v[5:6]|, |v[7:8]|
	s_and_saveexec_b64 s[16:17], s[12:13]
	s_xor_b64 s[12:13], exec, s[16:17]
	s_cbranch_execz .LBB249_25
; %bb.24:                               ;   in Loop: Header=BB249_21 Depth=1
	v_div_scale_f64 v[17:18], s[16:17], v[7:8], v[7:8], v[5:6]
	v_rcp_f64_e32 v[19:20], v[17:18]
	v_fma_f64 v[21:22], -v[17:18], v[19:20], 1.0
	v_fma_f64 v[19:20], v[19:20], v[21:22], v[19:20]
	v_div_scale_f64 v[21:22], vcc, v[5:6], v[7:8], v[5:6]
	v_fma_f64 v[23:24], -v[17:18], v[19:20], 1.0
	v_fma_f64 v[19:20], v[19:20], v[23:24], v[19:20]
	v_mul_f64 v[23:24], v[21:22], v[19:20]
	v_fma_f64 v[17:18], -v[17:18], v[23:24], v[21:22]
	v_div_fmas_f64 v[17:18], v[17:18], v[19:20], v[23:24]
	v_div_fixup_f64 v[17:18], v[17:18], v[7:8], v[5:6]
	v_fma_f64 v[5:6], v[5:6], v[17:18], v[7:8]
	v_div_scale_f64 v[7:8], s[16:17], v[5:6], v[5:6], 1.0
	v_div_scale_f64 v[23:24], vcc, 1.0, v[5:6], 1.0
	v_rcp_f64_e32 v[19:20], v[7:8]
	v_fma_f64 v[21:22], -v[7:8], v[19:20], 1.0
	v_fma_f64 v[19:20], v[19:20], v[21:22], v[19:20]
	v_fma_f64 v[21:22], -v[7:8], v[19:20], 1.0
	v_fma_f64 v[19:20], v[19:20], v[21:22], v[19:20]
	v_mul_f64 v[21:22], v[23:24], v[19:20]
	v_fma_f64 v[7:8], -v[7:8], v[21:22], v[23:24]
	v_div_fmas_f64 v[7:8], v[7:8], v[19:20], v[21:22]
	v_div_fixup_f64 v[7:8], v[7:8], v[5:6], 1.0
	v_mul_f64 v[5:6], v[17:18], v[7:8]
	v_xor_b32_e32 v8, 0x80000000, v8
.LBB249_25:                             ;   in Loop: Header=BB249_21 Depth=1
	s_andn2_saveexec_b64 s[12:13], s[12:13]
	s_cbranch_execz .LBB249_27
; %bb.26:                               ;   in Loop: Header=BB249_21 Depth=1
	v_div_scale_f64 v[17:18], s[16:17], v[5:6], v[5:6], v[7:8]
	v_rcp_f64_e32 v[19:20], v[17:18]
	v_fma_f64 v[21:22], -v[17:18], v[19:20], 1.0
	v_fma_f64 v[19:20], v[19:20], v[21:22], v[19:20]
	v_div_scale_f64 v[21:22], vcc, v[7:8], v[5:6], v[7:8]
	v_fma_f64 v[23:24], -v[17:18], v[19:20], 1.0
	v_fma_f64 v[19:20], v[19:20], v[23:24], v[19:20]
	v_mul_f64 v[23:24], v[21:22], v[19:20]
	v_fma_f64 v[17:18], -v[17:18], v[23:24], v[21:22]
	v_div_fmas_f64 v[17:18], v[17:18], v[19:20], v[23:24]
	v_div_fixup_f64 v[17:18], v[17:18], v[5:6], v[7:8]
	v_fma_f64 v[5:6], v[7:8], v[17:18], v[5:6]
	v_div_scale_f64 v[7:8], s[16:17], v[5:6], v[5:6], 1.0
	v_div_scale_f64 v[23:24], vcc, 1.0, v[5:6], 1.0
	v_rcp_f64_e32 v[19:20], v[7:8]
	v_fma_f64 v[21:22], -v[7:8], v[19:20], 1.0
	v_fma_f64 v[19:20], v[19:20], v[21:22], v[19:20]
	v_fma_f64 v[21:22], -v[7:8], v[19:20], 1.0
	v_fma_f64 v[19:20], v[19:20], v[21:22], v[19:20]
	v_mul_f64 v[21:22], v[23:24], v[19:20]
	v_fma_f64 v[7:8], -v[7:8], v[21:22], v[23:24]
	v_div_fmas_f64 v[7:8], v[7:8], v[19:20], v[21:22]
	v_div_fixup_f64 v[5:6], v[7:8], v[5:6], 1.0
	v_mul_f64 v[7:8], v[17:18], -v[5:6]
.LBB249_27:                             ;   in Loop: Header=BB249_21 Depth=1
	s_or_b64 exec, exec, s[12:13]
.LBB249_28:                             ;   in Loop: Header=BB249_21 Depth=1
	s_waitcnt vmcnt(0) lgkmcnt(0)
	v_mul_f64 v[17:18], v[11:12], v[7:8]
	v_mul_f64 v[7:8], v[3:4], v[7:8]
	v_fma_f64 v[3:4], v[3:4], v[5:6], -v[17:18]
	v_fma_f64 v[11:12], v[11:12], v[5:6], v[7:8]
	ds_write2_b64 v2, v[3:4], v[11:12] offset1:1
.LBB249_29:                             ;   in Loop: Header=BB249_21 Depth=1
	s_or_b64 exec, exec, s[8:9]
	v_cmp_lt_u64_e32 vcc, s[4:5], v[0:1]
	s_waitcnt lgkmcnt(0)
	s_barrier
	s_and_saveexec_b64 s[8:9], vcc
	s_cbranch_execz .LBB249_20
; %bb.30:                               ;   in Loop: Header=BB249_21 Depth=1
	flat_load_dwordx4 v[5:8], v[15:16]
	ds_read2_b64 v[17:20], v2 offset1:1
	s_waitcnt vmcnt(0) lgkmcnt(0)
	v_xor_b32_e32 v21, 0x80000000, v8
	v_cndmask_b32_e64 v8, v8, v21, s[0:1]
	v_mul_f64 v[21:22], v[7:8], v[19:20]
	v_mul_f64 v[19:20], v[5:6], v[19:20]
	v_fma_f64 v[5:6], v[5:6], v[17:18], -v[21:22]
	v_fma_f64 v[7:8], v[7:8], v[17:18], v[19:20]
	v_add_f64 v[3:4], v[3:4], -v[5:6]
	v_add_f64 v[11:12], v[11:12], -v[7:8]
	s_branch .LBB249_20
.LBB249_31:
	v_cmp_eq_u64_e32 vcc, s[6:7], v[0:1]
	s_and_saveexec_b64 s[0:1], vcc
	s_cbranch_execz .LBB249_39
; %bb.32:
	s_add_u32 s4, s22, s10
	v_mad_u64_u32 v[1:2], s[4:5], s4, v0, 0
	s_addc_u32 s4, s23, s11
	v_mad_u64_u32 v[5:6], s[4:5], s4, v0, v[2:3]
	v_mov_b32_e32 v6, s21
	v_mov_b32_e32 v2, v5
	v_lshlrev_b64 v[0:1], 4, v[1:2]
	v_add_co_u32_e32 v0, vcc, s20, v0
	v_addc_co_u32_e32 v1, vcc, v6, v1, vcc
	flat_load_dwordx4 v[5:8], v[0:1]
	s_andn2_b64 vcc, exec, s[2:3]
	s_cbranch_vccnz .LBB249_38
; %bb.33:
	s_waitcnt vmcnt(0) lgkmcnt(0)
	v_cmp_ngt_f64_e64 s[2:3], |v[5:6]|, |v[7:8]|
	s_and_saveexec_b64 s[4:5], s[2:3]
	s_xor_b64 s[2:3], exec, s[4:5]
	s_cbranch_execz .LBB249_35
; %bb.34:
	v_div_scale_f64 v[0:1], s[4:5], v[7:8], v[7:8], v[5:6]
	v_rcp_f64_e32 v[13:14], v[0:1]
	v_fma_f64 v[15:16], -v[0:1], v[13:14], 1.0
	v_fma_f64 v[13:14], v[13:14], v[15:16], v[13:14]
	v_div_scale_f64 v[15:16], vcc, v[5:6], v[7:8], v[5:6]
	v_fma_f64 v[17:18], -v[0:1], v[13:14], 1.0
	v_fma_f64 v[13:14], v[13:14], v[17:18], v[13:14]
	v_mul_f64 v[17:18], v[15:16], v[13:14]
	v_fma_f64 v[0:1], -v[0:1], v[17:18], v[15:16]
	v_div_fmas_f64 v[0:1], v[0:1], v[13:14], v[17:18]
	v_div_fixup_f64 v[0:1], v[0:1], v[7:8], v[5:6]
	v_fma_f64 v[5:6], v[5:6], v[0:1], v[7:8]
	v_div_scale_f64 v[7:8], s[4:5], v[5:6], v[5:6], 1.0
	v_div_scale_f64 v[17:18], vcc, 1.0, v[5:6], 1.0
	v_rcp_f64_e32 v[13:14], v[7:8]
	v_fma_f64 v[15:16], -v[7:8], v[13:14], 1.0
	v_fma_f64 v[13:14], v[13:14], v[15:16], v[13:14]
	v_fma_f64 v[15:16], -v[7:8], v[13:14], 1.0
	v_fma_f64 v[13:14], v[13:14], v[15:16], v[13:14]
	v_mul_f64 v[15:16], v[17:18], v[13:14]
	v_fma_f64 v[7:8], -v[7:8], v[15:16], v[17:18]
	v_div_fmas_f64 v[7:8], v[7:8], v[13:14], v[15:16]
	v_div_fixup_f64 v[7:8], v[7:8], v[5:6], 1.0
	v_mul_f64 v[5:6], v[0:1], v[7:8]
	v_xor_b32_e32 v8, 0x80000000, v8
.LBB249_35:
	s_andn2_saveexec_b64 s[2:3], s[2:3]
	s_cbranch_execz .LBB249_37
; %bb.36:
	v_div_scale_f64 v[0:1], s[4:5], v[5:6], v[5:6], v[7:8]
	v_rcp_f64_e32 v[13:14], v[0:1]
	v_fma_f64 v[15:16], -v[0:1], v[13:14], 1.0
	v_fma_f64 v[13:14], v[13:14], v[15:16], v[13:14]
	v_div_scale_f64 v[15:16], vcc, v[7:8], v[5:6], v[7:8]
	v_fma_f64 v[17:18], -v[0:1], v[13:14], 1.0
	v_fma_f64 v[13:14], v[13:14], v[17:18], v[13:14]
	v_mul_f64 v[17:18], v[15:16], v[13:14]
	v_fma_f64 v[0:1], -v[0:1], v[17:18], v[15:16]
	v_div_fmas_f64 v[0:1], v[0:1], v[13:14], v[17:18]
	v_div_fixup_f64 v[0:1], v[0:1], v[5:6], v[7:8]
	v_fma_f64 v[5:6], v[7:8], v[0:1], v[5:6]
	v_div_scale_f64 v[7:8], s[4:5], v[5:6], v[5:6], 1.0
	v_div_scale_f64 v[17:18], vcc, 1.0, v[5:6], 1.0
	v_rcp_f64_e32 v[13:14], v[7:8]
	v_fma_f64 v[15:16], -v[7:8], v[13:14], 1.0
	v_fma_f64 v[13:14], v[13:14], v[15:16], v[13:14]
	v_fma_f64 v[15:16], -v[7:8], v[13:14], 1.0
	v_fma_f64 v[13:14], v[13:14], v[15:16], v[13:14]
	v_mul_f64 v[15:16], v[17:18], v[13:14]
	v_fma_f64 v[7:8], -v[7:8], v[15:16], v[17:18]
	v_div_fmas_f64 v[7:8], v[7:8], v[13:14], v[15:16]
	v_div_fixup_f64 v[5:6], v[7:8], v[5:6], 1.0
	v_mul_f64 v[7:8], v[0:1], -v[5:6]
.LBB249_37:
	s_or_b64 exec, exec, s[2:3]
.LBB249_38:
	s_waitcnt vmcnt(0) lgkmcnt(0)
	v_mul_f64 v[0:1], v[11:12], v[7:8]
	v_mul_f64 v[11:12], v[11:12], v[5:6]
	v_fma_f64 v[0:1], v[3:4], v[5:6], -v[0:1]
	v_fma_f64 v[11:12], v[3:4], v[7:8], v[11:12]
	v_mov_b32_e32 v4, v1
	v_mov_b32_e32 v3, v0
.LBB249_39:
	s_or_b64 exec, exec, s[0:1]
	v_mov_b32_e32 v5, v11
	v_mov_b32_e32 v6, v12
	global_store_dwordx4 v[9:10], v[3:6], off
.LBB249_40:
	s_endpgm
	.section	.rodata,"a",@progbits
	.p2align	6, 0x0
	.amdhsa_kernel _ZL39rocblas_trsm_block_forward_substitutionI19rocblas_complex_numIdES1_PKS1_PS1_Lb1ELb1ELb0EEv18rocblas_operation_llT0_T1_lllT2_lllib
		.amdhsa_group_segment_fixed_size 0
		.amdhsa_private_segment_fixed_size 0
		.amdhsa_kernarg_size 368
		.amdhsa_user_sgpr_count 6
		.amdhsa_user_sgpr_private_segment_buffer 1
		.amdhsa_user_sgpr_dispatch_ptr 0
		.amdhsa_user_sgpr_queue_ptr 0
		.amdhsa_user_sgpr_kernarg_segment_ptr 1
		.amdhsa_user_sgpr_dispatch_id 0
		.amdhsa_user_sgpr_flat_scratch_init 0
		.amdhsa_user_sgpr_private_segment_size 0
		.amdhsa_uses_dynamic_stack 0
		.amdhsa_system_sgpr_private_segment_wavefront_offset 0
		.amdhsa_system_sgpr_workgroup_id_x 1
		.amdhsa_system_sgpr_workgroup_id_y 1
		.amdhsa_system_sgpr_workgroup_id_z 1
		.amdhsa_system_sgpr_workgroup_info 0
		.amdhsa_system_vgpr_workitem_id 1
		.amdhsa_next_free_vgpr 25
		.amdhsa_next_free_sgpr 32
		.amdhsa_reserve_vcc 1
		.amdhsa_reserve_flat_scratch 0
		.amdhsa_float_round_mode_32 0
		.amdhsa_float_round_mode_16_64 0
		.amdhsa_float_denorm_mode_32 3
		.amdhsa_float_denorm_mode_16_64 3
		.amdhsa_dx10_clamp 1
		.amdhsa_ieee_mode 1
		.amdhsa_fp16_overflow 0
		.amdhsa_exception_fp_ieee_invalid_op 0
		.amdhsa_exception_fp_denorm_src 0
		.amdhsa_exception_fp_ieee_div_zero 0
		.amdhsa_exception_fp_ieee_overflow 0
		.amdhsa_exception_fp_ieee_underflow 0
		.amdhsa_exception_fp_ieee_inexact 0
		.amdhsa_exception_int_div_zero 0
	.end_amdhsa_kernel
	.section	.text._ZL39rocblas_trsm_block_forward_substitutionI19rocblas_complex_numIdES1_PKS1_PS1_Lb1ELb1ELb0EEv18rocblas_operation_llT0_T1_lllT2_lllib,"axG",@progbits,_ZL39rocblas_trsm_block_forward_substitutionI19rocblas_complex_numIdES1_PKS1_PS1_Lb1ELb1ELb0EEv18rocblas_operation_llT0_T1_lllT2_lllib,comdat
.Lfunc_end249:
	.size	_ZL39rocblas_trsm_block_forward_substitutionI19rocblas_complex_numIdES1_PKS1_PS1_Lb1ELb1ELb0EEv18rocblas_operation_llT0_T1_lllT2_lllib, .Lfunc_end249-_ZL39rocblas_trsm_block_forward_substitutionI19rocblas_complex_numIdES1_PKS1_PS1_Lb1ELb1ELb0EEv18rocblas_operation_llT0_T1_lllT2_lllib
                                        ; -- End function
	.set _ZL39rocblas_trsm_block_forward_substitutionI19rocblas_complex_numIdES1_PKS1_PS1_Lb1ELb1ELb0EEv18rocblas_operation_llT0_T1_lllT2_lllib.num_vgpr, 25
	.set _ZL39rocblas_trsm_block_forward_substitutionI19rocblas_complex_numIdES1_PKS1_PS1_Lb1ELb1ELb0EEv18rocblas_operation_llT0_T1_lllT2_lllib.num_agpr, 0
	.set _ZL39rocblas_trsm_block_forward_substitutionI19rocblas_complex_numIdES1_PKS1_PS1_Lb1ELb1ELb0EEv18rocblas_operation_llT0_T1_lllT2_lllib.numbered_sgpr, 32
	.set _ZL39rocblas_trsm_block_forward_substitutionI19rocblas_complex_numIdES1_PKS1_PS1_Lb1ELb1ELb0EEv18rocblas_operation_llT0_T1_lllT2_lllib.num_named_barrier, 0
	.set _ZL39rocblas_trsm_block_forward_substitutionI19rocblas_complex_numIdES1_PKS1_PS1_Lb1ELb1ELb0EEv18rocblas_operation_llT0_T1_lllT2_lllib.private_seg_size, 0
	.set _ZL39rocblas_trsm_block_forward_substitutionI19rocblas_complex_numIdES1_PKS1_PS1_Lb1ELb1ELb0EEv18rocblas_operation_llT0_T1_lllT2_lllib.uses_vcc, 1
	.set _ZL39rocblas_trsm_block_forward_substitutionI19rocblas_complex_numIdES1_PKS1_PS1_Lb1ELb1ELb0EEv18rocblas_operation_llT0_T1_lllT2_lllib.uses_flat_scratch, 0
	.set _ZL39rocblas_trsm_block_forward_substitutionI19rocblas_complex_numIdES1_PKS1_PS1_Lb1ELb1ELb0EEv18rocblas_operation_llT0_T1_lllT2_lllib.has_dyn_sized_stack, 0
	.set _ZL39rocblas_trsm_block_forward_substitutionI19rocblas_complex_numIdES1_PKS1_PS1_Lb1ELb1ELb0EEv18rocblas_operation_llT0_T1_lllT2_lllib.has_recursion, 0
	.set _ZL39rocblas_trsm_block_forward_substitutionI19rocblas_complex_numIdES1_PKS1_PS1_Lb1ELb1ELb0EEv18rocblas_operation_llT0_T1_lllT2_lllib.has_indirect_call, 0
	.section	.AMDGPU.csdata,"",@progbits
; Kernel info:
; codeLenInByte = 2424
; TotalNumSgprs: 36
; NumVgprs: 25
; ScratchSize: 0
; MemoryBound: 1
; FloatMode: 240
; IeeeMode: 1
; LDSByteSize: 0 bytes/workgroup (compile time only)
; SGPRBlocks: 4
; VGPRBlocks: 6
; NumSGPRsForWavesPerEU: 36
; NumVGPRsForWavesPerEU: 25
; Occupancy: 9
; WaveLimiterHint : 1
; COMPUTE_PGM_RSRC2:SCRATCH_EN: 0
; COMPUTE_PGM_RSRC2:USER_SGPR: 6
; COMPUTE_PGM_RSRC2:TRAP_HANDLER: 0
; COMPUTE_PGM_RSRC2:TGID_X_EN: 1
; COMPUTE_PGM_RSRC2:TGID_Y_EN: 1
; COMPUTE_PGM_RSRC2:TGID_Z_EN: 1
; COMPUTE_PGM_RSRC2:TIDIG_COMP_CNT: 1
	.section	.text._ZL40rocblas_trsm_block_backward_substitutionI19rocblas_complex_numIdES1_PKS1_PS1_Lb1ELb1ELb0EEv18rocblas_operation_llT0_T1_lllT2_lllib,"axG",@progbits,_ZL40rocblas_trsm_block_backward_substitutionI19rocblas_complex_numIdES1_PKS1_PS1_Lb1ELb1ELb0EEv18rocblas_operation_llT0_T1_lllT2_lllib,comdat
	.globl	_ZL40rocblas_trsm_block_backward_substitutionI19rocblas_complex_numIdES1_PKS1_PS1_Lb1ELb1ELb0EEv18rocblas_operation_llT0_T1_lllT2_lllib ; -- Begin function _ZL40rocblas_trsm_block_backward_substitutionI19rocblas_complex_numIdES1_PKS1_PS1_Lb1ELb1ELb0EEv18rocblas_operation_llT0_T1_lllT2_lllib
	.p2align	8
	.type	_ZL40rocblas_trsm_block_backward_substitutionI19rocblas_complex_numIdES1_PKS1_PS1_Lb1ELb1ELb0EEv18rocblas_operation_llT0_T1_lllT2_lllib,@function
_ZL40rocblas_trsm_block_backward_substitutionI19rocblas_complex_numIdES1_PKS1_PS1_Lb1ELb1ELb0EEv18rocblas_operation_llT0_T1_lllT2_lllib: ; @_ZL40rocblas_trsm_block_backward_substitutionI19rocblas_complex_numIdES1_PKS1_PS1_Lb1ELb1ELb0EEv18rocblas_operation_llT0_T1_lllT2_lllib
; %bb.0:
	s_load_dword s0, s[4:5], 0x6c
	s_load_dwordx16 s[12:27], s[4:5], 0x8
	s_load_dword s6, s[4:5], 0x7c
	v_mov_b32_e32 v2, v1
	s_waitcnt lgkmcnt(0)
	s_bitcmp1_b32 s0, 0
	s_cselect_b64 s[0:1], -1, 0
	s_xor_b64 s[10:11], s[0:1], -1
	s_mul_i32 s0, s27, s8
	s_mul_hi_u32 s1, s26, s8
	s_add_i32 s1, s1, s0
	s_mul_i32 s0, s26, s8
	s_lshl_b64 s[0:1], s[0:1], 4
	s_add_u32 s2, s20, s0
	s_addc_u32 s3, s21, s1
	s_lshl_b64 s[0:1], s[22:23], 4
	s_add_u32 s2, s2, s0
	s_addc_u32 s3, s3, s1
	s_add_u32 s20, s4, 0x70
	s_addc_u32 s21, s5, 0
	s_lshr_b32 s6, s6, 16
	s_and_b64 vcc, exec, s[10:11]
	s_cbranch_vccnz .LBB250_16
; %bb.1:
	v_cmp_lt_i64_e64 s[0:1], s[12:13], 1
	s_lshl_b32 s9, s6, 4
	s_add_i32 s22, s9, 0
	s_and_b64 vcc, exec, s[0:1]
	s_cbranch_vccnz .LBB250_15
; %bb.2:
	v_mad_u64_u32 v[3:4], s[0:1], s24, v0, 0
	v_mov_b32_e32 v1, 0
	v_cmp_le_u64_e64 s[26:27], s[12:13], v[0:1]
	v_cmp_gt_u64_e64 s[0:1], s[12:13], v[0:1]
	v_mov_b32_e32 v1, v4
	v_mad_u64_u32 v[4:5], s[28:29], s25, v0, v[1:2]
	v_lshlrev_b32_e32 v6, 4, v0
	v_mov_b32_e32 v7, s3
	v_add_co_u32_e32 v1, vcc, s2, v6
	v_lshlrev_b64 v[3:4], 4, v[3:4]
	v_addc_co_u32_e32 v15, vcc, 0, v7, vcc
	v_add_co_u32_e32 v7, vcc, v1, v3
	v_add_u32_e32 v14, s22, v6
	v_addc_co_u32_e32 v8, vcc, v15, v4, vcc
	s_xor_b64 s[28:29], s[26:27], -1
	s_mov_b32 s9, s6
	v_mov_b32_e32 v9, v2
	s_branch .LBB250_5
.LBB250_3:                              ;   in Loop: Header=BB250_5 Depth=1
	s_or_b64 exec, exec, s[30:31]
	s_load_dword s23, s[20:21], 0xc
	s_waitcnt lgkmcnt(0)
	s_and_b32 s23, s23, 0xffff
	v_mul_u32_u24_e32 v3, s23, v0
	v_lshl_add_u32 v3, v3, 4, v14
	ds_write2_b64 v3, v[10:11], v[12:13] offset1:1
.LBB250_4:                              ;   in Loop: Header=BB250_5 Depth=1
	s_or_b64 exec, exec, s[2:3]
	s_ashr_i32 s2, s9, 31
	v_mov_b32_e32 v3, s9
	v_mov_b32_e32 v4, s2
	v_cmp_le_i64_e32 vcc, s[12:13], v[3:4]
	v_add_u32_e32 v9, s6, v9
	s_add_i32 s9, s9, s6
	s_cbranch_vccnz .LBB250_15
.LBB250_5:                              ; =>This Inner Loop Header: Depth=1
	s_mov_b64 s[34:35], s[26:27]
	s_and_saveexec_b64 s[30:31], s[0:1]
	s_cbranch_execz .LBB250_9
; %bb.6:                                ;   in Loop: Header=BB250_5 Depth=1
	v_ashrrev_i32_e32 v10, 31, v9
	v_cmp_gt_i64_e32 vcc, s[12:13], v[9:10]
	v_cmp_lt_i32_e64 s[2:3], v0, v9
	s_and_b64 s[36:37], s[2:3], vcc
	s_mov_b64 s[34:35], -1
	s_and_saveexec_b64 s[2:3], s[36:37]
	s_cbranch_execz .LBB250_8
; %bb.7:                                ;   in Loop: Header=BB250_5 Depth=1
	v_mul_lo_u32 v5, s25, v9
	v_mul_lo_u32 v6, s24, v10
	v_mad_u64_u32 v[3:4], s[34:35], s24, v9, 0
	s_load_dword s23, s[20:21], 0xc
	s_xor_b64 s[34:35], exec, -1
	v_add3_u32 v4, v4, v6, v5
	v_lshlrev_b64 v[3:4], 4, v[3:4]
	v_add_co_u32_e32 v3, vcc, v1, v3
	v_addc_co_u32_e32 v4, vcc, v15, v4, vcc
	global_load_dwordx4 v[3:6], v[3:4], off
	s_waitcnt lgkmcnt(0)
	s_and_b32 s23, s23, 0xffff
	v_mul_lo_u32 v10, v9, s23
	v_lshl_add_u32 v10, v10, 4, v14
	s_waitcnt vmcnt(0)
	ds_write2_b64 v10, v[3:4], v[5:6] offset1:1
.LBB250_8:                              ;   in Loop: Header=BB250_5 Depth=1
	s_or_b64 exec, exec, s[2:3]
	s_andn2_b64 s[2:3], s[26:27], exec
	s_and_b64 s[34:35], s[34:35], exec
	s_or_b64 s[34:35], s[2:3], s[34:35]
.LBB250_9:                              ;   in Loop: Header=BB250_5 Depth=1
	s_or_b64 exec, exec, s[30:31]
	s_and_saveexec_b64 s[2:3], s[34:35]
	s_cbranch_execz .LBB250_4
; %bb.10:                               ;   in Loop: Header=BB250_5 Depth=1
	v_cmp_eq_u32_e32 vcc, v0, v9
	s_and_b64 s[30:31], s[28:29], vcc
	s_and_b64 exec, exec, s[30:31]
	s_cbranch_execz .LBB250_4
; %bb.11:                               ;   in Loop: Header=BB250_5 Depth=1
	global_load_dwordx4 v[3:6], v[7:8], off
                                        ; implicit-def: $vgpr10_vgpr11
	s_waitcnt vmcnt(0)
	v_cmp_ngt_f64_e64 s[30:31], |v[3:4]|, |v[5:6]|
	s_and_saveexec_b64 s[34:35], s[30:31]
	s_xor_b64 s[30:31], exec, s[34:35]
                                        ; implicit-def: $vgpr12_vgpr13
	s_cbranch_execz .LBB250_13
; %bb.12:                               ;   in Loop: Header=BB250_5 Depth=1
	v_div_scale_f64 v[10:11], s[34:35], v[5:6], v[5:6], v[3:4]
	v_rcp_f64_e32 v[12:13], v[10:11]
	v_fma_f64 v[16:17], -v[10:11], v[12:13], 1.0
	v_fma_f64 v[12:13], v[12:13], v[16:17], v[12:13]
	v_div_scale_f64 v[16:17], vcc, v[3:4], v[5:6], v[3:4]
	v_fma_f64 v[18:19], -v[10:11], v[12:13], 1.0
	v_fma_f64 v[12:13], v[12:13], v[18:19], v[12:13]
	v_mul_f64 v[18:19], v[16:17], v[12:13]
	v_fma_f64 v[10:11], -v[10:11], v[18:19], v[16:17]
	v_div_fmas_f64 v[10:11], v[10:11], v[12:13], v[18:19]
	v_div_fixup_f64 v[10:11], v[10:11], v[5:6], v[3:4]
	v_fma_f64 v[3:4], v[3:4], v[10:11], v[5:6]
	v_div_scale_f64 v[5:6], s[34:35], v[3:4], v[3:4], 1.0
	v_div_scale_f64 v[18:19], vcc, 1.0, v[3:4], 1.0
	v_rcp_f64_e32 v[12:13], v[5:6]
	v_fma_f64 v[16:17], -v[5:6], v[12:13], 1.0
	v_fma_f64 v[12:13], v[12:13], v[16:17], v[12:13]
	v_fma_f64 v[16:17], -v[5:6], v[12:13], 1.0
	v_fma_f64 v[12:13], v[12:13], v[16:17], v[12:13]
	v_mul_f64 v[16:17], v[18:19], v[12:13]
	v_fma_f64 v[5:6], -v[5:6], v[16:17], v[18:19]
	v_div_fmas_f64 v[5:6], v[5:6], v[12:13], v[16:17]
	v_div_fixup_f64 v[12:13], v[5:6], v[3:4], 1.0
                                        ; implicit-def: $vgpr3_vgpr4
	v_mul_f64 v[10:11], v[10:11], v[12:13]
	v_xor_b32_e32 v13, 0x80000000, v13
.LBB250_13:                             ;   in Loop: Header=BB250_5 Depth=1
	s_andn2_saveexec_b64 s[30:31], s[30:31]
	s_cbranch_execz .LBB250_3
; %bb.14:                               ;   in Loop: Header=BB250_5 Depth=1
	v_div_scale_f64 v[10:11], s[34:35], v[3:4], v[3:4], v[5:6]
	v_rcp_f64_e32 v[12:13], v[10:11]
	v_fma_f64 v[16:17], -v[10:11], v[12:13], 1.0
	v_fma_f64 v[12:13], v[12:13], v[16:17], v[12:13]
	v_div_scale_f64 v[16:17], vcc, v[5:6], v[3:4], v[5:6]
	v_fma_f64 v[18:19], -v[10:11], v[12:13], 1.0
	v_fma_f64 v[12:13], v[12:13], v[18:19], v[12:13]
	v_mul_f64 v[18:19], v[16:17], v[12:13]
	v_fma_f64 v[10:11], -v[10:11], v[18:19], v[16:17]
	v_div_fmas_f64 v[10:11], v[10:11], v[12:13], v[18:19]
	v_div_fixup_f64 v[12:13], v[10:11], v[3:4], v[5:6]
	v_fma_f64 v[3:4], v[5:6], v[12:13], v[3:4]
	v_div_scale_f64 v[5:6], s[34:35], v[3:4], v[3:4], 1.0
	v_div_scale_f64 v[18:19], vcc, 1.0, v[3:4], 1.0
	v_rcp_f64_e32 v[10:11], v[5:6]
	v_fma_f64 v[16:17], -v[5:6], v[10:11], 1.0
	v_fma_f64 v[10:11], v[10:11], v[16:17], v[10:11]
	v_fma_f64 v[16:17], -v[5:6], v[10:11], 1.0
	v_fma_f64 v[10:11], v[10:11], v[16:17], v[10:11]
	v_mul_f64 v[16:17], v[18:19], v[10:11]
	v_fma_f64 v[5:6], -v[5:6], v[16:17], v[18:19]
	v_div_fmas_f64 v[5:6], v[5:6], v[10:11], v[16:17]
	v_div_fixup_f64 v[10:11], v[5:6], v[3:4], 1.0
	v_mul_f64 v[12:13], v[12:13], -v[10:11]
	s_branch .LBB250_3
.LBB250_15:
	s_mov_b64 s[0:1], src_shared_base
	s_load_dword s0, s[20:21], 0xc
	s_mov_b32 s23, s1
	s_mov_b32 s25, 0
	s_mov_b64 s[2:3], s[22:23]
	s_waitcnt lgkmcnt(0)
	s_and_b32 s24, s0, 0xffff
.LBB250_16:
	s_mul_i32 s7, s7, s6
	v_add_u32_e32 v3, s7, v2
	v_mov_b32_e32 v4, 0
	v_cmp_gt_i64_e32 vcc, s[14:15], v[3:4]
	s_and_saveexec_b64 s[0:1], vcc
	s_cbranch_execz .LBB250_41
; %bb.17:
	v_mov_b32_e32 v1, v4
	v_cmp_gt_i64_e32 vcc, s[12:13], v[0:1]
	s_and_b64 exec, exec, vcc
	s_cbranch_execz .LBB250_41
; %bb.18:
	s_load_dwordx8 s[36:43], s[4:5], 0x48
	s_waitcnt lgkmcnt(0)
	s_mul_i32 s1, s43, s8
	s_mul_hi_u32 s9, s42, s8
	v_mad_u64_u32 v[4:5], s[6:7], s40, v3, 0
	s_mul_i32 s0, s42, s8
	s_add_i32 s1, s9, s1
	s_lshl_b64 s[0:1], s[0:1], 4
	s_add_u32 s6, s36, s0
	s_addc_u32 s7, s37, s1
	v_mad_u64_u32 v[5:6], s[0:1], s41, v3, v[5:6]
	s_lshl_b64 s[0:1], s[38:39], 4
	s_add_u32 s0, s6, s0
	v_lshlrev_b64 v[3:4], 4, v[4:5]
	s_addc_u32 s1, s7, s1
	v_mov_b32_e32 v5, s1
	v_add_co_u32_e32 v3, vcc, s0, v3
	v_addc_co_u32_e32 v4, vcc, v5, v4, vcc
	v_lshlrev_b32_e32 v5, 4, v0
	v_add_co_u32_e32 v9, vcc, v3, v5
	v_addc_co_u32_e32 v10, vcc, 0, v4, vcc
	global_load_dwordx4 v[11:14], v[9:10], off
	v_cmp_lt_u64_e64 s[0:1], s[12:13], 2
	s_and_b64 vcc, exec, s[0:1]
	s_waitcnt vmcnt(0)
	v_mul_f64 v[3:4], s[18:19], v[13:14]
	v_mul_f64 v[6:7], s[16:17], v[13:14]
	v_fma_f64 v[3:4], s[16:17], v[11:12], -v[3:4]
	v_fma_f64 v[11:12], s[18:19], v[11:12], v[6:7]
	s_cbranch_vccnz .LBB250_32
; %bb.19:
	s_load_dword s4, s[4:5], 0x0
	v_mad_u64_u32 v[6:7], s[0:1], v0, s24, v[0:1]
	v_lshl_add_u32 v2, v2, 4, 0
	v_mad_u64_u32 v[7:8], s[0:1], v0, s25, v[7:8]
	s_waitcnt lgkmcnt(0)
	s_cmpk_eq_i32 s4, 0x71
	s_cselect_b64 s[0:1], -1, 0
	s_add_u32 s4, s12, -1
	s_addc_u32 s5, s13, -1
	s_mul_i32 s6, s24, s5
	s_mul_hi_u32 s7, s24, s4
	s_add_i32 s6, s7, s6
	s_mul_i32 s7, s25, s4
	v_lshlrev_b64 v[6:7], 4, v[6:7]
	s_add_i32 s7, s6, s7
	s_mul_i32 s6, s24, s4
	s_lshl_b64 s[6:7], s[6:7], 4
	v_mov_b32_e32 v8, s3
	v_add_co_u32_e32 v13, vcc, s2, v6
	s_add_u32 s6, s2, s6
	v_addc_co_u32_e32 v14, vcc, v8, v7, vcc
	s_addc_u32 s7, s3, s7
	v_mov_b32_e32 v6, s7
	v_add_co_u32_e32 v15, vcc, s6, v5
	s_lshl_b64 s[6:7], s[24:25], 4
	s_sub_u32 s12, 0, s6
	v_addc_co_u32_e32 v16, vcc, 0, v6, vcc
	s_subb_u32 s13, 0, s7
.LBB250_20:                             ; =>This Inner Loop Header: Depth=1
	v_cmp_eq_u64_e32 vcc, s[4:5], v[0:1]
	s_barrier
	s_and_saveexec_b64 s[6:7], vcc
	s_cbranch_execz .LBB250_28
; %bb.21:                               ;   in Loop: Header=BB250_20 Depth=1
	flat_load_dwordx4 v[5:8], v[13:14]
	s_andn2_b64 vcc, exec, s[10:11]
	s_cbranch_vccnz .LBB250_27
; %bb.22:                               ;   in Loop: Header=BB250_20 Depth=1
	s_waitcnt vmcnt(0) lgkmcnt(0)
	v_cmp_ngt_f64_e64 s[8:9], |v[5:6]|, |v[7:8]|
	s_and_saveexec_b64 s[14:15], s[8:9]
	s_xor_b64 s[8:9], exec, s[14:15]
	s_cbranch_execz .LBB250_24
; %bb.23:                               ;   in Loop: Header=BB250_20 Depth=1
	v_div_scale_f64 v[17:18], s[14:15], v[7:8], v[7:8], v[5:6]
	v_rcp_f64_e32 v[19:20], v[17:18]
	v_fma_f64 v[21:22], -v[17:18], v[19:20], 1.0
	v_fma_f64 v[19:20], v[19:20], v[21:22], v[19:20]
	v_div_scale_f64 v[21:22], vcc, v[5:6], v[7:8], v[5:6]
	v_fma_f64 v[23:24], -v[17:18], v[19:20], 1.0
	v_fma_f64 v[19:20], v[19:20], v[23:24], v[19:20]
	v_mul_f64 v[23:24], v[21:22], v[19:20]
	v_fma_f64 v[17:18], -v[17:18], v[23:24], v[21:22]
	v_div_fmas_f64 v[17:18], v[17:18], v[19:20], v[23:24]
	v_div_fixup_f64 v[17:18], v[17:18], v[7:8], v[5:6]
	v_fma_f64 v[5:6], v[5:6], v[17:18], v[7:8]
	v_div_scale_f64 v[7:8], s[14:15], v[5:6], v[5:6], 1.0
	v_div_scale_f64 v[23:24], vcc, 1.0, v[5:6], 1.0
	v_rcp_f64_e32 v[19:20], v[7:8]
	v_fma_f64 v[21:22], -v[7:8], v[19:20], 1.0
	v_fma_f64 v[19:20], v[19:20], v[21:22], v[19:20]
	v_fma_f64 v[21:22], -v[7:8], v[19:20], 1.0
	v_fma_f64 v[19:20], v[19:20], v[21:22], v[19:20]
	v_mul_f64 v[21:22], v[23:24], v[19:20]
	v_fma_f64 v[7:8], -v[7:8], v[21:22], v[23:24]
	v_div_fmas_f64 v[7:8], v[7:8], v[19:20], v[21:22]
	v_div_fixup_f64 v[7:8], v[7:8], v[5:6], 1.0
	v_mul_f64 v[5:6], v[17:18], v[7:8]
	v_xor_b32_e32 v8, 0x80000000, v8
.LBB250_24:                             ;   in Loop: Header=BB250_20 Depth=1
	s_andn2_saveexec_b64 s[8:9], s[8:9]
	s_cbranch_execz .LBB250_26
; %bb.25:                               ;   in Loop: Header=BB250_20 Depth=1
	v_div_scale_f64 v[17:18], s[14:15], v[5:6], v[5:6], v[7:8]
	v_rcp_f64_e32 v[19:20], v[17:18]
	v_fma_f64 v[21:22], -v[17:18], v[19:20], 1.0
	v_fma_f64 v[19:20], v[19:20], v[21:22], v[19:20]
	v_div_scale_f64 v[21:22], vcc, v[7:8], v[5:6], v[7:8]
	v_fma_f64 v[23:24], -v[17:18], v[19:20], 1.0
	v_fma_f64 v[19:20], v[19:20], v[23:24], v[19:20]
	v_mul_f64 v[23:24], v[21:22], v[19:20]
	v_fma_f64 v[17:18], -v[17:18], v[23:24], v[21:22]
	v_div_fmas_f64 v[17:18], v[17:18], v[19:20], v[23:24]
	v_div_fixup_f64 v[17:18], v[17:18], v[5:6], v[7:8]
	v_fma_f64 v[5:6], v[7:8], v[17:18], v[5:6]
	v_div_scale_f64 v[7:8], s[14:15], v[5:6], v[5:6], 1.0
	v_div_scale_f64 v[23:24], vcc, 1.0, v[5:6], 1.0
	v_rcp_f64_e32 v[19:20], v[7:8]
	v_fma_f64 v[21:22], -v[7:8], v[19:20], 1.0
	v_fma_f64 v[19:20], v[19:20], v[21:22], v[19:20]
	v_fma_f64 v[21:22], -v[7:8], v[19:20], 1.0
	v_fma_f64 v[19:20], v[19:20], v[21:22], v[19:20]
	v_mul_f64 v[21:22], v[23:24], v[19:20]
	v_fma_f64 v[7:8], -v[7:8], v[21:22], v[23:24]
	v_div_fmas_f64 v[7:8], v[7:8], v[19:20], v[21:22]
	v_div_fixup_f64 v[5:6], v[7:8], v[5:6], 1.0
	v_mul_f64 v[7:8], v[17:18], -v[5:6]
.LBB250_26:                             ;   in Loop: Header=BB250_20 Depth=1
	s_or_b64 exec, exec, s[8:9]
.LBB250_27:                             ;   in Loop: Header=BB250_20 Depth=1
	s_waitcnt vmcnt(0) lgkmcnt(0)
	v_mul_f64 v[17:18], v[11:12], v[7:8]
	v_mul_f64 v[7:8], v[3:4], v[7:8]
	v_fma_f64 v[3:4], v[3:4], v[5:6], -v[17:18]
	v_fma_f64 v[11:12], v[11:12], v[5:6], v[7:8]
	ds_write2_b64 v2, v[3:4], v[11:12] offset1:1
.LBB250_28:                             ;   in Loop: Header=BB250_20 Depth=1
	s_or_b64 exec, exec, s[6:7]
	v_cmp_gt_i64_e32 vcc, s[4:5], v[0:1]
	s_waitcnt lgkmcnt(0)
	s_barrier
	s_and_saveexec_b64 s[6:7], vcc
	s_cbranch_execz .LBB250_30
; %bb.29:                               ;   in Loop: Header=BB250_20 Depth=1
	flat_load_dwordx4 v[5:8], v[15:16]
	ds_read2_b64 v[17:20], v2 offset1:1
	s_waitcnt vmcnt(0) lgkmcnt(0)
	v_xor_b32_e32 v21, 0x80000000, v8
	v_cndmask_b32_e64 v8, v8, v21, s[0:1]
	v_mul_f64 v[21:22], v[7:8], v[19:20]
	v_mul_f64 v[19:20], v[5:6], v[19:20]
	v_fma_f64 v[5:6], v[5:6], v[17:18], -v[21:22]
	v_fma_f64 v[7:8], v[7:8], v[17:18], v[19:20]
	v_add_f64 v[3:4], v[3:4], -v[5:6]
	v_add_f64 v[11:12], v[11:12], -v[7:8]
.LBB250_30:                             ;   in Loop: Header=BB250_20 Depth=1
	s_or_b64 exec, exec, s[6:7]
	s_add_u32 s6, s4, -1
	s_addc_u32 s7, s5, -1
	s_add_u32 s4, s4, 1
	s_addc_u32 s5, s5, 0
	v_mov_b32_e32 v5, s13
	v_cmp_lt_u64_e64 s[4:5], s[4:5], 3
	v_add_co_u32_e32 v15, vcc, s12, v15
	v_addc_co_u32_e32 v16, vcc, v16, v5, vcc
	s_and_b64 vcc, exec, s[4:5]
	s_cbranch_vccnz .LBB250_32
; %bb.31:                               ;   in Loop: Header=BB250_20 Depth=1
	s_mov_b64 s[4:5], s[6:7]
	s_branch .LBB250_20
.LBB250_32:
	v_cmp_eq_u32_e32 vcc, 0, v0
	s_and_saveexec_b64 s[0:1], vcc
	s_cbranch_execz .LBB250_40
; %bb.33:
	v_mad_u64_u32 v[1:2], s[4:5], v0, s24, v[0:1]
	v_mad_u64_u32 v[5:6], s[4:5], v0, s25, v[2:3]
	v_mov_b32_e32 v6, s3
	v_mov_b32_e32 v2, v5
	v_lshlrev_b64 v[0:1], 4, v[1:2]
	v_add_co_u32_e32 v0, vcc, s2, v0
	v_addc_co_u32_e32 v1, vcc, v6, v1, vcc
	flat_load_dwordx4 v[5:8], v[0:1]
	s_andn2_b64 vcc, exec, s[10:11]
	s_cbranch_vccnz .LBB250_39
; %bb.34:
	s_waitcnt vmcnt(0) lgkmcnt(0)
	v_cmp_ngt_f64_e64 s[2:3], |v[5:6]|, |v[7:8]|
	s_and_saveexec_b64 s[4:5], s[2:3]
	s_xor_b64 s[2:3], exec, s[4:5]
	s_cbranch_execz .LBB250_36
; %bb.35:
	v_div_scale_f64 v[0:1], s[4:5], v[7:8], v[7:8], v[5:6]
	v_rcp_f64_e32 v[13:14], v[0:1]
	v_fma_f64 v[15:16], -v[0:1], v[13:14], 1.0
	v_fma_f64 v[13:14], v[13:14], v[15:16], v[13:14]
	v_div_scale_f64 v[15:16], vcc, v[5:6], v[7:8], v[5:6]
	v_fma_f64 v[17:18], -v[0:1], v[13:14], 1.0
	v_fma_f64 v[13:14], v[13:14], v[17:18], v[13:14]
	v_mul_f64 v[17:18], v[15:16], v[13:14]
	v_fma_f64 v[0:1], -v[0:1], v[17:18], v[15:16]
	v_div_fmas_f64 v[0:1], v[0:1], v[13:14], v[17:18]
	v_div_fixup_f64 v[0:1], v[0:1], v[7:8], v[5:6]
	v_fma_f64 v[5:6], v[5:6], v[0:1], v[7:8]
	v_div_scale_f64 v[7:8], s[4:5], v[5:6], v[5:6], 1.0
	v_div_scale_f64 v[17:18], vcc, 1.0, v[5:6], 1.0
	v_rcp_f64_e32 v[13:14], v[7:8]
	v_fma_f64 v[15:16], -v[7:8], v[13:14], 1.0
	v_fma_f64 v[13:14], v[13:14], v[15:16], v[13:14]
	v_fma_f64 v[15:16], -v[7:8], v[13:14], 1.0
	v_fma_f64 v[13:14], v[13:14], v[15:16], v[13:14]
	v_mul_f64 v[15:16], v[17:18], v[13:14]
	v_fma_f64 v[7:8], -v[7:8], v[15:16], v[17:18]
	v_div_fmas_f64 v[7:8], v[7:8], v[13:14], v[15:16]
	v_div_fixup_f64 v[7:8], v[7:8], v[5:6], 1.0
	v_mul_f64 v[5:6], v[0:1], v[7:8]
	v_xor_b32_e32 v8, 0x80000000, v8
.LBB250_36:
	s_andn2_saveexec_b64 s[2:3], s[2:3]
	s_cbranch_execz .LBB250_38
; %bb.37:
	v_div_scale_f64 v[0:1], s[4:5], v[5:6], v[5:6], v[7:8]
	v_rcp_f64_e32 v[13:14], v[0:1]
	v_fma_f64 v[15:16], -v[0:1], v[13:14], 1.0
	v_fma_f64 v[13:14], v[13:14], v[15:16], v[13:14]
	v_div_scale_f64 v[15:16], vcc, v[7:8], v[5:6], v[7:8]
	v_fma_f64 v[17:18], -v[0:1], v[13:14], 1.0
	v_fma_f64 v[13:14], v[13:14], v[17:18], v[13:14]
	v_mul_f64 v[17:18], v[15:16], v[13:14]
	v_fma_f64 v[0:1], -v[0:1], v[17:18], v[15:16]
	v_div_fmas_f64 v[0:1], v[0:1], v[13:14], v[17:18]
	v_div_fixup_f64 v[0:1], v[0:1], v[5:6], v[7:8]
	v_fma_f64 v[5:6], v[7:8], v[0:1], v[5:6]
	v_div_scale_f64 v[7:8], s[4:5], v[5:6], v[5:6], 1.0
	v_div_scale_f64 v[17:18], vcc, 1.0, v[5:6], 1.0
	v_rcp_f64_e32 v[13:14], v[7:8]
	v_fma_f64 v[15:16], -v[7:8], v[13:14], 1.0
	v_fma_f64 v[13:14], v[13:14], v[15:16], v[13:14]
	v_fma_f64 v[15:16], -v[7:8], v[13:14], 1.0
	v_fma_f64 v[13:14], v[13:14], v[15:16], v[13:14]
	v_mul_f64 v[15:16], v[17:18], v[13:14]
	v_fma_f64 v[7:8], -v[7:8], v[15:16], v[17:18]
	v_div_fmas_f64 v[7:8], v[7:8], v[13:14], v[15:16]
	v_div_fixup_f64 v[5:6], v[7:8], v[5:6], 1.0
	v_mul_f64 v[7:8], v[0:1], -v[5:6]
.LBB250_38:
	s_or_b64 exec, exec, s[2:3]
.LBB250_39:
	s_waitcnt vmcnt(0) lgkmcnt(0)
	v_mul_f64 v[0:1], v[11:12], v[7:8]
	v_mul_f64 v[11:12], v[11:12], v[5:6]
	v_fma_f64 v[0:1], v[3:4], v[5:6], -v[0:1]
	v_fma_f64 v[11:12], v[3:4], v[7:8], v[11:12]
	v_mov_b32_e32 v4, v1
	v_mov_b32_e32 v3, v0
.LBB250_40:
	s_or_b64 exec, exec, s[0:1]
	v_mov_b32_e32 v5, v11
	v_mov_b32_e32 v6, v12
	global_store_dwordx4 v[9:10], v[3:6], off
.LBB250_41:
	s_endpgm
	.section	.rodata,"a",@progbits
	.p2align	6, 0x0
	.amdhsa_kernel _ZL40rocblas_trsm_block_backward_substitutionI19rocblas_complex_numIdES1_PKS1_PS1_Lb1ELb1ELb0EEv18rocblas_operation_llT0_T1_lllT2_lllib
		.amdhsa_group_segment_fixed_size 0
		.amdhsa_private_segment_fixed_size 0
		.amdhsa_kernarg_size 368
		.amdhsa_user_sgpr_count 6
		.amdhsa_user_sgpr_private_segment_buffer 1
		.amdhsa_user_sgpr_dispatch_ptr 0
		.amdhsa_user_sgpr_queue_ptr 0
		.amdhsa_user_sgpr_kernarg_segment_ptr 1
		.amdhsa_user_sgpr_dispatch_id 0
		.amdhsa_user_sgpr_flat_scratch_init 0
		.amdhsa_user_sgpr_private_segment_size 0
		.amdhsa_uses_dynamic_stack 0
		.amdhsa_system_sgpr_private_segment_wavefront_offset 0
		.amdhsa_system_sgpr_workgroup_id_x 1
		.amdhsa_system_sgpr_workgroup_id_y 1
		.amdhsa_system_sgpr_workgroup_id_z 1
		.amdhsa_system_sgpr_workgroup_info 0
		.amdhsa_system_vgpr_workitem_id 1
		.amdhsa_next_free_vgpr 25
		.amdhsa_next_free_sgpr 44
		.amdhsa_reserve_vcc 1
		.amdhsa_reserve_flat_scratch 0
		.amdhsa_float_round_mode_32 0
		.amdhsa_float_round_mode_16_64 0
		.amdhsa_float_denorm_mode_32 3
		.amdhsa_float_denorm_mode_16_64 3
		.amdhsa_dx10_clamp 1
		.amdhsa_ieee_mode 1
		.amdhsa_fp16_overflow 0
		.amdhsa_exception_fp_ieee_invalid_op 0
		.amdhsa_exception_fp_denorm_src 0
		.amdhsa_exception_fp_ieee_div_zero 0
		.amdhsa_exception_fp_ieee_overflow 0
		.amdhsa_exception_fp_ieee_underflow 0
		.amdhsa_exception_fp_ieee_inexact 0
		.amdhsa_exception_int_div_zero 0
	.end_amdhsa_kernel
	.section	.text._ZL40rocblas_trsm_block_backward_substitutionI19rocblas_complex_numIdES1_PKS1_PS1_Lb1ELb1ELb0EEv18rocblas_operation_llT0_T1_lllT2_lllib,"axG",@progbits,_ZL40rocblas_trsm_block_backward_substitutionI19rocblas_complex_numIdES1_PKS1_PS1_Lb1ELb1ELb0EEv18rocblas_operation_llT0_T1_lllT2_lllib,comdat
.Lfunc_end250:
	.size	_ZL40rocblas_trsm_block_backward_substitutionI19rocblas_complex_numIdES1_PKS1_PS1_Lb1ELb1ELb0EEv18rocblas_operation_llT0_T1_lllT2_lllib, .Lfunc_end250-_ZL40rocblas_trsm_block_backward_substitutionI19rocblas_complex_numIdES1_PKS1_PS1_Lb1ELb1ELb0EEv18rocblas_operation_llT0_T1_lllT2_lllib
                                        ; -- End function
	.set _ZL40rocblas_trsm_block_backward_substitutionI19rocblas_complex_numIdES1_PKS1_PS1_Lb1ELb1ELb0EEv18rocblas_operation_llT0_T1_lllT2_lllib.num_vgpr, 25
	.set _ZL40rocblas_trsm_block_backward_substitutionI19rocblas_complex_numIdES1_PKS1_PS1_Lb1ELb1ELb0EEv18rocblas_operation_llT0_T1_lllT2_lllib.num_agpr, 0
	.set _ZL40rocblas_trsm_block_backward_substitutionI19rocblas_complex_numIdES1_PKS1_PS1_Lb1ELb1ELb0EEv18rocblas_operation_llT0_T1_lllT2_lllib.numbered_sgpr, 44
	.set _ZL40rocblas_trsm_block_backward_substitutionI19rocblas_complex_numIdES1_PKS1_PS1_Lb1ELb1ELb0EEv18rocblas_operation_llT0_T1_lllT2_lllib.num_named_barrier, 0
	.set _ZL40rocblas_trsm_block_backward_substitutionI19rocblas_complex_numIdES1_PKS1_PS1_Lb1ELb1ELb0EEv18rocblas_operation_llT0_T1_lllT2_lllib.private_seg_size, 0
	.set _ZL40rocblas_trsm_block_backward_substitutionI19rocblas_complex_numIdES1_PKS1_PS1_Lb1ELb1ELb0EEv18rocblas_operation_llT0_T1_lllT2_lllib.uses_vcc, 1
	.set _ZL40rocblas_trsm_block_backward_substitutionI19rocblas_complex_numIdES1_PKS1_PS1_Lb1ELb1ELb0EEv18rocblas_operation_llT0_T1_lllT2_lllib.uses_flat_scratch, 0
	.set _ZL40rocblas_trsm_block_backward_substitutionI19rocblas_complex_numIdES1_PKS1_PS1_Lb1ELb1ELb0EEv18rocblas_operation_llT0_T1_lllT2_lllib.has_dyn_sized_stack, 0
	.set _ZL40rocblas_trsm_block_backward_substitutionI19rocblas_complex_numIdES1_PKS1_PS1_Lb1ELb1ELb0EEv18rocblas_operation_llT0_T1_lllT2_lllib.has_recursion, 0
	.set _ZL40rocblas_trsm_block_backward_substitutionI19rocblas_complex_numIdES1_PKS1_PS1_Lb1ELb1ELb0EEv18rocblas_operation_llT0_T1_lllT2_lllib.has_indirect_call, 0
	.section	.AMDGPU.csdata,"",@progbits
; Kernel info:
; codeLenInByte = 2484
; TotalNumSgprs: 48
; NumVgprs: 25
; ScratchSize: 0
; MemoryBound: 1
; FloatMode: 240
; IeeeMode: 1
; LDSByteSize: 0 bytes/workgroup (compile time only)
; SGPRBlocks: 5
; VGPRBlocks: 6
; NumSGPRsForWavesPerEU: 48
; NumVGPRsForWavesPerEU: 25
; Occupancy: 9
; WaveLimiterHint : 1
; COMPUTE_PGM_RSRC2:SCRATCH_EN: 0
; COMPUTE_PGM_RSRC2:USER_SGPR: 6
; COMPUTE_PGM_RSRC2:TRAP_HANDLER: 0
; COMPUTE_PGM_RSRC2:TGID_X_EN: 1
; COMPUTE_PGM_RSRC2:TGID_Y_EN: 1
; COMPUTE_PGM_RSRC2:TGID_Z_EN: 1
; COMPUTE_PGM_RSRC2:TIDIG_COMP_CNT: 1
	.section	.text._ZL39rocblas_trsm_block_forward_substitutionI19rocblas_complex_numIdES1_PKS1_PS1_Lb1ELb1ELb1EEv18rocblas_operation_llT0_T1_lllT2_lllib,"axG",@progbits,_ZL39rocblas_trsm_block_forward_substitutionI19rocblas_complex_numIdES1_PKS1_PS1_Lb1ELb1ELb1EEv18rocblas_operation_llT0_T1_lllT2_lllib,comdat
	.globl	_ZL39rocblas_trsm_block_forward_substitutionI19rocblas_complex_numIdES1_PKS1_PS1_Lb1ELb1ELb1EEv18rocblas_operation_llT0_T1_lllT2_lllib ; -- Begin function _ZL39rocblas_trsm_block_forward_substitutionI19rocblas_complex_numIdES1_PKS1_PS1_Lb1ELb1ELb1EEv18rocblas_operation_llT0_T1_lllT2_lllib
	.p2align	8
	.type	_ZL39rocblas_trsm_block_forward_substitutionI19rocblas_complex_numIdES1_PKS1_PS1_Lb1ELb1ELb1EEv18rocblas_operation_llT0_T1_lllT2_lllib,@function
_ZL39rocblas_trsm_block_forward_substitutionI19rocblas_complex_numIdES1_PKS1_PS1_Lb1ELb1ELb1EEv18rocblas_operation_llT0_T1_lllT2_lllib: ; @_ZL39rocblas_trsm_block_forward_substitutionI19rocblas_complex_numIdES1_PKS1_PS1_Lb1ELb1ELb1EEv18rocblas_operation_llT0_T1_lllT2_lllib
; %bb.0:
	s_load_dwordx16 s[12:27], s[4:5], 0x8
	s_load_dword s9, s[4:5], 0x6c
	s_load_dword s6, s[4:5], 0x7c
	v_mov_b32_e32 v2, v1
	s_waitcnt lgkmcnt(0)
	s_mul_i32 s0, s27, s8
	s_mul_hi_u32 s1, s26, s8
	s_add_i32 s1, s1, s0
	s_mul_i32 s0, s26, s8
	s_lshl_b64 s[0:1], s[0:1], 4
	s_add_u32 s2, s20, s0
	s_addc_u32 s3, s21, s1
	s_lshl_b64 s[0:1], s[22:23], 4
	s_add_u32 s10, s2, s0
	s_addc_u32 s11, s3, s1
	s_add_u32 s22, s4, 0x70
	s_addc_u32 s23, s5, 0
	s_lshr_b32 s6, s6, 16
	s_bitcmp0_b32 s9, 0
	s_mov_b64 s[20:21], 1
	s_cbranch_scc1 .LBB251_6
; %bb.1:
	s_lshl_b32 s0, s6, 4
	s_add_i32 s26, s0, 0
	v_cmp_lt_i64_e64 s[0:1], s[12:13], 1
	s_mov_b64 s[2:3], 1
	s_and_b64 vcc, exec, s[0:1]
	s_cbranch_vccnz .LBB251_7
; %bb.2:
	v_mad_u64_u32 v[3:4], s[0:1], s24, v0, 0
	v_lshl_add_u32 v5, v0, 4, s26
	s_mov_b32 s9, 0
	v_mov_b32_e32 v1, v4
	v_mad_u64_u32 v[6:7], s[0:1], s25, v0, v[1:2]
	v_mov_b32_e32 v1, 0
	v_mov_b32_e32 v7, s11
	;; [unrolled: 1-line block ×3, first 2 shown]
	v_lshlrev_b64 v[3:4], 4, v[3:4]
	v_cmp_gt_u64_e64 s[0:1], s[12:13], v[0:1]
	v_add_co_u32_e32 v1, vcc, s10, v3
	v_addc_co_u32_e32 v6, vcc, v7, v4, vcc
	s_branch .LBB251_4
.LBB251_3:                              ;   in Loop: Header=BB251_4 Depth=1
	s_or_b64 exec, exec, s[10:11]
	s_add_i32 s9, s9, s6
	s_ashr_i32 s10, s9, 31
	v_mov_b32_e32 v3, s9
	v_mov_b32_e32 v4, s10
	v_cmp_le_i64_e32 vcc, s[12:13], v[3:4]
	s_cbranch_vccnz .LBB251_7
.LBB251_4:                              ; =>This Inner Loop Header: Depth=1
	v_add_u32_e32 v3, s9, v2
	v_cmp_gt_i32_e32 vcc, v0, v3
	s_and_b64 s[20:21], s[0:1], vcc
	s_and_saveexec_b64 s[10:11], s[20:21]
	s_cbranch_execz .LBB251_3
; %bb.5:                                ;   in Loop: Header=BB251_4 Depth=1
	v_ashrrev_i32_e32 v4, 31, v3
	v_lshlrev_b64 v[7:8], 4, v[3:4]
	s_load_dword s20, s[22:23], 0xc
	v_add_co_u32_e32 v7, vcc, v1, v7
	v_addc_co_u32_e32 v8, vcc, v6, v8, vcc
	global_load_dwordx4 v[7:10], v[7:8], off
	s_waitcnt lgkmcnt(0)
	s_and_b32 s20, s20, 0xffff
	v_mul_lo_u32 v3, v3, s20
	v_lshl_add_u32 v3, v3, 4, v5
	s_waitcnt vmcnt(0)
	ds_write2_b64 v3, v[7:8], v[9:10] offset1:1
	s_branch .LBB251_3
.LBB251_6:
	s_mov_b64 s[2:3], s[24:25]
	s_branch .LBB251_8
.LBB251_7:
	s_mov_b64 s[0:1], src_shared_base
	s_load_dword s0, s[22:23], 0xc
	s_mov_b32 s27, s1
	s_mov_b64 s[10:11], s[26:27]
	s_waitcnt lgkmcnt(0)
	s_and_b32 s20, s0, 0xffff
.LBB251_8:
	s_mul_i32 s7, s7, s6
	v_add_u32_e32 v3, s7, v2
	v_mov_b32_e32 v4, 0
	v_cmp_gt_i64_e32 vcc, s[14:15], v[3:4]
	s_and_saveexec_b64 s[0:1], vcc
	s_cbranch_execz .LBB251_18
; %bb.9:
	v_mov_b32_e32 v1, v4
	v_cmp_gt_i64_e32 vcc, s[12:13], v[0:1]
	s_and_b64 exec, exec, vcc
	s_cbranch_execz .LBB251_18
; %bb.10:
	s_load_dwordx8 s[24:31], s[4:5], 0x48
	v_lshlrev_b64 v[3:4], 4, v[3:4]
	s_waitcnt lgkmcnt(0)
	s_mul_i32 s1, s31, s8
	s_mul_hi_u32 s9, s30, s8
	v_mad_u64_u32 v[5:6], s[6:7], s28, v0, 0
	s_mul_i32 s0, s30, s8
	s_add_i32 s1, s9, s1
	s_lshl_b64 s[0:1], s[0:1], 4
	s_add_u32 s6, s24, s0
	s_addc_u32 s7, s25, s1
	v_mad_u64_u32 v[6:7], s[0:1], s29, v0, v[6:7]
	s_lshl_b64 s[0:1], s[26:27], 4
	s_add_u32 s0, s6, s0
	v_lshlrev_b64 v[5:6], 4, v[5:6]
	s_addc_u32 s1, s7, s1
	v_mov_b32_e32 v7, s1
	v_add_co_u32_e32 v5, vcc, s0, v5
	v_addc_co_u32_e32 v6, vcc, v7, v6, vcc
	v_add_co_u32_e32 v7, vcc, v5, v3
	v_addc_co_u32_e32 v8, vcc, v6, v4, vcc
	global_load_dwordx4 v[9:12], v[7:8], off
	v_cmp_lt_u64_e64 s[0:1], s[12:13], 2
	s_and_b64 vcc, exec, s[0:1]
	s_waitcnt vmcnt(0)
	v_mul_f64 v[3:4], s[18:19], v[11:12]
	v_mul_f64 v[5:6], s[16:17], v[11:12]
	v_fma_f64 v[3:4], s[16:17], v[9:10], -v[3:4]
	v_fma_f64 v[5:6], s[18:19], v[9:10], v[5:6]
	s_cbranch_vccnz .LBB251_17
; %bb.11:
	v_mad_u64_u32 v[9:10], s[0:1], s2, v0, 0
	s_load_dword s2, s[4:5], 0x0
	v_lshl_add_u32 v2, v2, 4, 0
	v_mad_u64_u32 v[10:11], s[0:1], s3, v0, v[10:11]
	v_mov_b32_e32 v11, s11
	s_waitcnt lgkmcnt(0)
	s_cmpk_eq_i32 s2, 0x71
	v_lshlrev_b64 v[9:10], 4, v[9:10]
	s_cselect_b64 vcc, -1, 0
	v_add_co_u32_e64 v9, s[0:1], s10, v9
	s_add_u32 s2, s12, -1
	v_addc_co_u32_e64 v10, s[0:1], v11, v10, s[0:1]
	s_addc_u32 s3, s13, -1
	s_lshl_b32 s8, s20, 4
	s_mov_b64 s[4:5], 0
	s_branch .LBB251_13
.LBB251_12:                             ;   in Loop: Header=BB251_13 Depth=1
	s_or_b64 exec, exec, s[6:7]
	s_add_u32 s4, s4, 1
	s_addc_u32 s5, s5, 0
	v_add_co_u32_e64 v9, s[0:1], s8, v9
	s_cmp_eq_u64 s[2:3], s[4:5]
	v_addc_co_u32_e64 v10, s[0:1], 0, v10, s[0:1]
	s_cbranch_scc1 .LBB251_17
.LBB251_13:                             ; =>This Inner Loop Header: Depth=1
	v_cmp_eq_u64_e64 s[0:1], s[4:5], v[0:1]
	s_barrier
	s_and_saveexec_b64 s[6:7], s[0:1]
; %bb.14:                               ;   in Loop: Header=BB251_13 Depth=1
	ds_write2_b64 v2, v[3:4], v[5:6] offset1:1
; %bb.15:                               ;   in Loop: Header=BB251_13 Depth=1
	s_or_b64 exec, exec, s[6:7]
	v_cmp_lt_u64_e64 s[0:1], s[4:5], v[0:1]
	s_waitcnt lgkmcnt(0)
	s_barrier
	s_and_saveexec_b64 s[6:7], s[0:1]
	s_cbranch_execz .LBB251_12
; %bb.16:                               ;   in Loop: Header=BB251_13 Depth=1
	flat_load_dwordx4 v[11:14], v[9:10]
	ds_read2_b64 v[15:18], v2 offset1:1
	s_waitcnt vmcnt(0) lgkmcnt(0)
	v_xor_b32_e32 v19, 0x80000000, v14
	v_cndmask_b32_e32 v14, v14, v19, vcc
	v_mul_f64 v[19:20], v[13:14], v[17:18]
	v_mul_f64 v[17:18], v[11:12], v[17:18]
	v_fma_f64 v[11:12], v[11:12], v[15:16], -v[19:20]
	v_fma_f64 v[13:14], v[13:14], v[15:16], v[17:18]
	v_add_f64 v[3:4], v[3:4], -v[11:12]
	v_add_f64 v[5:6], v[5:6], -v[13:14]
	s_branch .LBB251_12
.LBB251_17:
	global_store_dwordx4 v[7:8], v[3:6], off
.LBB251_18:
	s_endpgm
	.section	.rodata,"a",@progbits
	.p2align	6, 0x0
	.amdhsa_kernel _ZL39rocblas_trsm_block_forward_substitutionI19rocblas_complex_numIdES1_PKS1_PS1_Lb1ELb1ELb1EEv18rocblas_operation_llT0_T1_lllT2_lllib
		.amdhsa_group_segment_fixed_size 0
		.amdhsa_private_segment_fixed_size 0
		.amdhsa_kernarg_size 368
		.amdhsa_user_sgpr_count 6
		.amdhsa_user_sgpr_private_segment_buffer 1
		.amdhsa_user_sgpr_dispatch_ptr 0
		.amdhsa_user_sgpr_queue_ptr 0
		.amdhsa_user_sgpr_kernarg_segment_ptr 1
		.amdhsa_user_sgpr_dispatch_id 0
		.amdhsa_user_sgpr_flat_scratch_init 0
		.amdhsa_user_sgpr_private_segment_size 0
		.amdhsa_uses_dynamic_stack 0
		.amdhsa_system_sgpr_private_segment_wavefront_offset 0
		.amdhsa_system_sgpr_workgroup_id_x 1
		.amdhsa_system_sgpr_workgroup_id_y 1
		.amdhsa_system_sgpr_workgroup_id_z 1
		.amdhsa_system_sgpr_workgroup_info 0
		.amdhsa_system_vgpr_workitem_id 1
		.amdhsa_next_free_vgpr 21
		.amdhsa_next_free_sgpr 32
		.amdhsa_reserve_vcc 1
		.amdhsa_reserve_flat_scratch 0
		.amdhsa_float_round_mode_32 0
		.amdhsa_float_round_mode_16_64 0
		.amdhsa_float_denorm_mode_32 3
		.amdhsa_float_denorm_mode_16_64 3
		.amdhsa_dx10_clamp 1
		.amdhsa_ieee_mode 1
		.amdhsa_fp16_overflow 0
		.amdhsa_exception_fp_ieee_invalid_op 0
		.amdhsa_exception_fp_denorm_src 0
		.amdhsa_exception_fp_ieee_div_zero 0
		.amdhsa_exception_fp_ieee_overflow 0
		.amdhsa_exception_fp_ieee_underflow 0
		.amdhsa_exception_fp_ieee_inexact 0
		.amdhsa_exception_int_div_zero 0
	.end_amdhsa_kernel
	.section	.text._ZL39rocblas_trsm_block_forward_substitutionI19rocblas_complex_numIdES1_PKS1_PS1_Lb1ELb1ELb1EEv18rocblas_operation_llT0_T1_lllT2_lllib,"axG",@progbits,_ZL39rocblas_trsm_block_forward_substitutionI19rocblas_complex_numIdES1_PKS1_PS1_Lb1ELb1ELb1EEv18rocblas_operation_llT0_T1_lllT2_lllib,comdat
.Lfunc_end251:
	.size	_ZL39rocblas_trsm_block_forward_substitutionI19rocblas_complex_numIdES1_PKS1_PS1_Lb1ELb1ELb1EEv18rocblas_operation_llT0_T1_lllT2_lllib, .Lfunc_end251-_ZL39rocblas_trsm_block_forward_substitutionI19rocblas_complex_numIdES1_PKS1_PS1_Lb1ELb1ELb1EEv18rocblas_operation_llT0_T1_lllT2_lllib
                                        ; -- End function
	.set _ZL39rocblas_trsm_block_forward_substitutionI19rocblas_complex_numIdES1_PKS1_PS1_Lb1ELb1ELb1EEv18rocblas_operation_llT0_T1_lllT2_lllib.num_vgpr, 21
	.set _ZL39rocblas_trsm_block_forward_substitutionI19rocblas_complex_numIdES1_PKS1_PS1_Lb1ELb1ELb1EEv18rocblas_operation_llT0_T1_lllT2_lllib.num_agpr, 0
	.set _ZL39rocblas_trsm_block_forward_substitutionI19rocblas_complex_numIdES1_PKS1_PS1_Lb1ELb1ELb1EEv18rocblas_operation_llT0_T1_lllT2_lllib.numbered_sgpr, 32
	.set _ZL39rocblas_trsm_block_forward_substitutionI19rocblas_complex_numIdES1_PKS1_PS1_Lb1ELb1ELb1EEv18rocblas_operation_llT0_T1_lllT2_lllib.num_named_barrier, 0
	.set _ZL39rocblas_trsm_block_forward_substitutionI19rocblas_complex_numIdES1_PKS1_PS1_Lb1ELb1ELb1EEv18rocblas_operation_llT0_T1_lllT2_lllib.private_seg_size, 0
	.set _ZL39rocblas_trsm_block_forward_substitutionI19rocblas_complex_numIdES1_PKS1_PS1_Lb1ELb1ELb1EEv18rocblas_operation_llT0_T1_lllT2_lllib.uses_vcc, 1
	.set _ZL39rocblas_trsm_block_forward_substitutionI19rocblas_complex_numIdES1_PKS1_PS1_Lb1ELb1ELb1EEv18rocblas_operation_llT0_T1_lllT2_lllib.uses_flat_scratch, 0
	.set _ZL39rocblas_trsm_block_forward_substitutionI19rocblas_complex_numIdES1_PKS1_PS1_Lb1ELb1ELb1EEv18rocblas_operation_llT0_T1_lllT2_lllib.has_dyn_sized_stack, 0
	.set _ZL39rocblas_trsm_block_forward_substitutionI19rocblas_complex_numIdES1_PKS1_PS1_Lb1ELb1ELb1EEv18rocblas_operation_llT0_T1_lllT2_lllib.has_recursion, 0
	.set _ZL39rocblas_trsm_block_forward_substitutionI19rocblas_complex_numIdES1_PKS1_PS1_Lb1ELb1ELb1EEv18rocblas_operation_llT0_T1_lllT2_lllib.has_indirect_call, 0
	.section	.AMDGPU.csdata,"",@progbits
; Kernel info:
; codeLenInByte = 848
; TotalNumSgprs: 36
; NumVgprs: 21
; ScratchSize: 0
; MemoryBound: 0
; FloatMode: 240
; IeeeMode: 1
; LDSByteSize: 0 bytes/workgroup (compile time only)
; SGPRBlocks: 4
; VGPRBlocks: 5
; NumSGPRsForWavesPerEU: 36
; NumVGPRsForWavesPerEU: 21
; Occupancy: 10
; WaveLimiterHint : 1
; COMPUTE_PGM_RSRC2:SCRATCH_EN: 0
; COMPUTE_PGM_RSRC2:USER_SGPR: 6
; COMPUTE_PGM_RSRC2:TRAP_HANDLER: 0
; COMPUTE_PGM_RSRC2:TGID_X_EN: 1
; COMPUTE_PGM_RSRC2:TGID_Y_EN: 1
; COMPUTE_PGM_RSRC2:TGID_Z_EN: 1
; COMPUTE_PGM_RSRC2:TIDIG_COMP_CNT: 1
	.section	.text._ZL40rocblas_trsm_block_backward_substitutionI19rocblas_complex_numIdES1_PKS1_PS1_Lb1ELb1ELb1EEv18rocblas_operation_llT0_T1_lllT2_lllib,"axG",@progbits,_ZL40rocblas_trsm_block_backward_substitutionI19rocblas_complex_numIdES1_PKS1_PS1_Lb1ELb1ELb1EEv18rocblas_operation_llT0_T1_lllT2_lllib,comdat
	.globl	_ZL40rocblas_trsm_block_backward_substitutionI19rocblas_complex_numIdES1_PKS1_PS1_Lb1ELb1ELb1EEv18rocblas_operation_llT0_T1_lllT2_lllib ; -- Begin function _ZL40rocblas_trsm_block_backward_substitutionI19rocblas_complex_numIdES1_PKS1_PS1_Lb1ELb1ELb1EEv18rocblas_operation_llT0_T1_lllT2_lllib
	.p2align	8
	.type	_ZL40rocblas_trsm_block_backward_substitutionI19rocblas_complex_numIdES1_PKS1_PS1_Lb1ELb1ELb1EEv18rocblas_operation_llT0_T1_lllT2_lllib,@function
_ZL40rocblas_trsm_block_backward_substitutionI19rocblas_complex_numIdES1_PKS1_PS1_Lb1ELb1ELb1EEv18rocblas_operation_llT0_T1_lllT2_lllib: ; @_ZL40rocblas_trsm_block_backward_substitutionI19rocblas_complex_numIdES1_PKS1_PS1_Lb1ELb1ELb1EEv18rocblas_operation_llT0_T1_lllT2_lllib
; %bb.0:
	s_load_dwordx16 s[12:27], s[4:5], 0x8
	s_load_dword s9, s[4:5], 0x6c
	s_load_dword s6, s[4:5], 0x7c
	v_mov_b32_e32 v2, v1
	s_waitcnt lgkmcnt(0)
	s_mul_i32 s0, s27, s8
	s_mul_hi_u32 s1, s26, s8
	s_add_i32 s1, s1, s0
	s_mul_i32 s0, s26, s8
	s_lshl_b64 s[0:1], s[0:1], 4
	s_add_u32 s2, s20, s0
	s_addc_u32 s3, s21, s1
	s_lshl_b64 s[0:1], s[22:23], 4
	s_add_u32 s2, s2, s0
	s_addc_u32 s3, s3, s1
	s_add_u32 s10, s4, 0x70
	s_addc_u32 s11, s5, 0
	s_lshr_b32 s6, s6, 16
	s_bitcmp0_b32 s9, 0
	s_cbranch_scc1 .LBB252_7
; %bb.1:
	v_cmp_lt_i64_e64 s[0:1], s[12:13], 1
	s_lshl_b32 s9, s6, 4
	s_add_i32 s20, s9, 0
	s_and_b64 vcc, exec, s[0:1]
	s_cbranch_vccnz .LBB252_6
; %bb.2:
	v_lshlrev_b32_e32 v3, 4, v0
	v_mov_b32_e32 v1, 0
	v_cmp_gt_u64_e64 s[0:1], s[12:13], v[0:1]
	v_mov_b32_e32 v4, s3
	v_add_co_u32_e32 v1, vcc, s2, v3
	v_add_u32_e32 v5, s20, v3
	v_addc_co_u32_e32 v6, vcc, 0, v4, vcc
	s_mov_b32 s9, 0
	s_branch .LBB252_4
.LBB252_3:                              ;   in Loop: Header=BB252_4 Depth=1
	s_or_b64 exec, exec, s[2:3]
	s_add_i32 s9, s9, s6
	s_ashr_i32 s2, s9, 31
	v_mov_b32_e32 v3, s9
	v_mov_b32_e32 v4, s2
	v_cmp_le_i64_e32 vcc, s[12:13], v[3:4]
	s_cbranch_vccnz .LBB252_6
.LBB252_4:                              ; =>This Inner Loop Header: Depth=1
	v_add_u32_e32 v3, s9, v2
	v_ashrrev_i32_e32 v4, 31, v3
	v_cmp_gt_i64_e32 vcc, s[12:13], v[3:4]
	v_cmp_lt_i32_e64 s[2:3], v0, v3
	s_and_b64 s[2:3], s[2:3], vcc
	s_and_b64 s[22:23], s[0:1], s[2:3]
	s_and_saveexec_b64 s[2:3], s[22:23]
	s_cbranch_execz .LBB252_3
; %bb.5:                                ;   in Loop: Header=BB252_4 Depth=1
	v_mul_lo_u32 v9, s25, v3
	v_mul_lo_u32 v4, s24, v4
	v_mad_u64_u32 v[7:8], s[22:23], s24, v3, 0
	s_load_dword s21, s[10:11], 0xc
	v_add3_u32 v8, v8, v4, v9
	v_lshlrev_b64 v[7:8], 4, v[7:8]
	v_add_co_u32_e32 v7, vcc, v1, v7
	v_addc_co_u32_e32 v8, vcc, v6, v8, vcc
	global_load_dwordx4 v[7:10], v[7:8], off
	s_waitcnt lgkmcnt(0)
	s_and_b32 s21, s21, 0xffff
	v_mul_lo_u32 v3, v3, s21
	v_lshl_add_u32 v3, v3, 4, v5
	s_waitcnt vmcnt(0)
	ds_write2_b64 v3, v[7:8], v[9:10] offset1:1
	s_branch .LBB252_3
.LBB252_6:
	s_mov_b64 s[0:1], src_shared_base
	s_load_dword s0, s[10:11], 0xc
	s_mov_b32 s21, s1
	s_mov_b32 s25, 0
	s_mov_b64 s[2:3], s[20:21]
	s_waitcnt lgkmcnt(0)
	s_and_b32 s24, s0, 0xffff
.LBB252_7:
	s_mul_i32 s7, s7, s6
	v_add_u32_e32 v3, s7, v2
	v_mov_b32_e32 v4, 0
	v_cmp_gt_i64_e32 vcc, s[14:15], v[3:4]
	s_and_saveexec_b64 s[0:1], vcc
	s_cbranch_execz .LBB252_18
; %bb.8:
	v_mov_b32_e32 v1, v4
	v_cmp_gt_i64_e32 vcc, s[12:13], v[0:1]
	s_and_b64 exec, exec, vcc
	s_cbranch_execz .LBB252_18
; %bb.9:
	s_load_dwordx8 s[36:43], s[4:5], 0x48
	v_lshlrev_b32_e32 v9, 4, v0
	s_waitcnt lgkmcnt(0)
	s_mul_i32 s1, s43, s8
	s_mul_hi_u32 s9, s42, s8
	v_mad_u64_u32 v[4:5], s[6:7], s40, v3, 0
	s_mul_i32 s0, s42, s8
	s_add_i32 s1, s9, s1
	s_lshl_b64 s[0:1], s[0:1], 4
	s_add_u32 s6, s36, s0
	s_addc_u32 s7, s37, s1
	v_mad_u64_u32 v[5:6], s[0:1], s41, v3, v[5:6]
	s_lshl_b64 s[0:1], s[38:39], 4
	s_add_u32 s0, s6, s0
	v_lshlrev_b64 v[3:4], 4, v[4:5]
	s_addc_u32 s1, s7, s1
	v_mov_b32_e32 v5, s1
	v_add_co_u32_e32 v3, vcc, s0, v3
	v_addc_co_u32_e32 v4, vcc, v5, v4, vcc
	v_add_co_u32_e32 v7, vcc, v3, v9
	v_addc_co_u32_e32 v8, vcc, 0, v4, vcc
	global_load_dwordx4 v[10:13], v[7:8], off
	v_cmp_lt_u64_e64 s[0:1], s[12:13], 2
	s_and_b64 vcc, exec, s[0:1]
	s_waitcnt vmcnt(0)
	v_mul_f64 v[3:4], s[18:19], v[12:13]
	v_mul_f64 v[5:6], s[16:17], v[12:13]
	v_fma_f64 v[3:4], s[16:17], v[10:11], -v[3:4]
	v_fma_f64 v[5:6], s[18:19], v[10:11], v[5:6]
	s_cbranch_vccnz .LBB252_17
; %bb.10:
	s_load_dword s0, s[4:5], 0x0
	v_lshl_add_u32 v2, v2, 4, 0
	s_waitcnt lgkmcnt(0)
	s_cmpk_eq_i32 s0, 0x71
	s_cselect_b64 s[0:1], -1, 0
	s_add_u32 s4, s12, -1
	s_addc_u32 s5, s13, -1
	s_mul_hi_u32 s6, s24, s4
	s_mul_i32 s8, s24, s5
	s_mul_i32 s7, s25, s4
	s_add_i32 s6, s6, s8
	s_add_i32 s7, s6, s7
	s_mul_i32 s6, s24, s4
	s_lshl_b64 s[6:7], s[6:7], 4
	s_add_u32 s2, s2, s6
	s_addc_u32 s3, s3, s7
	v_mov_b32_e32 v10, s3
	v_add_co_u32_e32 v9, vcc, s2, v9
	s_lshl_b64 s[2:3], s[24:25], 4
	s_sub_u32 s6, 0, s2
	v_addc_co_u32_e32 v10, vcc, 0, v10, vcc
	s_subb_u32 s7, 0, s3
.LBB252_11:                             ; =>This Inner Loop Header: Depth=1
	v_cmp_eq_u64_e32 vcc, s[4:5], v[0:1]
	s_barrier
	s_and_saveexec_b64 s[2:3], vcc
; %bb.12:                               ;   in Loop: Header=BB252_11 Depth=1
	ds_write2_b64 v2, v[3:4], v[5:6] offset1:1
; %bb.13:                               ;   in Loop: Header=BB252_11 Depth=1
	s_or_b64 exec, exec, s[2:3]
	v_cmp_gt_i64_e32 vcc, s[4:5], v[0:1]
	s_waitcnt lgkmcnt(0)
	s_barrier
	s_and_saveexec_b64 s[2:3], vcc
	s_cbranch_execz .LBB252_15
; %bb.14:                               ;   in Loop: Header=BB252_11 Depth=1
	flat_load_dwordx4 v[11:14], v[9:10]
	ds_read2_b64 v[15:18], v2 offset1:1
	s_waitcnt vmcnt(0) lgkmcnt(0)
	v_xor_b32_e32 v19, 0x80000000, v14
	v_cndmask_b32_e64 v14, v14, v19, s[0:1]
	v_mul_f64 v[19:20], v[13:14], v[17:18]
	v_mul_f64 v[17:18], v[11:12], v[17:18]
	v_fma_f64 v[11:12], v[11:12], v[15:16], -v[19:20]
	v_fma_f64 v[13:14], v[13:14], v[15:16], v[17:18]
	v_add_f64 v[3:4], v[3:4], -v[11:12]
	v_add_f64 v[5:6], v[5:6], -v[13:14]
.LBB252_15:                             ;   in Loop: Header=BB252_11 Depth=1
	s_or_b64 exec, exec, s[2:3]
	s_add_u32 s2, s4, -1
	s_addc_u32 s3, s5, -1
	s_add_u32 s4, s4, 1
	s_addc_u32 s5, s5, 0
	v_mov_b32_e32 v11, s7
	v_cmp_lt_u64_e64 s[4:5], s[4:5], 3
	v_add_co_u32_e32 v9, vcc, s6, v9
	v_addc_co_u32_e32 v10, vcc, v10, v11, vcc
	s_and_b64 vcc, exec, s[4:5]
	s_cbranch_vccnz .LBB252_17
; %bb.16:                               ;   in Loop: Header=BB252_11 Depth=1
	s_mov_b64 s[4:5], s[2:3]
	s_branch .LBB252_11
.LBB252_17:
	global_store_dwordx4 v[7:8], v[3:6], off
.LBB252_18:
	s_endpgm
	.section	.rodata,"a",@progbits
	.p2align	6, 0x0
	.amdhsa_kernel _ZL40rocblas_trsm_block_backward_substitutionI19rocblas_complex_numIdES1_PKS1_PS1_Lb1ELb1ELb1EEv18rocblas_operation_llT0_T1_lllT2_lllib
		.amdhsa_group_segment_fixed_size 0
		.amdhsa_private_segment_fixed_size 0
		.amdhsa_kernarg_size 368
		.amdhsa_user_sgpr_count 6
		.amdhsa_user_sgpr_private_segment_buffer 1
		.amdhsa_user_sgpr_dispatch_ptr 0
		.amdhsa_user_sgpr_queue_ptr 0
		.amdhsa_user_sgpr_kernarg_segment_ptr 1
		.amdhsa_user_sgpr_dispatch_id 0
		.amdhsa_user_sgpr_flat_scratch_init 0
		.amdhsa_user_sgpr_private_segment_size 0
		.amdhsa_uses_dynamic_stack 0
		.amdhsa_system_sgpr_private_segment_wavefront_offset 0
		.amdhsa_system_sgpr_workgroup_id_x 1
		.amdhsa_system_sgpr_workgroup_id_y 1
		.amdhsa_system_sgpr_workgroup_id_z 1
		.amdhsa_system_sgpr_workgroup_info 0
		.amdhsa_system_vgpr_workitem_id 1
		.amdhsa_next_free_vgpr 21
		.amdhsa_next_free_sgpr 44
		.amdhsa_reserve_vcc 1
		.amdhsa_reserve_flat_scratch 0
		.amdhsa_float_round_mode_32 0
		.amdhsa_float_round_mode_16_64 0
		.amdhsa_float_denorm_mode_32 3
		.amdhsa_float_denorm_mode_16_64 3
		.amdhsa_dx10_clamp 1
		.amdhsa_ieee_mode 1
		.amdhsa_fp16_overflow 0
		.amdhsa_exception_fp_ieee_invalid_op 0
		.amdhsa_exception_fp_denorm_src 0
		.amdhsa_exception_fp_ieee_div_zero 0
		.amdhsa_exception_fp_ieee_overflow 0
		.amdhsa_exception_fp_ieee_underflow 0
		.amdhsa_exception_fp_ieee_inexact 0
		.amdhsa_exception_int_div_zero 0
	.end_amdhsa_kernel
	.section	.text._ZL40rocblas_trsm_block_backward_substitutionI19rocblas_complex_numIdES1_PKS1_PS1_Lb1ELb1ELb1EEv18rocblas_operation_llT0_T1_lllT2_lllib,"axG",@progbits,_ZL40rocblas_trsm_block_backward_substitutionI19rocblas_complex_numIdES1_PKS1_PS1_Lb1ELb1ELb1EEv18rocblas_operation_llT0_T1_lllT2_lllib,comdat
.Lfunc_end252:
	.size	_ZL40rocblas_trsm_block_backward_substitutionI19rocblas_complex_numIdES1_PKS1_PS1_Lb1ELb1ELb1EEv18rocblas_operation_llT0_T1_lllT2_lllib, .Lfunc_end252-_ZL40rocblas_trsm_block_backward_substitutionI19rocblas_complex_numIdES1_PKS1_PS1_Lb1ELb1ELb1EEv18rocblas_operation_llT0_T1_lllT2_lllib
                                        ; -- End function
	.set _ZL40rocblas_trsm_block_backward_substitutionI19rocblas_complex_numIdES1_PKS1_PS1_Lb1ELb1ELb1EEv18rocblas_operation_llT0_T1_lllT2_lllib.num_vgpr, 21
	.set _ZL40rocblas_trsm_block_backward_substitutionI19rocblas_complex_numIdES1_PKS1_PS1_Lb1ELb1ELb1EEv18rocblas_operation_llT0_T1_lllT2_lllib.num_agpr, 0
	.set _ZL40rocblas_trsm_block_backward_substitutionI19rocblas_complex_numIdES1_PKS1_PS1_Lb1ELb1ELb1EEv18rocblas_operation_llT0_T1_lllT2_lllib.numbered_sgpr, 44
	.set _ZL40rocblas_trsm_block_backward_substitutionI19rocblas_complex_numIdES1_PKS1_PS1_Lb1ELb1ELb1EEv18rocblas_operation_llT0_T1_lllT2_lllib.num_named_barrier, 0
	.set _ZL40rocblas_trsm_block_backward_substitutionI19rocblas_complex_numIdES1_PKS1_PS1_Lb1ELb1ELb1EEv18rocblas_operation_llT0_T1_lllT2_lllib.private_seg_size, 0
	.set _ZL40rocblas_trsm_block_backward_substitutionI19rocblas_complex_numIdES1_PKS1_PS1_Lb1ELb1ELb1EEv18rocblas_operation_llT0_T1_lllT2_lllib.uses_vcc, 1
	.set _ZL40rocblas_trsm_block_backward_substitutionI19rocblas_complex_numIdES1_PKS1_PS1_Lb1ELb1ELb1EEv18rocblas_operation_llT0_T1_lllT2_lllib.uses_flat_scratch, 0
	.set _ZL40rocblas_trsm_block_backward_substitutionI19rocblas_complex_numIdES1_PKS1_PS1_Lb1ELb1ELb1EEv18rocblas_operation_llT0_T1_lllT2_lllib.has_dyn_sized_stack, 0
	.set _ZL40rocblas_trsm_block_backward_substitutionI19rocblas_complex_numIdES1_PKS1_PS1_Lb1ELb1ELb1EEv18rocblas_operation_llT0_T1_lllT2_lllib.has_recursion, 0
	.set _ZL40rocblas_trsm_block_backward_substitutionI19rocblas_complex_numIdES1_PKS1_PS1_Lb1ELb1ELb1EEv18rocblas_operation_llT0_T1_lllT2_lllib.has_indirect_call, 0
	.section	.AMDGPU.csdata,"",@progbits
; Kernel info:
; codeLenInByte = 860
; TotalNumSgprs: 48
; NumVgprs: 21
; ScratchSize: 0
; MemoryBound: 0
; FloatMode: 240
; IeeeMode: 1
; LDSByteSize: 0 bytes/workgroup (compile time only)
; SGPRBlocks: 5
; VGPRBlocks: 5
; NumSGPRsForWavesPerEU: 48
; NumVGPRsForWavesPerEU: 21
; Occupancy: 10
; WaveLimiterHint : 1
; COMPUTE_PGM_RSRC2:SCRATCH_EN: 0
; COMPUTE_PGM_RSRC2:USER_SGPR: 6
; COMPUTE_PGM_RSRC2:TRAP_HANDLER: 0
; COMPUTE_PGM_RSRC2:TGID_X_EN: 1
; COMPUTE_PGM_RSRC2:TGID_Y_EN: 1
; COMPUTE_PGM_RSRC2:TGID_Z_EN: 1
; COMPUTE_PGM_RSRC2:TIDIG_COMP_CNT: 1
	.section	.text._ZL39rocblas_trsm_block_forward_substitutionI19rocblas_complex_numIdES1_PKS1_PS1_Lb1ELb0ELb0EEv18rocblas_operation_llT0_T1_lllT2_lllib,"axG",@progbits,_ZL39rocblas_trsm_block_forward_substitutionI19rocblas_complex_numIdES1_PKS1_PS1_Lb1ELb0ELb0EEv18rocblas_operation_llT0_T1_lllT2_lllib,comdat
	.globl	_ZL39rocblas_trsm_block_forward_substitutionI19rocblas_complex_numIdES1_PKS1_PS1_Lb1ELb0ELb0EEv18rocblas_operation_llT0_T1_lllT2_lllib ; -- Begin function _ZL39rocblas_trsm_block_forward_substitutionI19rocblas_complex_numIdES1_PKS1_PS1_Lb1ELb0ELb0EEv18rocblas_operation_llT0_T1_lllT2_lllib
	.p2align	8
	.type	_ZL39rocblas_trsm_block_forward_substitutionI19rocblas_complex_numIdES1_PKS1_PS1_Lb1ELb0ELb0EEv18rocblas_operation_llT0_T1_lllT2_lllib,@function
_ZL39rocblas_trsm_block_forward_substitutionI19rocblas_complex_numIdES1_PKS1_PS1_Lb1ELb0ELb0EEv18rocblas_operation_llT0_T1_lllT2_lllib: ; @_ZL39rocblas_trsm_block_forward_substitutionI19rocblas_complex_numIdES1_PKS1_PS1_Lb1ELb0ELb0EEv18rocblas_operation_llT0_T1_lllT2_lllib
; %bb.0:
	s_load_dword s0, s[4:5], 0x6c
	s_load_dwordx16 s[12:27], s[4:5], 0x8
	s_load_dword s6, s[4:5], 0x7c
	v_mov_b32_e32 v2, v1
	s_waitcnt lgkmcnt(0)
	s_bitcmp1_b32 s0, 0
	s_cselect_b64 s[0:1], -1, 0
	s_xor_b64 s[2:3], s[0:1], -1
	s_mul_i32 s0, s27, s8
	s_mul_hi_u32 s1, s26, s8
	s_add_i32 s1, s1, s0
	s_mul_i32 s0, s26, s8
	s_lshl_b64 s[0:1], s[0:1], 4
	s_add_u32 s9, s20, s0
	s_addc_u32 s10, s21, s1
	s_lshl_b64 s[0:1], s[22:23], 4
	s_add_u32 s20, s9, s0
	s_addc_u32 s21, s10, s1
	s_add_u32 s26, s4, 0x70
	s_addc_u32 s27, s5, 0
	s_lshr_b32 s6, s6, 16
	s_mov_b64 s[22:23], 1
	s_and_b64 vcc, exec, s[2:3]
	s_cbranch_vccnz .LBB253_14
; %bb.1:
	s_lshl_b32 s0, s6, 4
	s_add_i32 s28, s0, 0
	v_cmp_lt_i64_e64 s[0:1], s[12:13], 1
	s_mov_b64 s[10:11], 1
	s_and_b64 vcc, exec, s[0:1]
	s_cbranch_vccnz .LBB253_15
; %bb.2:
	v_mad_u64_u32 v[3:4], s[0:1], s24, v0, 0
	v_lshlrev_b32_e32 v6, 4, v0
	v_add_u32_e32 v14, s28, v6
	v_mov_b32_e32 v1, v4
	v_mad_u64_u32 v[4:5], s[0:1], s25, v0, v[1:2]
	v_mov_b32_e32 v1, 0
	v_cmp_le_u64_e32 vcc, s[12:13], v[0:1]
	v_lshlrev_b64 v[3:4], 4, v[3:4]
	v_mov_b32_e32 v5, s21
	v_add_co_u32_e64 v1, s[0:1], s20, v3
	v_addc_co_u32_e64 v15, s[0:1], v5, v4, s[0:1]
	v_add_co_u32_e64 v7, s[0:1], v1, v6
	v_addc_co_u32_e64 v8, s[0:1], 0, v15, s[0:1]
	s_xor_b64 s[0:1], vcc, -1
	s_mov_b32 s9, s6
	v_mov_b32_e32 v9, v2
	s_branch .LBB253_6
.LBB253_3:                              ;   in Loop: Header=BB253_6 Depth=1
	s_or_b64 exec, exec, s[24:25]
	s_load_dword s24, s[26:27], 0xc
	s_waitcnt lgkmcnt(0)
	s_and_b32 s24, s24, 0xffff
	v_mul_u32_u24_e32 v3, s24, v0
	v_lshl_add_u32 v3, v3, 4, v14
	ds_write2_b64 v3, v[10:11], v[12:13] offset1:1
.LBB253_4:                              ;   in Loop: Header=BB253_6 Depth=1
	s_or_b64 exec, exec, s[22:23]
.LBB253_5:                              ;   in Loop: Header=BB253_6 Depth=1
	s_or_b64 exec, exec, s[20:21]
	s_ashr_i32 s20, s9, 31
	v_mov_b32_e32 v3, s9
	v_mov_b32_e32 v4, s20
	v_cmp_le_i64_e32 vcc, s[12:13], v[3:4]
	v_add_u32_e32 v9, s6, v9
	s_add_i32 s9, s9, s6
	s_cbranch_vccnz .LBB253_15
.LBB253_6:                              ; =>This Inner Loop Header: Depth=1
	v_cmp_gt_i32_e32 vcc, v0, v9
	s_and_b64 s[20:21], s[0:1], vcc
	s_and_saveexec_b64 s[22:23], s[20:21]
	s_xor_b64 s[20:21], exec, s[22:23]
	s_cbranch_execz .LBB253_8
; %bb.7:                                ;   in Loop: Header=BB253_6 Depth=1
	v_ashrrev_i32_e32 v10, 31, v9
	v_lshlrev_b64 v[3:4], 4, v[9:10]
	s_load_dword s22, s[26:27], 0xc
	v_add_co_u32_e32 v3, vcc, v1, v3
	v_addc_co_u32_e32 v4, vcc, v15, v4, vcc
	global_load_dwordx4 v[3:6], v[3:4], off
	s_waitcnt lgkmcnt(0)
	s_and_b32 s22, s22, 0xffff
	v_mul_lo_u32 v10, v9, s22
	v_lshl_add_u32 v10, v10, 4, v14
	s_waitcnt vmcnt(0)
	ds_write2_b64 v10, v[3:4], v[5:6] offset1:1
.LBB253_8:                              ;   in Loop: Header=BB253_6 Depth=1
	s_andn2_saveexec_b64 s[20:21], s[20:21]
	s_cbranch_execz .LBB253_5
; %bb.9:                                ;   in Loop: Header=BB253_6 Depth=1
	v_cmp_eq_u32_e32 vcc, v0, v9
	s_and_b64 s[24:25], s[0:1], vcc
	s_and_saveexec_b64 s[22:23], s[24:25]
	s_cbranch_execz .LBB253_4
; %bb.10:                               ;   in Loop: Header=BB253_6 Depth=1
	global_load_dwordx4 v[3:6], v[7:8], off
                                        ; implicit-def: $vgpr10_vgpr11
	s_waitcnt vmcnt(0)
	v_cmp_ngt_f64_e64 s[24:25], |v[3:4]|, |v[5:6]|
	s_and_saveexec_b64 s[30:31], s[24:25]
	s_xor_b64 s[24:25], exec, s[30:31]
                                        ; implicit-def: $vgpr12_vgpr13
	s_cbranch_execz .LBB253_12
; %bb.11:                               ;   in Loop: Header=BB253_6 Depth=1
	v_div_scale_f64 v[10:11], s[30:31], v[5:6], v[5:6], v[3:4]
	v_rcp_f64_e32 v[12:13], v[10:11]
	v_fma_f64 v[16:17], -v[10:11], v[12:13], 1.0
	v_fma_f64 v[12:13], v[12:13], v[16:17], v[12:13]
	v_div_scale_f64 v[16:17], vcc, v[3:4], v[5:6], v[3:4]
	v_fma_f64 v[18:19], -v[10:11], v[12:13], 1.0
	v_fma_f64 v[12:13], v[12:13], v[18:19], v[12:13]
	v_mul_f64 v[18:19], v[16:17], v[12:13]
	v_fma_f64 v[10:11], -v[10:11], v[18:19], v[16:17]
	v_div_fmas_f64 v[10:11], v[10:11], v[12:13], v[18:19]
	v_div_fixup_f64 v[10:11], v[10:11], v[5:6], v[3:4]
	v_fma_f64 v[3:4], v[3:4], v[10:11], v[5:6]
	v_div_scale_f64 v[5:6], s[30:31], v[3:4], v[3:4], 1.0
	v_div_scale_f64 v[18:19], vcc, 1.0, v[3:4], 1.0
	v_rcp_f64_e32 v[12:13], v[5:6]
	v_fma_f64 v[16:17], -v[5:6], v[12:13], 1.0
	v_fma_f64 v[12:13], v[12:13], v[16:17], v[12:13]
	v_fma_f64 v[16:17], -v[5:6], v[12:13], 1.0
	v_fma_f64 v[12:13], v[12:13], v[16:17], v[12:13]
	v_mul_f64 v[16:17], v[18:19], v[12:13]
	v_fma_f64 v[5:6], -v[5:6], v[16:17], v[18:19]
	v_div_fmas_f64 v[5:6], v[5:6], v[12:13], v[16:17]
	v_div_fixup_f64 v[12:13], v[5:6], v[3:4], 1.0
                                        ; implicit-def: $vgpr3_vgpr4
	v_mul_f64 v[10:11], v[10:11], v[12:13]
	v_xor_b32_e32 v13, 0x80000000, v13
.LBB253_12:                             ;   in Loop: Header=BB253_6 Depth=1
	s_andn2_saveexec_b64 s[24:25], s[24:25]
	s_cbranch_execz .LBB253_3
; %bb.13:                               ;   in Loop: Header=BB253_6 Depth=1
	v_div_scale_f64 v[10:11], s[30:31], v[3:4], v[3:4], v[5:6]
	v_rcp_f64_e32 v[12:13], v[10:11]
	v_fma_f64 v[16:17], -v[10:11], v[12:13], 1.0
	v_fma_f64 v[12:13], v[12:13], v[16:17], v[12:13]
	v_div_scale_f64 v[16:17], vcc, v[5:6], v[3:4], v[5:6]
	v_fma_f64 v[18:19], -v[10:11], v[12:13], 1.0
	v_fma_f64 v[12:13], v[12:13], v[18:19], v[12:13]
	v_mul_f64 v[18:19], v[16:17], v[12:13]
	v_fma_f64 v[10:11], -v[10:11], v[18:19], v[16:17]
	v_div_fmas_f64 v[10:11], v[10:11], v[12:13], v[18:19]
	v_div_fixup_f64 v[12:13], v[10:11], v[3:4], v[5:6]
	v_fma_f64 v[3:4], v[5:6], v[12:13], v[3:4]
	v_div_scale_f64 v[5:6], s[30:31], v[3:4], v[3:4], 1.0
	v_div_scale_f64 v[18:19], vcc, 1.0, v[3:4], 1.0
	v_rcp_f64_e32 v[10:11], v[5:6]
	v_fma_f64 v[16:17], -v[5:6], v[10:11], 1.0
	v_fma_f64 v[10:11], v[10:11], v[16:17], v[10:11]
	v_fma_f64 v[16:17], -v[5:6], v[10:11], 1.0
	v_fma_f64 v[10:11], v[10:11], v[16:17], v[10:11]
	v_mul_f64 v[16:17], v[18:19], v[10:11]
	v_fma_f64 v[5:6], -v[5:6], v[16:17], v[18:19]
	v_div_fmas_f64 v[5:6], v[5:6], v[10:11], v[16:17]
	v_div_fixup_f64 v[10:11], v[5:6], v[3:4], 1.0
	v_mul_f64 v[12:13], v[12:13], -v[10:11]
	s_branch .LBB253_3
.LBB253_14:
	s_mov_b64 s[10:11], s[24:25]
	s_branch .LBB253_16
.LBB253_15:
	s_mov_b64 s[0:1], src_shared_base
	s_load_dword s0, s[26:27], 0xc
	s_mov_b32 s29, s1
	s_mov_b32 s23, 0
	s_mov_b64 s[20:21], s[28:29]
	s_waitcnt lgkmcnt(0)
	s_and_b32 s22, s0, 0xffff
.LBB253_16:
	s_mul_i32 s7, s7, s6
	v_add_u32_e32 v3, s7, v2
	v_mov_b32_e32 v4, 0
	v_cmp_gt_i64_e32 vcc, s[14:15], v[3:4]
	s_and_saveexec_b64 s[0:1], vcc
	s_cbranch_execz .LBB253_40
; %bb.17:
	v_mov_b32_e32 v1, v4
	v_cmp_gt_i64_e32 vcc, s[12:13], v[0:1]
	s_and_b64 exec, exec, vcc
	s_cbranch_execz .LBB253_40
; %bb.18:
	s_load_dwordx8 s[24:31], s[4:5], 0x48
	s_waitcnt lgkmcnt(0)
	s_mul_i32 s1, s31, s8
	s_mul_hi_u32 s9, s30, s8
	v_mad_u64_u32 v[4:5], s[6:7], s28, v3, 0
	s_mul_i32 s0, s30, s8
	s_add_i32 s1, s9, s1
	s_lshl_b64 s[0:1], s[0:1], 4
	s_add_u32 s6, s24, s0
	s_addc_u32 s7, s25, s1
	v_mad_u64_u32 v[5:6], s[0:1], s29, v3, v[5:6]
	s_lshl_b64 s[0:1], s[26:27], 4
	s_add_u32 s0, s6, s0
	v_lshlrev_b64 v[3:4], 4, v[4:5]
	s_addc_u32 s1, s7, s1
	v_mov_b32_e32 v5, s1
	v_add_co_u32_e32 v3, vcc, s0, v3
	v_addc_co_u32_e32 v4, vcc, v5, v4, vcc
	v_lshlrev_b32_e32 v5, 4, v0
	v_add_co_u32_e32 v9, vcc, v3, v5
	v_addc_co_u32_e32 v10, vcc, 0, v4, vcc
	global_load_dwordx4 v[5:8], v[9:10], off
	v_cmp_lt_u64_e64 s[0:1], s[12:13], 2
	s_add_u32 s6, s12, -1
	s_addc_u32 s7, s13, -1
	s_and_b64 vcc, exec, s[0:1]
	s_waitcnt vmcnt(0)
	v_mul_f64 v[3:4], s[18:19], v[7:8]
	v_mul_f64 v[7:8], s[16:17], v[7:8]
	v_fma_f64 v[3:4], s[16:17], v[5:6], -v[3:4]
	v_fma_f64 v[11:12], s[18:19], v[5:6], v[7:8]
	s_cbranch_vccnz .LBB253_31
; %bb.19:
	s_load_dword s0, s[4:5], 0x0
	v_mov_b32_e32 v17, s21
	v_lshl_add_u32 v2, v2, 4, 0
	s_waitcnt lgkmcnt(0)
	s_cmpk_eq_i32 s0, 0x71
	s_cselect_b64 s[0:1], -1, 0
	s_add_u32 s4, s22, s10
	v_mad_u64_u32 v[5:6], s[4:5], s4, v0, 0
	v_mad_u64_u32 v[7:8], s[4:5], s10, v0, 0
	s_addc_u32 s4, s23, s11
	s_lshl_b32 s14, s22, 4
	v_mad_u64_u32 v[13:14], s[4:5], s4, v0, v[6:7]
	v_mov_b32_e32 v6, v8
	v_mad_u64_u32 v[15:16], s[4:5], s11, v0, v[6:7]
	v_mov_b32_e32 v6, v13
	v_lshlrev_b64 v[5:6], 4, v[5:6]
	v_mov_b32_e32 v8, v15
	v_add_co_u32_e32 v13, vcc, s20, v5
	v_addc_co_u32_e32 v14, vcc, v17, v6, vcc
	v_lshlrev_b64 v[5:6], 4, v[7:8]
	s_mov_b64 s[4:5], 0
	v_add_co_u32_e32 v15, vcc, s20, v5
	v_addc_co_u32_e32 v16, vcc, v17, v6, vcc
	s_branch .LBB253_21
.LBB253_20:                             ;   in Loop: Header=BB253_21 Depth=1
	s_or_b64 exec, exec, s[8:9]
	s_add_u32 s4, s4, 1
	s_addc_u32 s5, s5, 0
	v_add_co_u32_e32 v15, vcc, s14, v15
	s_cmp_eq_u64 s[6:7], s[4:5]
	v_addc_co_u32_e32 v16, vcc, 0, v16, vcc
	s_cbranch_scc1 .LBB253_31
.LBB253_21:                             ; =>This Inner Loop Header: Depth=1
	v_cmp_eq_u64_e32 vcc, s[4:5], v[0:1]
	s_barrier
	s_and_saveexec_b64 s[8:9], vcc
	s_cbranch_execz .LBB253_29
; %bb.22:                               ;   in Loop: Header=BB253_21 Depth=1
	flat_load_dwordx4 v[5:8], v[13:14]
	s_andn2_b64 vcc, exec, s[2:3]
	s_cbranch_vccnz .LBB253_28
; %bb.23:                               ;   in Loop: Header=BB253_21 Depth=1
	s_waitcnt vmcnt(0) lgkmcnt(0)
	v_cmp_ngt_f64_e64 s[12:13], |v[5:6]|, |v[7:8]|
	s_and_saveexec_b64 s[16:17], s[12:13]
	s_xor_b64 s[12:13], exec, s[16:17]
	s_cbranch_execz .LBB253_25
; %bb.24:                               ;   in Loop: Header=BB253_21 Depth=1
	v_div_scale_f64 v[17:18], s[16:17], v[7:8], v[7:8], v[5:6]
	v_rcp_f64_e32 v[19:20], v[17:18]
	v_fma_f64 v[21:22], -v[17:18], v[19:20], 1.0
	v_fma_f64 v[19:20], v[19:20], v[21:22], v[19:20]
	v_div_scale_f64 v[21:22], vcc, v[5:6], v[7:8], v[5:6]
	v_fma_f64 v[23:24], -v[17:18], v[19:20], 1.0
	v_fma_f64 v[19:20], v[19:20], v[23:24], v[19:20]
	v_mul_f64 v[23:24], v[21:22], v[19:20]
	v_fma_f64 v[17:18], -v[17:18], v[23:24], v[21:22]
	v_div_fmas_f64 v[17:18], v[17:18], v[19:20], v[23:24]
	v_div_fixup_f64 v[17:18], v[17:18], v[7:8], v[5:6]
	v_fma_f64 v[5:6], v[5:6], v[17:18], v[7:8]
	v_div_scale_f64 v[7:8], s[16:17], v[5:6], v[5:6], 1.0
	v_div_scale_f64 v[23:24], vcc, 1.0, v[5:6], 1.0
	v_rcp_f64_e32 v[19:20], v[7:8]
	v_fma_f64 v[21:22], -v[7:8], v[19:20], 1.0
	v_fma_f64 v[19:20], v[19:20], v[21:22], v[19:20]
	v_fma_f64 v[21:22], -v[7:8], v[19:20], 1.0
	v_fma_f64 v[19:20], v[19:20], v[21:22], v[19:20]
	v_mul_f64 v[21:22], v[23:24], v[19:20]
	v_fma_f64 v[7:8], -v[7:8], v[21:22], v[23:24]
	v_div_fmas_f64 v[7:8], v[7:8], v[19:20], v[21:22]
	v_div_fixup_f64 v[7:8], v[7:8], v[5:6], 1.0
	v_mul_f64 v[5:6], v[17:18], v[7:8]
	v_xor_b32_e32 v8, 0x80000000, v8
.LBB253_25:                             ;   in Loop: Header=BB253_21 Depth=1
	s_andn2_saveexec_b64 s[12:13], s[12:13]
	s_cbranch_execz .LBB253_27
; %bb.26:                               ;   in Loop: Header=BB253_21 Depth=1
	v_div_scale_f64 v[17:18], s[16:17], v[5:6], v[5:6], v[7:8]
	v_rcp_f64_e32 v[19:20], v[17:18]
	v_fma_f64 v[21:22], -v[17:18], v[19:20], 1.0
	v_fma_f64 v[19:20], v[19:20], v[21:22], v[19:20]
	v_div_scale_f64 v[21:22], vcc, v[7:8], v[5:6], v[7:8]
	v_fma_f64 v[23:24], -v[17:18], v[19:20], 1.0
	v_fma_f64 v[19:20], v[19:20], v[23:24], v[19:20]
	v_mul_f64 v[23:24], v[21:22], v[19:20]
	v_fma_f64 v[17:18], -v[17:18], v[23:24], v[21:22]
	v_div_fmas_f64 v[17:18], v[17:18], v[19:20], v[23:24]
	v_div_fixup_f64 v[17:18], v[17:18], v[5:6], v[7:8]
	v_fma_f64 v[5:6], v[7:8], v[17:18], v[5:6]
	v_div_scale_f64 v[7:8], s[16:17], v[5:6], v[5:6], 1.0
	v_div_scale_f64 v[23:24], vcc, 1.0, v[5:6], 1.0
	v_rcp_f64_e32 v[19:20], v[7:8]
	v_fma_f64 v[21:22], -v[7:8], v[19:20], 1.0
	v_fma_f64 v[19:20], v[19:20], v[21:22], v[19:20]
	v_fma_f64 v[21:22], -v[7:8], v[19:20], 1.0
	v_fma_f64 v[19:20], v[19:20], v[21:22], v[19:20]
	v_mul_f64 v[21:22], v[23:24], v[19:20]
	v_fma_f64 v[7:8], -v[7:8], v[21:22], v[23:24]
	v_div_fmas_f64 v[7:8], v[7:8], v[19:20], v[21:22]
	v_div_fixup_f64 v[5:6], v[7:8], v[5:6], 1.0
	v_mul_f64 v[7:8], v[17:18], -v[5:6]
.LBB253_27:                             ;   in Loop: Header=BB253_21 Depth=1
	s_or_b64 exec, exec, s[12:13]
.LBB253_28:                             ;   in Loop: Header=BB253_21 Depth=1
	s_waitcnt vmcnt(0) lgkmcnt(0)
	v_mul_f64 v[17:18], v[11:12], v[7:8]
	v_mul_f64 v[7:8], v[3:4], v[7:8]
	v_fma_f64 v[3:4], v[3:4], v[5:6], -v[17:18]
	v_fma_f64 v[11:12], v[11:12], v[5:6], v[7:8]
	ds_write2_b64 v2, v[3:4], v[11:12] offset1:1
.LBB253_29:                             ;   in Loop: Header=BB253_21 Depth=1
	s_or_b64 exec, exec, s[8:9]
	v_cmp_lt_u64_e32 vcc, s[4:5], v[0:1]
	s_waitcnt lgkmcnt(0)
	s_barrier
	s_and_saveexec_b64 s[8:9], vcc
	s_cbranch_execz .LBB253_20
; %bb.30:                               ;   in Loop: Header=BB253_21 Depth=1
	flat_load_dwordx4 v[5:8], v[15:16]
	ds_read2_b64 v[17:20], v2 offset1:1
	s_waitcnt vmcnt(0) lgkmcnt(0)
	v_xor_b32_e32 v21, 0x80000000, v8
	v_cndmask_b32_e64 v8, v8, v21, s[0:1]
	v_mul_f64 v[21:22], v[7:8], v[19:20]
	v_mul_f64 v[19:20], v[5:6], v[19:20]
	v_fma_f64 v[5:6], v[5:6], v[17:18], -v[21:22]
	v_fma_f64 v[7:8], v[7:8], v[17:18], v[19:20]
	v_add_f64 v[3:4], v[3:4], -v[5:6]
	v_add_f64 v[11:12], v[11:12], -v[7:8]
	s_branch .LBB253_20
.LBB253_31:
	v_cmp_eq_u64_e32 vcc, s[6:7], v[0:1]
	s_and_saveexec_b64 s[0:1], vcc
	s_cbranch_execz .LBB253_39
; %bb.32:
	s_add_u32 s4, s22, s10
	v_mad_u64_u32 v[1:2], s[4:5], s4, v0, 0
	s_addc_u32 s4, s23, s11
	v_mad_u64_u32 v[5:6], s[4:5], s4, v0, v[2:3]
	v_mov_b32_e32 v6, s21
	v_mov_b32_e32 v2, v5
	v_lshlrev_b64 v[0:1], 4, v[1:2]
	v_add_co_u32_e32 v0, vcc, s20, v0
	v_addc_co_u32_e32 v1, vcc, v6, v1, vcc
	flat_load_dwordx4 v[5:8], v[0:1]
	s_andn2_b64 vcc, exec, s[2:3]
	s_cbranch_vccnz .LBB253_38
; %bb.33:
	s_waitcnt vmcnt(0) lgkmcnt(0)
	v_cmp_ngt_f64_e64 s[2:3], |v[5:6]|, |v[7:8]|
	s_and_saveexec_b64 s[4:5], s[2:3]
	s_xor_b64 s[2:3], exec, s[4:5]
	s_cbranch_execz .LBB253_35
; %bb.34:
	v_div_scale_f64 v[0:1], s[4:5], v[7:8], v[7:8], v[5:6]
	v_rcp_f64_e32 v[13:14], v[0:1]
	v_fma_f64 v[15:16], -v[0:1], v[13:14], 1.0
	v_fma_f64 v[13:14], v[13:14], v[15:16], v[13:14]
	v_div_scale_f64 v[15:16], vcc, v[5:6], v[7:8], v[5:6]
	v_fma_f64 v[17:18], -v[0:1], v[13:14], 1.0
	v_fma_f64 v[13:14], v[13:14], v[17:18], v[13:14]
	v_mul_f64 v[17:18], v[15:16], v[13:14]
	v_fma_f64 v[0:1], -v[0:1], v[17:18], v[15:16]
	v_div_fmas_f64 v[0:1], v[0:1], v[13:14], v[17:18]
	v_div_fixup_f64 v[0:1], v[0:1], v[7:8], v[5:6]
	v_fma_f64 v[5:6], v[5:6], v[0:1], v[7:8]
	v_div_scale_f64 v[7:8], s[4:5], v[5:6], v[5:6], 1.0
	v_div_scale_f64 v[17:18], vcc, 1.0, v[5:6], 1.0
	v_rcp_f64_e32 v[13:14], v[7:8]
	v_fma_f64 v[15:16], -v[7:8], v[13:14], 1.0
	v_fma_f64 v[13:14], v[13:14], v[15:16], v[13:14]
	v_fma_f64 v[15:16], -v[7:8], v[13:14], 1.0
	v_fma_f64 v[13:14], v[13:14], v[15:16], v[13:14]
	v_mul_f64 v[15:16], v[17:18], v[13:14]
	v_fma_f64 v[7:8], -v[7:8], v[15:16], v[17:18]
	v_div_fmas_f64 v[7:8], v[7:8], v[13:14], v[15:16]
	v_div_fixup_f64 v[7:8], v[7:8], v[5:6], 1.0
	v_mul_f64 v[5:6], v[0:1], v[7:8]
	v_xor_b32_e32 v8, 0x80000000, v8
.LBB253_35:
	s_andn2_saveexec_b64 s[2:3], s[2:3]
	s_cbranch_execz .LBB253_37
; %bb.36:
	v_div_scale_f64 v[0:1], s[4:5], v[5:6], v[5:6], v[7:8]
	v_rcp_f64_e32 v[13:14], v[0:1]
	v_fma_f64 v[15:16], -v[0:1], v[13:14], 1.0
	v_fma_f64 v[13:14], v[13:14], v[15:16], v[13:14]
	v_div_scale_f64 v[15:16], vcc, v[7:8], v[5:6], v[7:8]
	v_fma_f64 v[17:18], -v[0:1], v[13:14], 1.0
	v_fma_f64 v[13:14], v[13:14], v[17:18], v[13:14]
	v_mul_f64 v[17:18], v[15:16], v[13:14]
	v_fma_f64 v[0:1], -v[0:1], v[17:18], v[15:16]
	v_div_fmas_f64 v[0:1], v[0:1], v[13:14], v[17:18]
	v_div_fixup_f64 v[0:1], v[0:1], v[5:6], v[7:8]
	v_fma_f64 v[5:6], v[7:8], v[0:1], v[5:6]
	v_div_scale_f64 v[7:8], s[4:5], v[5:6], v[5:6], 1.0
	v_div_scale_f64 v[17:18], vcc, 1.0, v[5:6], 1.0
	v_rcp_f64_e32 v[13:14], v[7:8]
	v_fma_f64 v[15:16], -v[7:8], v[13:14], 1.0
	v_fma_f64 v[13:14], v[13:14], v[15:16], v[13:14]
	v_fma_f64 v[15:16], -v[7:8], v[13:14], 1.0
	v_fma_f64 v[13:14], v[13:14], v[15:16], v[13:14]
	v_mul_f64 v[15:16], v[17:18], v[13:14]
	v_fma_f64 v[7:8], -v[7:8], v[15:16], v[17:18]
	v_div_fmas_f64 v[7:8], v[7:8], v[13:14], v[15:16]
	v_div_fixup_f64 v[5:6], v[7:8], v[5:6], 1.0
	v_mul_f64 v[7:8], v[0:1], -v[5:6]
.LBB253_37:
	s_or_b64 exec, exec, s[2:3]
.LBB253_38:
	s_waitcnt vmcnt(0) lgkmcnt(0)
	v_mul_f64 v[0:1], v[11:12], v[7:8]
	v_mul_f64 v[11:12], v[11:12], v[5:6]
	v_fma_f64 v[0:1], v[3:4], v[5:6], -v[0:1]
	v_fma_f64 v[11:12], v[3:4], v[7:8], v[11:12]
	v_mov_b32_e32 v4, v1
	v_mov_b32_e32 v3, v0
.LBB253_39:
	s_or_b64 exec, exec, s[0:1]
	v_mov_b32_e32 v5, v11
	v_mov_b32_e32 v6, v12
	global_store_dwordx4 v[9:10], v[3:6], off
.LBB253_40:
	s_endpgm
	.section	.rodata,"a",@progbits
	.p2align	6, 0x0
	.amdhsa_kernel _ZL39rocblas_trsm_block_forward_substitutionI19rocblas_complex_numIdES1_PKS1_PS1_Lb1ELb0ELb0EEv18rocblas_operation_llT0_T1_lllT2_lllib
		.amdhsa_group_segment_fixed_size 0
		.amdhsa_private_segment_fixed_size 0
		.amdhsa_kernarg_size 368
		.amdhsa_user_sgpr_count 6
		.amdhsa_user_sgpr_private_segment_buffer 1
		.amdhsa_user_sgpr_dispatch_ptr 0
		.amdhsa_user_sgpr_queue_ptr 0
		.amdhsa_user_sgpr_kernarg_segment_ptr 1
		.amdhsa_user_sgpr_dispatch_id 0
		.amdhsa_user_sgpr_flat_scratch_init 0
		.amdhsa_user_sgpr_private_segment_size 0
		.amdhsa_uses_dynamic_stack 0
		.amdhsa_system_sgpr_private_segment_wavefront_offset 0
		.amdhsa_system_sgpr_workgroup_id_x 1
		.amdhsa_system_sgpr_workgroup_id_y 1
		.amdhsa_system_sgpr_workgroup_id_z 1
		.amdhsa_system_sgpr_workgroup_info 0
		.amdhsa_system_vgpr_workitem_id 1
		.amdhsa_next_free_vgpr 25
		.amdhsa_next_free_sgpr 32
		.amdhsa_reserve_vcc 1
		.amdhsa_reserve_flat_scratch 0
		.amdhsa_float_round_mode_32 0
		.amdhsa_float_round_mode_16_64 0
		.amdhsa_float_denorm_mode_32 3
		.amdhsa_float_denorm_mode_16_64 3
		.amdhsa_dx10_clamp 1
		.amdhsa_ieee_mode 1
		.amdhsa_fp16_overflow 0
		.amdhsa_exception_fp_ieee_invalid_op 0
		.amdhsa_exception_fp_denorm_src 0
		.amdhsa_exception_fp_ieee_div_zero 0
		.amdhsa_exception_fp_ieee_overflow 0
		.amdhsa_exception_fp_ieee_underflow 0
		.amdhsa_exception_fp_ieee_inexact 0
		.amdhsa_exception_int_div_zero 0
	.end_amdhsa_kernel
	.section	.text._ZL39rocblas_trsm_block_forward_substitutionI19rocblas_complex_numIdES1_PKS1_PS1_Lb1ELb0ELb0EEv18rocblas_operation_llT0_T1_lllT2_lllib,"axG",@progbits,_ZL39rocblas_trsm_block_forward_substitutionI19rocblas_complex_numIdES1_PKS1_PS1_Lb1ELb0ELb0EEv18rocblas_operation_llT0_T1_lllT2_lllib,comdat
.Lfunc_end253:
	.size	_ZL39rocblas_trsm_block_forward_substitutionI19rocblas_complex_numIdES1_PKS1_PS1_Lb1ELb0ELb0EEv18rocblas_operation_llT0_T1_lllT2_lllib, .Lfunc_end253-_ZL39rocblas_trsm_block_forward_substitutionI19rocblas_complex_numIdES1_PKS1_PS1_Lb1ELb0ELb0EEv18rocblas_operation_llT0_T1_lllT2_lllib
                                        ; -- End function
	.set _ZL39rocblas_trsm_block_forward_substitutionI19rocblas_complex_numIdES1_PKS1_PS1_Lb1ELb0ELb0EEv18rocblas_operation_llT0_T1_lllT2_lllib.num_vgpr, 25
	.set _ZL39rocblas_trsm_block_forward_substitutionI19rocblas_complex_numIdES1_PKS1_PS1_Lb1ELb0ELb0EEv18rocblas_operation_llT0_T1_lllT2_lllib.num_agpr, 0
	.set _ZL39rocblas_trsm_block_forward_substitutionI19rocblas_complex_numIdES1_PKS1_PS1_Lb1ELb0ELb0EEv18rocblas_operation_llT0_T1_lllT2_lllib.numbered_sgpr, 32
	.set _ZL39rocblas_trsm_block_forward_substitutionI19rocblas_complex_numIdES1_PKS1_PS1_Lb1ELb0ELb0EEv18rocblas_operation_llT0_T1_lllT2_lllib.num_named_barrier, 0
	.set _ZL39rocblas_trsm_block_forward_substitutionI19rocblas_complex_numIdES1_PKS1_PS1_Lb1ELb0ELb0EEv18rocblas_operation_llT0_T1_lllT2_lllib.private_seg_size, 0
	.set _ZL39rocblas_trsm_block_forward_substitutionI19rocblas_complex_numIdES1_PKS1_PS1_Lb1ELb0ELb0EEv18rocblas_operation_llT0_T1_lllT2_lllib.uses_vcc, 1
	.set _ZL39rocblas_trsm_block_forward_substitutionI19rocblas_complex_numIdES1_PKS1_PS1_Lb1ELb0ELb0EEv18rocblas_operation_llT0_T1_lllT2_lllib.uses_flat_scratch, 0
	.set _ZL39rocblas_trsm_block_forward_substitutionI19rocblas_complex_numIdES1_PKS1_PS1_Lb1ELb0ELb0EEv18rocblas_operation_llT0_T1_lllT2_lllib.has_dyn_sized_stack, 0
	.set _ZL39rocblas_trsm_block_forward_substitutionI19rocblas_complex_numIdES1_PKS1_PS1_Lb1ELb0ELb0EEv18rocblas_operation_llT0_T1_lllT2_lllib.has_recursion, 0
	.set _ZL39rocblas_trsm_block_forward_substitutionI19rocblas_complex_numIdES1_PKS1_PS1_Lb1ELb0ELb0EEv18rocblas_operation_llT0_T1_lllT2_lllib.has_indirect_call, 0
	.section	.AMDGPU.csdata,"",@progbits
; Kernel info:
; codeLenInByte = 2420
; TotalNumSgprs: 36
; NumVgprs: 25
; ScratchSize: 0
; MemoryBound: 1
; FloatMode: 240
; IeeeMode: 1
; LDSByteSize: 0 bytes/workgroup (compile time only)
; SGPRBlocks: 4
; VGPRBlocks: 6
; NumSGPRsForWavesPerEU: 36
; NumVGPRsForWavesPerEU: 25
; Occupancy: 9
; WaveLimiterHint : 1
; COMPUTE_PGM_RSRC2:SCRATCH_EN: 0
; COMPUTE_PGM_RSRC2:USER_SGPR: 6
; COMPUTE_PGM_RSRC2:TRAP_HANDLER: 0
; COMPUTE_PGM_RSRC2:TGID_X_EN: 1
; COMPUTE_PGM_RSRC2:TGID_Y_EN: 1
; COMPUTE_PGM_RSRC2:TGID_Z_EN: 1
; COMPUTE_PGM_RSRC2:TIDIG_COMP_CNT: 1
	.section	.text._ZL40rocblas_trsm_block_backward_substitutionI19rocblas_complex_numIdES1_PKS1_PS1_Lb1ELb0ELb0EEv18rocblas_operation_llT0_T1_lllT2_lllib,"axG",@progbits,_ZL40rocblas_trsm_block_backward_substitutionI19rocblas_complex_numIdES1_PKS1_PS1_Lb1ELb0ELb0EEv18rocblas_operation_llT0_T1_lllT2_lllib,comdat
	.globl	_ZL40rocblas_trsm_block_backward_substitutionI19rocblas_complex_numIdES1_PKS1_PS1_Lb1ELb0ELb0EEv18rocblas_operation_llT0_T1_lllT2_lllib ; -- Begin function _ZL40rocblas_trsm_block_backward_substitutionI19rocblas_complex_numIdES1_PKS1_PS1_Lb1ELb0ELb0EEv18rocblas_operation_llT0_T1_lllT2_lllib
	.p2align	8
	.type	_ZL40rocblas_trsm_block_backward_substitutionI19rocblas_complex_numIdES1_PKS1_PS1_Lb1ELb0ELb0EEv18rocblas_operation_llT0_T1_lllT2_lllib,@function
_ZL40rocblas_trsm_block_backward_substitutionI19rocblas_complex_numIdES1_PKS1_PS1_Lb1ELb0ELb0EEv18rocblas_operation_llT0_T1_lllT2_lllib: ; @_ZL40rocblas_trsm_block_backward_substitutionI19rocblas_complex_numIdES1_PKS1_PS1_Lb1ELb0ELb0EEv18rocblas_operation_llT0_T1_lllT2_lllib
; %bb.0:
	s_load_dword s0, s[4:5], 0x6c
	s_load_dwordx16 s[12:27], s[4:5], 0x8
	s_load_dword s6, s[4:5], 0x7c
	v_mov_b32_e32 v2, v1
	s_waitcnt lgkmcnt(0)
	s_bitcmp1_b32 s0, 0
	s_cselect_b64 s[0:1], -1, 0
	s_xor_b64 s[10:11], s[0:1], -1
	s_mul_i32 s0, s27, s8
	s_mul_hi_u32 s1, s26, s8
	s_add_i32 s1, s1, s0
	s_mul_i32 s0, s26, s8
	s_lshl_b64 s[0:1], s[0:1], 4
	s_add_u32 s2, s20, s0
	s_addc_u32 s3, s21, s1
	s_lshl_b64 s[0:1], s[22:23], 4
	s_add_u32 s2, s2, s0
	s_addc_u32 s3, s3, s1
	s_add_u32 s20, s4, 0x70
	s_addc_u32 s21, s5, 0
	s_lshr_b32 s6, s6, 16
	s_and_b64 vcc, exec, s[10:11]
	s_cbranch_vccnz .LBB254_16
; %bb.1:
	v_cmp_lt_i64_e64 s[0:1], s[12:13], 1
	s_lshl_b32 s9, s6, 4
	s_add_i32 s22, s9, 0
	s_and_b64 vcc, exec, s[0:1]
	s_cbranch_vccnz .LBB254_15
; %bb.2:
	v_mad_u64_u32 v[3:4], s[0:1], s24, v0, 0
	v_mov_b32_e32 v1, 0
	v_cmp_le_u64_e64 s[26:27], s[12:13], v[0:1]
	v_cmp_gt_u64_e64 s[0:1], s[12:13], v[0:1]
	v_mov_b32_e32 v1, v4
	v_mad_u64_u32 v[4:5], s[28:29], s25, v0, v[1:2]
	v_lshlrev_b32_e32 v6, 4, v0
	v_mov_b32_e32 v7, s3
	v_add_co_u32_e32 v1, vcc, s2, v6
	v_lshlrev_b64 v[3:4], 4, v[3:4]
	v_addc_co_u32_e32 v15, vcc, 0, v7, vcc
	v_add_co_u32_e32 v7, vcc, v1, v3
	v_add_u32_e32 v14, s22, v6
	v_addc_co_u32_e32 v8, vcc, v15, v4, vcc
	s_xor_b64 s[28:29], s[26:27], -1
	s_mov_b32 s9, s6
	v_mov_b32_e32 v9, v2
	s_branch .LBB254_5
.LBB254_3:                              ;   in Loop: Header=BB254_5 Depth=1
	s_or_b64 exec, exec, s[30:31]
	s_load_dword s23, s[20:21], 0xc
	s_waitcnt lgkmcnt(0)
	s_and_b32 s23, s23, 0xffff
	v_mul_u32_u24_e32 v3, s23, v0
	v_lshl_add_u32 v3, v3, 4, v14
	ds_write2_b64 v3, v[10:11], v[12:13] offset1:1
.LBB254_4:                              ;   in Loop: Header=BB254_5 Depth=1
	s_or_b64 exec, exec, s[2:3]
	s_ashr_i32 s2, s9, 31
	v_mov_b32_e32 v3, s9
	v_mov_b32_e32 v4, s2
	v_cmp_le_i64_e32 vcc, s[12:13], v[3:4]
	v_add_u32_e32 v9, s6, v9
	s_add_i32 s9, s9, s6
	s_cbranch_vccnz .LBB254_15
.LBB254_5:                              ; =>This Inner Loop Header: Depth=1
	s_mov_b64 s[34:35], s[26:27]
	s_and_saveexec_b64 s[30:31], s[0:1]
	s_cbranch_execz .LBB254_9
; %bb.6:                                ;   in Loop: Header=BB254_5 Depth=1
	v_ashrrev_i32_e32 v10, 31, v9
	v_cmp_gt_i64_e32 vcc, s[12:13], v[9:10]
	v_cmp_lt_i32_e64 s[2:3], v0, v9
	s_and_b64 s[36:37], s[2:3], vcc
	s_mov_b64 s[34:35], -1
	s_and_saveexec_b64 s[2:3], s[36:37]
	s_cbranch_execz .LBB254_8
; %bb.7:                                ;   in Loop: Header=BB254_5 Depth=1
	v_mul_lo_u32 v5, s25, v9
	v_mul_lo_u32 v6, s24, v10
	v_mad_u64_u32 v[3:4], s[34:35], s24, v9, 0
	s_load_dword s23, s[20:21], 0xc
	s_xor_b64 s[34:35], exec, -1
	v_add3_u32 v4, v4, v6, v5
	v_lshlrev_b64 v[3:4], 4, v[3:4]
	v_add_co_u32_e32 v3, vcc, v1, v3
	v_addc_co_u32_e32 v4, vcc, v15, v4, vcc
	global_load_dwordx4 v[3:6], v[3:4], off
	s_waitcnt lgkmcnt(0)
	s_and_b32 s23, s23, 0xffff
	v_mul_lo_u32 v10, v9, s23
	v_lshl_add_u32 v10, v10, 4, v14
	s_waitcnt vmcnt(0)
	ds_write2_b64 v10, v[3:4], v[5:6] offset1:1
.LBB254_8:                              ;   in Loop: Header=BB254_5 Depth=1
	s_or_b64 exec, exec, s[2:3]
	s_andn2_b64 s[2:3], s[26:27], exec
	s_and_b64 s[34:35], s[34:35], exec
	s_or_b64 s[34:35], s[2:3], s[34:35]
.LBB254_9:                              ;   in Loop: Header=BB254_5 Depth=1
	s_or_b64 exec, exec, s[30:31]
	s_and_saveexec_b64 s[2:3], s[34:35]
	s_cbranch_execz .LBB254_4
; %bb.10:                               ;   in Loop: Header=BB254_5 Depth=1
	v_cmp_eq_u32_e32 vcc, v0, v9
	s_and_b64 s[30:31], s[28:29], vcc
	s_and_b64 exec, exec, s[30:31]
	s_cbranch_execz .LBB254_4
; %bb.11:                               ;   in Loop: Header=BB254_5 Depth=1
	global_load_dwordx4 v[3:6], v[7:8], off
                                        ; implicit-def: $vgpr10_vgpr11
	s_waitcnt vmcnt(0)
	v_cmp_ngt_f64_e64 s[30:31], |v[3:4]|, |v[5:6]|
	s_and_saveexec_b64 s[34:35], s[30:31]
	s_xor_b64 s[30:31], exec, s[34:35]
                                        ; implicit-def: $vgpr12_vgpr13
	s_cbranch_execz .LBB254_13
; %bb.12:                               ;   in Loop: Header=BB254_5 Depth=1
	v_div_scale_f64 v[10:11], s[34:35], v[5:6], v[5:6], v[3:4]
	v_rcp_f64_e32 v[12:13], v[10:11]
	v_fma_f64 v[16:17], -v[10:11], v[12:13], 1.0
	v_fma_f64 v[12:13], v[12:13], v[16:17], v[12:13]
	v_div_scale_f64 v[16:17], vcc, v[3:4], v[5:6], v[3:4]
	v_fma_f64 v[18:19], -v[10:11], v[12:13], 1.0
	v_fma_f64 v[12:13], v[12:13], v[18:19], v[12:13]
	v_mul_f64 v[18:19], v[16:17], v[12:13]
	v_fma_f64 v[10:11], -v[10:11], v[18:19], v[16:17]
	v_div_fmas_f64 v[10:11], v[10:11], v[12:13], v[18:19]
	v_div_fixup_f64 v[10:11], v[10:11], v[5:6], v[3:4]
	v_fma_f64 v[3:4], v[3:4], v[10:11], v[5:6]
	v_div_scale_f64 v[5:6], s[34:35], v[3:4], v[3:4], 1.0
	v_div_scale_f64 v[18:19], vcc, 1.0, v[3:4], 1.0
	v_rcp_f64_e32 v[12:13], v[5:6]
	v_fma_f64 v[16:17], -v[5:6], v[12:13], 1.0
	v_fma_f64 v[12:13], v[12:13], v[16:17], v[12:13]
	v_fma_f64 v[16:17], -v[5:6], v[12:13], 1.0
	v_fma_f64 v[12:13], v[12:13], v[16:17], v[12:13]
	v_mul_f64 v[16:17], v[18:19], v[12:13]
	v_fma_f64 v[5:6], -v[5:6], v[16:17], v[18:19]
	v_div_fmas_f64 v[5:6], v[5:6], v[12:13], v[16:17]
	v_div_fixup_f64 v[12:13], v[5:6], v[3:4], 1.0
                                        ; implicit-def: $vgpr3_vgpr4
	v_mul_f64 v[10:11], v[10:11], v[12:13]
	v_xor_b32_e32 v13, 0x80000000, v13
.LBB254_13:                             ;   in Loop: Header=BB254_5 Depth=1
	s_andn2_saveexec_b64 s[30:31], s[30:31]
	s_cbranch_execz .LBB254_3
; %bb.14:                               ;   in Loop: Header=BB254_5 Depth=1
	v_div_scale_f64 v[10:11], s[34:35], v[3:4], v[3:4], v[5:6]
	v_rcp_f64_e32 v[12:13], v[10:11]
	v_fma_f64 v[16:17], -v[10:11], v[12:13], 1.0
	v_fma_f64 v[12:13], v[12:13], v[16:17], v[12:13]
	v_div_scale_f64 v[16:17], vcc, v[5:6], v[3:4], v[5:6]
	v_fma_f64 v[18:19], -v[10:11], v[12:13], 1.0
	v_fma_f64 v[12:13], v[12:13], v[18:19], v[12:13]
	v_mul_f64 v[18:19], v[16:17], v[12:13]
	v_fma_f64 v[10:11], -v[10:11], v[18:19], v[16:17]
	v_div_fmas_f64 v[10:11], v[10:11], v[12:13], v[18:19]
	v_div_fixup_f64 v[12:13], v[10:11], v[3:4], v[5:6]
	v_fma_f64 v[3:4], v[5:6], v[12:13], v[3:4]
	v_div_scale_f64 v[5:6], s[34:35], v[3:4], v[3:4], 1.0
	v_div_scale_f64 v[18:19], vcc, 1.0, v[3:4], 1.0
	v_rcp_f64_e32 v[10:11], v[5:6]
	v_fma_f64 v[16:17], -v[5:6], v[10:11], 1.0
	v_fma_f64 v[10:11], v[10:11], v[16:17], v[10:11]
	v_fma_f64 v[16:17], -v[5:6], v[10:11], 1.0
	v_fma_f64 v[10:11], v[10:11], v[16:17], v[10:11]
	v_mul_f64 v[16:17], v[18:19], v[10:11]
	v_fma_f64 v[5:6], -v[5:6], v[16:17], v[18:19]
	v_div_fmas_f64 v[5:6], v[5:6], v[10:11], v[16:17]
	v_div_fixup_f64 v[10:11], v[5:6], v[3:4], 1.0
	v_mul_f64 v[12:13], v[12:13], -v[10:11]
	s_branch .LBB254_3
.LBB254_15:
	s_mov_b64 s[0:1], src_shared_base
	s_load_dword s0, s[20:21], 0xc
	s_mov_b32 s23, s1
	s_mov_b32 s25, 0
	s_mov_b64 s[2:3], s[22:23]
	s_waitcnt lgkmcnt(0)
	s_and_b32 s24, s0, 0xffff
.LBB254_16:
	s_mul_i32 s7, s7, s6
	v_add_u32_e32 v3, s7, v2
	v_mov_b32_e32 v4, 0
	v_cmp_gt_i64_e32 vcc, s[14:15], v[3:4]
	s_and_saveexec_b64 s[0:1], vcc
	s_cbranch_execz .LBB254_41
; %bb.17:
	v_mov_b32_e32 v1, v4
	v_cmp_gt_i64_e32 vcc, s[12:13], v[0:1]
	s_and_b64 exec, exec, vcc
	s_cbranch_execz .LBB254_41
; %bb.18:
	s_load_dwordx8 s[36:43], s[4:5], 0x48
	v_lshlrev_b64 v[3:4], 4, v[3:4]
	s_waitcnt lgkmcnt(0)
	s_mul_i32 s1, s43, s8
	s_mul_hi_u32 s9, s42, s8
	v_mad_u64_u32 v[5:6], s[6:7], s40, v0, 0
	s_mul_i32 s0, s42, s8
	s_add_i32 s1, s9, s1
	s_lshl_b64 s[0:1], s[0:1], 4
	s_add_u32 s6, s36, s0
	s_addc_u32 s7, s37, s1
	v_mad_u64_u32 v[6:7], s[0:1], s41, v0, v[6:7]
	s_lshl_b64 s[0:1], s[38:39], 4
	s_add_u32 s0, s6, s0
	v_lshlrev_b64 v[5:6], 4, v[5:6]
	s_addc_u32 s1, s7, s1
	v_mov_b32_e32 v7, s1
	v_add_co_u32_e32 v5, vcc, s0, v5
	v_addc_co_u32_e32 v6, vcc, v7, v6, vcc
	v_add_co_u32_e32 v9, vcc, v5, v3
	v_addc_co_u32_e32 v10, vcc, v6, v4, vcc
	global_load_dwordx4 v[5:8], v[9:10], off
	v_cmp_lt_u64_e64 s[0:1], s[12:13], 2
	s_and_b64 vcc, exec, s[0:1]
	s_waitcnt vmcnt(0)
	v_mul_f64 v[3:4], s[18:19], v[7:8]
	v_mul_f64 v[7:8], s[16:17], v[7:8]
	v_fma_f64 v[3:4], s[16:17], v[5:6], -v[3:4]
	v_fma_f64 v[11:12], s[18:19], v[5:6], v[7:8]
	s_cbranch_vccnz .LBB254_32
; %bb.19:
	s_load_dword s4, s[4:5], 0x0
	v_mad_u64_u32 v[5:6], s[0:1], v0, s24, v[0:1]
	v_lshl_add_u32 v2, v2, 4, 0
	v_mad_u64_u32 v[6:7], s[0:1], v0, s25, v[6:7]
	s_waitcnt lgkmcnt(0)
	s_cmpk_eq_i32 s4, 0x71
	s_cselect_b64 s[0:1], -1, 0
	s_add_u32 s4, s12, -1
	s_addc_u32 s5, s13, -1
	s_mul_i32 s6, s24, s5
	s_mul_hi_u32 s7, s24, s4
	s_add_i32 s6, s7, s6
	s_mul_i32 s7, s25, s4
	v_lshlrev_b64 v[5:6], 4, v[5:6]
	s_add_i32 s7, s6, s7
	s_mul_i32 s6, s24, s4
	s_lshl_b64 s[6:7], s[6:7], 4
	v_mov_b32_e32 v7, s3
	v_add_co_u32_e32 v13, vcc, s2, v5
	s_add_u32 s6, s2, s6
	v_addc_co_u32_e32 v14, vcc, v7, v6, vcc
	v_lshlrev_b32_e32 v5, 4, v0
	s_addc_u32 s7, s3, s7
	v_mov_b32_e32 v6, s7
	v_add_co_u32_e32 v15, vcc, s6, v5
	s_lshl_b64 s[6:7], s[24:25], 4
	s_sub_u32 s12, 0, s6
	v_addc_co_u32_e32 v16, vcc, 0, v6, vcc
	s_subb_u32 s13, 0, s7
.LBB254_20:                             ; =>This Inner Loop Header: Depth=1
	v_cmp_eq_u64_e32 vcc, s[4:5], v[0:1]
	s_barrier
	s_and_saveexec_b64 s[6:7], vcc
	s_cbranch_execz .LBB254_28
; %bb.21:                               ;   in Loop: Header=BB254_20 Depth=1
	flat_load_dwordx4 v[5:8], v[13:14]
	s_andn2_b64 vcc, exec, s[10:11]
	s_cbranch_vccnz .LBB254_27
; %bb.22:                               ;   in Loop: Header=BB254_20 Depth=1
	s_waitcnt vmcnt(0) lgkmcnt(0)
	v_cmp_ngt_f64_e64 s[8:9], |v[5:6]|, |v[7:8]|
	s_and_saveexec_b64 s[14:15], s[8:9]
	s_xor_b64 s[8:9], exec, s[14:15]
	s_cbranch_execz .LBB254_24
; %bb.23:                               ;   in Loop: Header=BB254_20 Depth=1
	v_div_scale_f64 v[17:18], s[14:15], v[7:8], v[7:8], v[5:6]
	v_rcp_f64_e32 v[19:20], v[17:18]
	v_fma_f64 v[21:22], -v[17:18], v[19:20], 1.0
	v_fma_f64 v[19:20], v[19:20], v[21:22], v[19:20]
	v_div_scale_f64 v[21:22], vcc, v[5:6], v[7:8], v[5:6]
	v_fma_f64 v[23:24], -v[17:18], v[19:20], 1.0
	v_fma_f64 v[19:20], v[19:20], v[23:24], v[19:20]
	v_mul_f64 v[23:24], v[21:22], v[19:20]
	v_fma_f64 v[17:18], -v[17:18], v[23:24], v[21:22]
	v_div_fmas_f64 v[17:18], v[17:18], v[19:20], v[23:24]
	v_div_fixup_f64 v[17:18], v[17:18], v[7:8], v[5:6]
	v_fma_f64 v[5:6], v[5:6], v[17:18], v[7:8]
	v_div_scale_f64 v[7:8], s[14:15], v[5:6], v[5:6], 1.0
	v_div_scale_f64 v[23:24], vcc, 1.0, v[5:6], 1.0
	v_rcp_f64_e32 v[19:20], v[7:8]
	v_fma_f64 v[21:22], -v[7:8], v[19:20], 1.0
	v_fma_f64 v[19:20], v[19:20], v[21:22], v[19:20]
	v_fma_f64 v[21:22], -v[7:8], v[19:20], 1.0
	v_fma_f64 v[19:20], v[19:20], v[21:22], v[19:20]
	v_mul_f64 v[21:22], v[23:24], v[19:20]
	v_fma_f64 v[7:8], -v[7:8], v[21:22], v[23:24]
	v_div_fmas_f64 v[7:8], v[7:8], v[19:20], v[21:22]
	v_div_fixup_f64 v[7:8], v[7:8], v[5:6], 1.0
	v_mul_f64 v[5:6], v[17:18], v[7:8]
	v_xor_b32_e32 v8, 0x80000000, v8
.LBB254_24:                             ;   in Loop: Header=BB254_20 Depth=1
	s_andn2_saveexec_b64 s[8:9], s[8:9]
	s_cbranch_execz .LBB254_26
; %bb.25:                               ;   in Loop: Header=BB254_20 Depth=1
	v_div_scale_f64 v[17:18], s[14:15], v[5:6], v[5:6], v[7:8]
	v_rcp_f64_e32 v[19:20], v[17:18]
	v_fma_f64 v[21:22], -v[17:18], v[19:20], 1.0
	v_fma_f64 v[19:20], v[19:20], v[21:22], v[19:20]
	v_div_scale_f64 v[21:22], vcc, v[7:8], v[5:6], v[7:8]
	v_fma_f64 v[23:24], -v[17:18], v[19:20], 1.0
	v_fma_f64 v[19:20], v[19:20], v[23:24], v[19:20]
	v_mul_f64 v[23:24], v[21:22], v[19:20]
	v_fma_f64 v[17:18], -v[17:18], v[23:24], v[21:22]
	v_div_fmas_f64 v[17:18], v[17:18], v[19:20], v[23:24]
	v_div_fixup_f64 v[17:18], v[17:18], v[5:6], v[7:8]
	v_fma_f64 v[5:6], v[7:8], v[17:18], v[5:6]
	v_div_scale_f64 v[7:8], s[14:15], v[5:6], v[5:6], 1.0
	v_div_scale_f64 v[23:24], vcc, 1.0, v[5:6], 1.0
	v_rcp_f64_e32 v[19:20], v[7:8]
	v_fma_f64 v[21:22], -v[7:8], v[19:20], 1.0
	v_fma_f64 v[19:20], v[19:20], v[21:22], v[19:20]
	v_fma_f64 v[21:22], -v[7:8], v[19:20], 1.0
	v_fma_f64 v[19:20], v[19:20], v[21:22], v[19:20]
	v_mul_f64 v[21:22], v[23:24], v[19:20]
	v_fma_f64 v[7:8], -v[7:8], v[21:22], v[23:24]
	v_div_fmas_f64 v[7:8], v[7:8], v[19:20], v[21:22]
	v_div_fixup_f64 v[5:6], v[7:8], v[5:6], 1.0
	v_mul_f64 v[7:8], v[17:18], -v[5:6]
.LBB254_26:                             ;   in Loop: Header=BB254_20 Depth=1
	s_or_b64 exec, exec, s[8:9]
.LBB254_27:                             ;   in Loop: Header=BB254_20 Depth=1
	s_waitcnt vmcnt(0) lgkmcnt(0)
	v_mul_f64 v[17:18], v[11:12], v[7:8]
	v_mul_f64 v[7:8], v[3:4], v[7:8]
	v_fma_f64 v[3:4], v[3:4], v[5:6], -v[17:18]
	v_fma_f64 v[11:12], v[11:12], v[5:6], v[7:8]
	ds_write2_b64 v2, v[3:4], v[11:12] offset1:1
.LBB254_28:                             ;   in Loop: Header=BB254_20 Depth=1
	s_or_b64 exec, exec, s[6:7]
	v_cmp_gt_i64_e32 vcc, s[4:5], v[0:1]
	s_waitcnt lgkmcnt(0)
	s_barrier
	s_and_saveexec_b64 s[6:7], vcc
	s_cbranch_execz .LBB254_30
; %bb.29:                               ;   in Loop: Header=BB254_20 Depth=1
	flat_load_dwordx4 v[5:8], v[15:16]
	ds_read2_b64 v[17:20], v2 offset1:1
	s_waitcnt vmcnt(0) lgkmcnt(0)
	v_xor_b32_e32 v21, 0x80000000, v8
	v_cndmask_b32_e64 v8, v8, v21, s[0:1]
	v_mul_f64 v[21:22], v[7:8], v[19:20]
	v_mul_f64 v[19:20], v[5:6], v[19:20]
	v_fma_f64 v[5:6], v[5:6], v[17:18], -v[21:22]
	v_fma_f64 v[7:8], v[7:8], v[17:18], v[19:20]
	v_add_f64 v[3:4], v[3:4], -v[5:6]
	v_add_f64 v[11:12], v[11:12], -v[7:8]
.LBB254_30:                             ;   in Loop: Header=BB254_20 Depth=1
	s_or_b64 exec, exec, s[6:7]
	s_add_u32 s6, s4, -1
	s_addc_u32 s7, s5, -1
	s_add_u32 s4, s4, 1
	s_addc_u32 s5, s5, 0
	v_mov_b32_e32 v5, s13
	v_cmp_lt_u64_e64 s[4:5], s[4:5], 3
	v_add_co_u32_e32 v15, vcc, s12, v15
	v_addc_co_u32_e32 v16, vcc, v16, v5, vcc
	s_and_b64 vcc, exec, s[4:5]
	s_cbranch_vccnz .LBB254_32
; %bb.31:                               ;   in Loop: Header=BB254_20 Depth=1
	s_mov_b64 s[4:5], s[6:7]
	s_branch .LBB254_20
.LBB254_32:
	v_cmp_eq_u32_e32 vcc, 0, v0
	s_and_saveexec_b64 s[0:1], vcc
	s_cbranch_execz .LBB254_40
; %bb.33:
	v_mad_u64_u32 v[1:2], s[4:5], v0, s24, v[0:1]
	v_mad_u64_u32 v[5:6], s[4:5], v0, s25, v[2:3]
	v_mov_b32_e32 v6, s3
	v_mov_b32_e32 v2, v5
	v_lshlrev_b64 v[0:1], 4, v[1:2]
	v_add_co_u32_e32 v0, vcc, s2, v0
	v_addc_co_u32_e32 v1, vcc, v6, v1, vcc
	flat_load_dwordx4 v[5:8], v[0:1]
	s_andn2_b64 vcc, exec, s[10:11]
	s_cbranch_vccnz .LBB254_39
; %bb.34:
	s_waitcnt vmcnt(0) lgkmcnt(0)
	v_cmp_ngt_f64_e64 s[2:3], |v[5:6]|, |v[7:8]|
	s_and_saveexec_b64 s[4:5], s[2:3]
	s_xor_b64 s[2:3], exec, s[4:5]
	s_cbranch_execz .LBB254_36
; %bb.35:
	v_div_scale_f64 v[0:1], s[4:5], v[7:8], v[7:8], v[5:6]
	v_rcp_f64_e32 v[13:14], v[0:1]
	v_fma_f64 v[15:16], -v[0:1], v[13:14], 1.0
	v_fma_f64 v[13:14], v[13:14], v[15:16], v[13:14]
	v_div_scale_f64 v[15:16], vcc, v[5:6], v[7:8], v[5:6]
	v_fma_f64 v[17:18], -v[0:1], v[13:14], 1.0
	v_fma_f64 v[13:14], v[13:14], v[17:18], v[13:14]
	v_mul_f64 v[17:18], v[15:16], v[13:14]
	v_fma_f64 v[0:1], -v[0:1], v[17:18], v[15:16]
	v_div_fmas_f64 v[0:1], v[0:1], v[13:14], v[17:18]
	v_div_fixup_f64 v[0:1], v[0:1], v[7:8], v[5:6]
	v_fma_f64 v[5:6], v[5:6], v[0:1], v[7:8]
	v_div_scale_f64 v[7:8], s[4:5], v[5:6], v[5:6], 1.0
	v_div_scale_f64 v[17:18], vcc, 1.0, v[5:6], 1.0
	v_rcp_f64_e32 v[13:14], v[7:8]
	v_fma_f64 v[15:16], -v[7:8], v[13:14], 1.0
	v_fma_f64 v[13:14], v[13:14], v[15:16], v[13:14]
	v_fma_f64 v[15:16], -v[7:8], v[13:14], 1.0
	v_fma_f64 v[13:14], v[13:14], v[15:16], v[13:14]
	v_mul_f64 v[15:16], v[17:18], v[13:14]
	v_fma_f64 v[7:8], -v[7:8], v[15:16], v[17:18]
	v_div_fmas_f64 v[7:8], v[7:8], v[13:14], v[15:16]
	v_div_fixup_f64 v[7:8], v[7:8], v[5:6], 1.0
	v_mul_f64 v[5:6], v[0:1], v[7:8]
	v_xor_b32_e32 v8, 0x80000000, v8
.LBB254_36:
	s_andn2_saveexec_b64 s[2:3], s[2:3]
	s_cbranch_execz .LBB254_38
; %bb.37:
	v_div_scale_f64 v[0:1], s[4:5], v[5:6], v[5:6], v[7:8]
	v_rcp_f64_e32 v[13:14], v[0:1]
	v_fma_f64 v[15:16], -v[0:1], v[13:14], 1.0
	v_fma_f64 v[13:14], v[13:14], v[15:16], v[13:14]
	v_div_scale_f64 v[15:16], vcc, v[7:8], v[5:6], v[7:8]
	v_fma_f64 v[17:18], -v[0:1], v[13:14], 1.0
	v_fma_f64 v[13:14], v[13:14], v[17:18], v[13:14]
	v_mul_f64 v[17:18], v[15:16], v[13:14]
	v_fma_f64 v[0:1], -v[0:1], v[17:18], v[15:16]
	v_div_fmas_f64 v[0:1], v[0:1], v[13:14], v[17:18]
	v_div_fixup_f64 v[0:1], v[0:1], v[5:6], v[7:8]
	v_fma_f64 v[5:6], v[7:8], v[0:1], v[5:6]
	v_div_scale_f64 v[7:8], s[4:5], v[5:6], v[5:6], 1.0
	v_div_scale_f64 v[17:18], vcc, 1.0, v[5:6], 1.0
	v_rcp_f64_e32 v[13:14], v[7:8]
	v_fma_f64 v[15:16], -v[7:8], v[13:14], 1.0
	v_fma_f64 v[13:14], v[13:14], v[15:16], v[13:14]
	v_fma_f64 v[15:16], -v[7:8], v[13:14], 1.0
	v_fma_f64 v[13:14], v[13:14], v[15:16], v[13:14]
	v_mul_f64 v[15:16], v[17:18], v[13:14]
	v_fma_f64 v[7:8], -v[7:8], v[15:16], v[17:18]
	v_div_fmas_f64 v[7:8], v[7:8], v[13:14], v[15:16]
	v_div_fixup_f64 v[5:6], v[7:8], v[5:6], 1.0
	v_mul_f64 v[7:8], v[0:1], -v[5:6]
.LBB254_38:
	s_or_b64 exec, exec, s[2:3]
.LBB254_39:
	s_waitcnt vmcnt(0) lgkmcnt(0)
	v_mul_f64 v[0:1], v[11:12], v[7:8]
	v_mul_f64 v[11:12], v[11:12], v[5:6]
	v_fma_f64 v[0:1], v[3:4], v[5:6], -v[0:1]
	v_fma_f64 v[11:12], v[3:4], v[7:8], v[11:12]
	v_mov_b32_e32 v4, v1
	v_mov_b32_e32 v3, v0
.LBB254_40:
	s_or_b64 exec, exec, s[0:1]
	v_mov_b32_e32 v5, v11
	v_mov_b32_e32 v6, v12
	global_store_dwordx4 v[9:10], v[3:6], off
.LBB254_41:
	s_endpgm
	.section	.rodata,"a",@progbits
	.p2align	6, 0x0
	.amdhsa_kernel _ZL40rocblas_trsm_block_backward_substitutionI19rocblas_complex_numIdES1_PKS1_PS1_Lb1ELb0ELb0EEv18rocblas_operation_llT0_T1_lllT2_lllib
		.amdhsa_group_segment_fixed_size 0
		.amdhsa_private_segment_fixed_size 0
		.amdhsa_kernarg_size 368
		.amdhsa_user_sgpr_count 6
		.amdhsa_user_sgpr_private_segment_buffer 1
		.amdhsa_user_sgpr_dispatch_ptr 0
		.amdhsa_user_sgpr_queue_ptr 0
		.amdhsa_user_sgpr_kernarg_segment_ptr 1
		.amdhsa_user_sgpr_dispatch_id 0
		.amdhsa_user_sgpr_flat_scratch_init 0
		.amdhsa_user_sgpr_private_segment_size 0
		.amdhsa_uses_dynamic_stack 0
		.amdhsa_system_sgpr_private_segment_wavefront_offset 0
		.amdhsa_system_sgpr_workgroup_id_x 1
		.amdhsa_system_sgpr_workgroup_id_y 1
		.amdhsa_system_sgpr_workgroup_id_z 1
		.amdhsa_system_sgpr_workgroup_info 0
		.amdhsa_system_vgpr_workitem_id 1
		.amdhsa_next_free_vgpr 25
		.amdhsa_next_free_sgpr 44
		.amdhsa_reserve_vcc 1
		.amdhsa_reserve_flat_scratch 0
		.amdhsa_float_round_mode_32 0
		.amdhsa_float_round_mode_16_64 0
		.amdhsa_float_denorm_mode_32 3
		.amdhsa_float_denorm_mode_16_64 3
		.amdhsa_dx10_clamp 1
		.amdhsa_ieee_mode 1
		.amdhsa_fp16_overflow 0
		.amdhsa_exception_fp_ieee_invalid_op 0
		.amdhsa_exception_fp_denorm_src 0
		.amdhsa_exception_fp_ieee_div_zero 0
		.amdhsa_exception_fp_ieee_overflow 0
		.amdhsa_exception_fp_ieee_underflow 0
		.amdhsa_exception_fp_ieee_inexact 0
		.amdhsa_exception_int_div_zero 0
	.end_amdhsa_kernel
	.section	.text._ZL40rocblas_trsm_block_backward_substitutionI19rocblas_complex_numIdES1_PKS1_PS1_Lb1ELb0ELb0EEv18rocblas_operation_llT0_T1_lllT2_lllib,"axG",@progbits,_ZL40rocblas_trsm_block_backward_substitutionI19rocblas_complex_numIdES1_PKS1_PS1_Lb1ELb0ELb0EEv18rocblas_operation_llT0_T1_lllT2_lllib,comdat
.Lfunc_end254:
	.size	_ZL40rocblas_trsm_block_backward_substitutionI19rocblas_complex_numIdES1_PKS1_PS1_Lb1ELb0ELb0EEv18rocblas_operation_llT0_T1_lllT2_lllib, .Lfunc_end254-_ZL40rocblas_trsm_block_backward_substitutionI19rocblas_complex_numIdES1_PKS1_PS1_Lb1ELb0ELb0EEv18rocblas_operation_llT0_T1_lllT2_lllib
                                        ; -- End function
	.set _ZL40rocblas_trsm_block_backward_substitutionI19rocblas_complex_numIdES1_PKS1_PS1_Lb1ELb0ELb0EEv18rocblas_operation_llT0_T1_lllT2_lllib.num_vgpr, 25
	.set _ZL40rocblas_trsm_block_backward_substitutionI19rocblas_complex_numIdES1_PKS1_PS1_Lb1ELb0ELb0EEv18rocblas_operation_llT0_T1_lllT2_lllib.num_agpr, 0
	.set _ZL40rocblas_trsm_block_backward_substitutionI19rocblas_complex_numIdES1_PKS1_PS1_Lb1ELb0ELb0EEv18rocblas_operation_llT0_T1_lllT2_lllib.numbered_sgpr, 44
	.set _ZL40rocblas_trsm_block_backward_substitutionI19rocblas_complex_numIdES1_PKS1_PS1_Lb1ELb0ELb0EEv18rocblas_operation_llT0_T1_lllT2_lllib.num_named_barrier, 0
	.set _ZL40rocblas_trsm_block_backward_substitutionI19rocblas_complex_numIdES1_PKS1_PS1_Lb1ELb0ELb0EEv18rocblas_operation_llT0_T1_lllT2_lllib.private_seg_size, 0
	.set _ZL40rocblas_trsm_block_backward_substitutionI19rocblas_complex_numIdES1_PKS1_PS1_Lb1ELb0ELb0EEv18rocblas_operation_llT0_T1_lllT2_lllib.uses_vcc, 1
	.set _ZL40rocblas_trsm_block_backward_substitutionI19rocblas_complex_numIdES1_PKS1_PS1_Lb1ELb0ELb0EEv18rocblas_operation_llT0_T1_lllT2_lllib.uses_flat_scratch, 0
	.set _ZL40rocblas_trsm_block_backward_substitutionI19rocblas_complex_numIdES1_PKS1_PS1_Lb1ELb0ELb0EEv18rocblas_operation_llT0_T1_lllT2_lllib.has_dyn_sized_stack, 0
	.set _ZL40rocblas_trsm_block_backward_substitutionI19rocblas_complex_numIdES1_PKS1_PS1_Lb1ELb0ELb0EEv18rocblas_operation_llT0_T1_lllT2_lllib.has_recursion, 0
	.set _ZL40rocblas_trsm_block_backward_substitutionI19rocblas_complex_numIdES1_PKS1_PS1_Lb1ELb0ELb0EEv18rocblas_operation_llT0_T1_lllT2_lllib.has_indirect_call, 0
	.section	.AMDGPU.csdata,"",@progbits
; Kernel info:
; codeLenInByte = 2492
; TotalNumSgprs: 48
; NumVgprs: 25
; ScratchSize: 0
; MemoryBound: 1
; FloatMode: 240
; IeeeMode: 1
; LDSByteSize: 0 bytes/workgroup (compile time only)
; SGPRBlocks: 5
; VGPRBlocks: 6
; NumSGPRsForWavesPerEU: 48
; NumVGPRsForWavesPerEU: 25
; Occupancy: 9
; WaveLimiterHint : 1
; COMPUTE_PGM_RSRC2:SCRATCH_EN: 0
; COMPUTE_PGM_RSRC2:USER_SGPR: 6
; COMPUTE_PGM_RSRC2:TRAP_HANDLER: 0
; COMPUTE_PGM_RSRC2:TGID_X_EN: 1
; COMPUTE_PGM_RSRC2:TGID_Y_EN: 1
; COMPUTE_PGM_RSRC2:TGID_Z_EN: 1
; COMPUTE_PGM_RSRC2:TIDIG_COMP_CNT: 1
	.section	.text._ZL39rocblas_trsm_block_forward_substitutionI19rocblas_complex_numIdES1_PKS1_PS1_Lb1ELb0ELb1EEv18rocblas_operation_llT0_T1_lllT2_lllib,"axG",@progbits,_ZL39rocblas_trsm_block_forward_substitutionI19rocblas_complex_numIdES1_PKS1_PS1_Lb1ELb0ELb1EEv18rocblas_operation_llT0_T1_lllT2_lllib,comdat
	.globl	_ZL39rocblas_trsm_block_forward_substitutionI19rocblas_complex_numIdES1_PKS1_PS1_Lb1ELb0ELb1EEv18rocblas_operation_llT0_T1_lllT2_lllib ; -- Begin function _ZL39rocblas_trsm_block_forward_substitutionI19rocblas_complex_numIdES1_PKS1_PS1_Lb1ELb0ELb1EEv18rocblas_operation_llT0_T1_lllT2_lllib
	.p2align	8
	.type	_ZL39rocblas_trsm_block_forward_substitutionI19rocblas_complex_numIdES1_PKS1_PS1_Lb1ELb0ELb1EEv18rocblas_operation_llT0_T1_lllT2_lllib,@function
_ZL39rocblas_trsm_block_forward_substitutionI19rocblas_complex_numIdES1_PKS1_PS1_Lb1ELb0ELb1EEv18rocblas_operation_llT0_T1_lllT2_lllib: ; @_ZL39rocblas_trsm_block_forward_substitutionI19rocblas_complex_numIdES1_PKS1_PS1_Lb1ELb0ELb1EEv18rocblas_operation_llT0_T1_lllT2_lllib
; %bb.0:
	s_load_dwordx16 s[12:27], s[4:5], 0x8
	s_load_dword s9, s[4:5], 0x6c
	s_load_dword s6, s[4:5], 0x7c
	v_mov_b32_e32 v2, v1
	s_waitcnt lgkmcnt(0)
	s_mul_i32 s0, s27, s8
	s_mul_hi_u32 s1, s26, s8
	s_add_i32 s1, s1, s0
	s_mul_i32 s0, s26, s8
	s_lshl_b64 s[0:1], s[0:1], 4
	s_add_u32 s2, s20, s0
	s_addc_u32 s3, s21, s1
	s_lshl_b64 s[0:1], s[22:23], 4
	s_add_u32 s10, s2, s0
	s_addc_u32 s11, s3, s1
	s_add_u32 s22, s4, 0x70
	s_addc_u32 s23, s5, 0
	s_lshr_b32 s6, s6, 16
	s_bitcmp0_b32 s9, 0
	s_mov_b64 s[20:21], 1
	s_cbranch_scc1 .LBB255_6
; %bb.1:
	s_lshl_b32 s0, s6, 4
	s_add_i32 s26, s0, 0
	v_cmp_lt_i64_e64 s[0:1], s[12:13], 1
	s_mov_b64 s[2:3], 1
	s_and_b64 vcc, exec, s[0:1]
	s_cbranch_vccnz .LBB255_7
; %bb.2:
	v_mad_u64_u32 v[3:4], s[0:1], s24, v0, 0
	v_lshl_add_u32 v5, v0, 4, s26
	s_mov_b32 s9, 0
	v_mov_b32_e32 v1, v4
	v_mad_u64_u32 v[6:7], s[0:1], s25, v0, v[1:2]
	v_mov_b32_e32 v1, 0
	v_mov_b32_e32 v7, s11
	;; [unrolled: 1-line block ×3, first 2 shown]
	v_lshlrev_b64 v[3:4], 4, v[3:4]
	v_cmp_gt_u64_e64 s[0:1], s[12:13], v[0:1]
	v_add_co_u32_e32 v1, vcc, s10, v3
	v_addc_co_u32_e32 v6, vcc, v7, v4, vcc
	s_branch .LBB255_4
.LBB255_3:                              ;   in Loop: Header=BB255_4 Depth=1
	s_or_b64 exec, exec, s[10:11]
	s_add_i32 s9, s9, s6
	s_ashr_i32 s10, s9, 31
	v_mov_b32_e32 v3, s9
	v_mov_b32_e32 v4, s10
	v_cmp_le_i64_e32 vcc, s[12:13], v[3:4]
	s_cbranch_vccnz .LBB255_7
.LBB255_4:                              ; =>This Inner Loop Header: Depth=1
	v_add_u32_e32 v3, s9, v2
	v_cmp_gt_i32_e32 vcc, v0, v3
	s_and_b64 s[20:21], s[0:1], vcc
	s_and_saveexec_b64 s[10:11], s[20:21]
	s_cbranch_execz .LBB255_3
; %bb.5:                                ;   in Loop: Header=BB255_4 Depth=1
	v_ashrrev_i32_e32 v4, 31, v3
	v_lshlrev_b64 v[7:8], 4, v[3:4]
	s_load_dword s20, s[22:23], 0xc
	v_add_co_u32_e32 v7, vcc, v1, v7
	v_addc_co_u32_e32 v8, vcc, v6, v8, vcc
	global_load_dwordx4 v[7:10], v[7:8], off
	s_waitcnt lgkmcnt(0)
	s_and_b32 s20, s20, 0xffff
	v_mul_lo_u32 v3, v3, s20
	v_lshl_add_u32 v3, v3, 4, v5
	s_waitcnt vmcnt(0)
	ds_write2_b64 v3, v[7:8], v[9:10] offset1:1
	s_branch .LBB255_3
.LBB255_6:
	s_mov_b64 s[2:3], s[24:25]
	s_branch .LBB255_8
.LBB255_7:
	s_mov_b64 s[0:1], src_shared_base
	s_load_dword s0, s[22:23], 0xc
	s_mov_b32 s27, s1
	s_mov_b64 s[10:11], s[26:27]
	s_waitcnt lgkmcnt(0)
	s_and_b32 s20, s0, 0xffff
.LBB255_8:
	s_mul_i32 s7, s7, s6
	v_add_u32_e32 v3, s7, v2
	v_mov_b32_e32 v4, 0
	v_cmp_gt_i64_e32 vcc, s[14:15], v[3:4]
	s_and_saveexec_b64 s[0:1], vcc
	s_cbranch_execz .LBB255_18
; %bb.9:
	v_mov_b32_e32 v1, v4
	v_cmp_gt_i64_e32 vcc, s[12:13], v[0:1]
	s_and_b64 exec, exec, vcc
	s_cbranch_execz .LBB255_18
; %bb.10:
	s_load_dwordx8 s[24:31], s[4:5], 0x48
	s_waitcnt lgkmcnt(0)
	s_mul_i32 s1, s31, s8
	s_mul_hi_u32 s9, s30, s8
	v_mad_u64_u32 v[4:5], s[6:7], s28, v3, 0
	s_mul_i32 s0, s30, s8
	s_add_i32 s1, s9, s1
	s_lshl_b64 s[0:1], s[0:1], 4
	s_add_u32 s6, s24, s0
	s_addc_u32 s7, s25, s1
	v_mad_u64_u32 v[5:6], s[0:1], s29, v3, v[5:6]
	s_lshl_b64 s[0:1], s[26:27], 4
	s_add_u32 s0, s6, s0
	v_lshlrev_b64 v[3:4], 4, v[4:5]
	s_addc_u32 s1, s7, s1
	v_mov_b32_e32 v5, s1
	v_add_co_u32_e32 v3, vcc, s0, v3
	v_addc_co_u32_e32 v4, vcc, v5, v4, vcc
	v_lshlrev_b32_e32 v5, 4, v0
	v_add_co_u32_e32 v7, vcc, v3, v5
	v_addc_co_u32_e32 v8, vcc, 0, v4, vcc
	global_load_dwordx4 v[9:12], v[7:8], off
	v_cmp_lt_u64_e64 s[0:1], s[12:13], 2
	s_and_b64 vcc, exec, s[0:1]
	s_waitcnt vmcnt(0)
	v_mul_f64 v[3:4], s[18:19], v[11:12]
	v_mul_f64 v[5:6], s[16:17], v[11:12]
	v_fma_f64 v[3:4], s[16:17], v[9:10], -v[3:4]
	v_fma_f64 v[5:6], s[18:19], v[9:10], v[5:6]
	s_cbranch_vccnz .LBB255_17
; %bb.11:
	v_mad_u64_u32 v[9:10], s[0:1], s2, v0, 0
	s_load_dword s2, s[4:5], 0x0
	v_lshl_add_u32 v2, v2, 4, 0
	v_mad_u64_u32 v[10:11], s[0:1], s3, v0, v[10:11]
	v_mov_b32_e32 v11, s11
	s_waitcnt lgkmcnt(0)
	s_cmpk_eq_i32 s2, 0x71
	v_lshlrev_b64 v[9:10], 4, v[9:10]
	s_cselect_b64 vcc, -1, 0
	v_add_co_u32_e64 v9, s[0:1], s10, v9
	s_add_u32 s2, s12, -1
	v_addc_co_u32_e64 v10, s[0:1], v11, v10, s[0:1]
	s_addc_u32 s3, s13, -1
	s_lshl_b32 s8, s20, 4
	s_mov_b64 s[4:5], 0
	s_branch .LBB255_13
.LBB255_12:                             ;   in Loop: Header=BB255_13 Depth=1
	s_or_b64 exec, exec, s[6:7]
	s_add_u32 s4, s4, 1
	s_addc_u32 s5, s5, 0
	v_add_co_u32_e64 v9, s[0:1], s8, v9
	s_cmp_eq_u64 s[2:3], s[4:5]
	v_addc_co_u32_e64 v10, s[0:1], 0, v10, s[0:1]
	s_cbranch_scc1 .LBB255_17
.LBB255_13:                             ; =>This Inner Loop Header: Depth=1
	v_cmp_eq_u64_e64 s[0:1], s[4:5], v[0:1]
	s_barrier
	s_and_saveexec_b64 s[6:7], s[0:1]
; %bb.14:                               ;   in Loop: Header=BB255_13 Depth=1
	ds_write2_b64 v2, v[3:4], v[5:6] offset1:1
; %bb.15:                               ;   in Loop: Header=BB255_13 Depth=1
	s_or_b64 exec, exec, s[6:7]
	v_cmp_lt_u64_e64 s[0:1], s[4:5], v[0:1]
	s_waitcnt lgkmcnt(0)
	s_barrier
	s_and_saveexec_b64 s[6:7], s[0:1]
	s_cbranch_execz .LBB255_12
; %bb.16:                               ;   in Loop: Header=BB255_13 Depth=1
	flat_load_dwordx4 v[11:14], v[9:10]
	ds_read2_b64 v[15:18], v2 offset1:1
	s_waitcnt vmcnt(0) lgkmcnt(0)
	v_xor_b32_e32 v19, 0x80000000, v14
	v_cndmask_b32_e32 v14, v14, v19, vcc
	v_mul_f64 v[19:20], v[13:14], v[17:18]
	v_mul_f64 v[17:18], v[11:12], v[17:18]
	v_fma_f64 v[11:12], v[11:12], v[15:16], -v[19:20]
	v_fma_f64 v[13:14], v[13:14], v[15:16], v[17:18]
	v_add_f64 v[3:4], v[3:4], -v[11:12]
	v_add_f64 v[5:6], v[5:6], -v[13:14]
	s_branch .LBB255_12
.LBB255_17:
	global_store_dwordx4 v[7:8], v[3:6], off
.LBB255_18:
	s_endpgm
	.section	.rodata,"a",@progbits
	.p2align	6, 0x0
	.amdhsa_kernel _ZL39rocblas_trsm_block_forward_substitutionI19rocblas_complex_numIdES1_PKS1_PS1_Lb1ELb0ELb1EEv18rocblas_operation_llT0_T1_lllT2_lllib
		.amdhsa_group_segment_fixed_size 0
		.amdhsa_private_segment_fixed_size 0
		.amdhsa_kernarg_size 368
		.amdhsa_user_sgpr_count 6
		.amdhsa_user_sgpr_private_segment_buffer 1
		.amdhsa_user_sgpr_dispatch_ptr 0
		.amdhsa_user_sgpr_queue_ptr 0
		.amdhsa_user_sgpr_kernarg_segment_ptr 1
		.amdhsa_user_sgpr_dispatch_id 0
		.amdhsa_user_sgpr_flat_scratch_init 0
		.amdhsa_user_sgpr_private_segment_size 0
		.amdhsa_uses_dynamic_stack 0
		.amdhsa_system_sgpr_private_segment_wavefront_offset 0
		.amdhsa_system_sgpr_workgroup_id_x 1
		.amdhsa_system_sgpr_workgroup_id_y 1
		.amdhsa_system_sgpr_workgroup_id_z 1
		.amdhsa_system_sgpr_workgroup_info 0
		.amdhsa_system_vgpr_workitem_id 1
		.amdhsa_next_free_vgpr 21
		.amdhsa_next_free_sgpr 32
		.amdhsa_reserve_vcc 1
		.amdhsa_reserve_flat_scratch 0
		.amdhsa_float_round_mode_32 0
		.amdhsa_float_round_mode_16_64 0
		.amdhsa_float_denorm_mode_32 3
		.amdhsa_float_denorm_mode_16_64 3
		.amdhsa_dx10_clamp 1
		.amdhsa_ieee_mode 1
		.amdhsa_fp16_overflow 0
		.amdhsa_exception_fp_ieee_invalid_op 0
		.amdhsa_exception_fp_denorm_src 0
		.amdhsa_exception_fp_ieee_div_zero 0
		.amdhsa_exception_fp_ieee_overflow 0
		.amdhsa_exception_fp_ieee_underflow 0
		.amdhsa_exception_fp_ieee_inexact 0
		.amdhsa_exception_int_div_zero 0
	.end_amdhsa_kernel
	.section	.text._ZL39rocblas_trsm_block_forward_substitutionI19rocblas_complex_numIdES1_PKS1_PS1_Lb1ELb0ELb1EEv18rocblas_operation_llT0_T1_lllT2_lllib,"axG",@progbits,_ZL39rocblas_trsm_block_forward_substitutionI19rocblas_complex_numIdES1_PKS1_PS1_Lb1ELb0ELb1EEv18rocblas_operation_llT0_T1_lllT2_lllib,comdat
.Lfunc_end255:
	.size	_ZL39rocblas_trsm_block_forward_substitutionI19rocblas_complex_numIdES1_PKS1_PS1_Lb1ELb0ELb1EEv18rocblas_operation_llT0_T1_lllT2_lllib, .Lfunc_end255-_ZL39rocblas_trsm_block_forward_substitutionI19rocblas_complex_numIdES1_PKS1_PS1_Lb1ELb0ELb1EEv18rocblas_operation_llT0_T1_lllT2_lllib
                                        ; -- End function
	.set _ZL39rocblas_trsm_block_forward_substitutionI19rocblas_complex_numIdES1_PKS1_PS1_Lb1ELb0ELb1EEv18rocblas_operation_llT0_T1_lllT2_lllib.num_vgpr, 21
	.set _ZL39rocblas_trsm_block_forward_substitutionI19rocblas_complex_numIdES1_PKS1_PS1_Lb1ELb0ELb1EEv18rocblas_operation_llT0_T1_lllT2_lllib.num_agpr, 0
	.set _ZL39rocblas_trsm_block_forward_substitutionI19rocblas_complex_numIdES1_PKS1_PS1_Lb1ELb0ELb1EEv18rocblas_operation_llT0_T1_lllT2_lllib.numbered_sgpr, 32
	.set _ZL39rocblas_trsm_block_forward_substitutionI19rocblas_complex_numIdES1_PKS1_PS1_Lb1ELb0ELb1EEv18rocblas_operation_llT0_T1_lllT2_lllib.num_named_barrier, 0
	.set _ZL39rocblas_trsm_block_forward_substitutionI19rocblas_complex_numIdES1_PKS1_PS1_Lb1ELb0ELb1EEv18rocblas_operation_llT0_T1_lllT2_lllib.private_seg_size, 0
	.set _ZL39rocblas_trsm_block_forward_substitutionI19rocblas_complex_numIdES1_PKS1_PS1_Lb1ELb0ELb1EEv18rocblas_operation_llT0_T1_lllT2_lllib.uses_vcc, 1
	.set _ZL39rocblas_trsm_block_forward_substitutionI19rocblas_complex_numIdES1_PKS1_PS1_Lb1ELb0ELb1EEv18rocblas_operation_llT0_T1_lllT2_lllib.uses_flat_scratch, 0
	.set _ZL39rocblas_trsm_block_forward_substitutionI19rocblas_complex_numIdES1_PKS1_PS1_Lb1ELb0ELb1EEv18rocblas_operation_llT0_T1_lllT2_lllib.has_dyn_sized_stack, 0
	.set _ZL39rocblas_trsm_block_forward_substitutionI19rocblas_complex_numIdES1_PKS1_PS1_Lb1ELb0ELb1EEv18rocblas_operation_llT0_T1_lllT2_lllib.has_recursion, 0
	.set _ZL39rocblas_trsm_block_forward_substitutionI19rocblas_complex_numIdES1_PKS1_PS1_Lb1ELb0ELb1EEv18rocblas_operation_llT0_T1_lllT2_lllib.has_indirect_call, 0
	.section	.AMDGPU.csdata,"",@progbits
; Kernel info:
; codeLenInByte = 844
; TotalNumSgprs: 36
; NumVgprs: 21
; ScratchSize: 0
; MemoryBound: 0
; FloatMode: 240
; IeeeMode: 1
; LDSByteSize: 0 bytes/workgroup (compile time only)
; SGPRBlocks: 4
; VGPRBlocks: 5
; NumSGPRsForWavesPerEU: 36
; NumVGPRsForWavesPerEU: 21
; Occupancy: 10
; WaveLimiterHint : 1
; COMPUTE_PGM_RSRC2:SCRATCH_EN: 0
; COMPUTE_PGM_RSRC2:USER_SGPR: 6
; COMPUTE_PGM_RSRC2:TRAP_HANDLER: 0
; COMPUTE_PGM_RSRC2:TGID_X_EN: 1
; COMPUTE_PGM_RSRC2:TGID_Y_EN: 1
; COMPUTE_PGM_RSRC2:TGID_Z_EN: 1
; COMPUTE_PGM_RSRC2:TIDIG_COMP_CNT: 1
	.section	.text._ZL40rocblas_trsm_block_backward_substitutionI19rocblas_complex_numIdES1_PKS1_PS1_Lb1ELb0ELb1EEv18rocblas_operation_llT0_T1_lllT2_lllib,"axG",@progbits,_ZL40rocblas_trsm_block_backward_substitutionI19rocblas_complex_numIdES1_PKS1_PS1_Lb1ELb0ELb1EEv18rocblas_operation_llT0_T1_lllT2_lllib,comdat
	.globl	_ZL40rocblas_trsm_block_backward_substitutionI19rocblas_complex_numIdES1_PKS1_PS1_Lb1ELb0ELb1EEv18rocblas_operation_llT0_T1_lllT2_lllib ; -- Begin function _ZL40rocblas_trsm_block_backward_substitutionI19rocblas_complex_numIdES1_PKS1_PS1_Lb1ELb0ELb1EEv18rocblas_operation_llT0_T1_lllT2_lllib
	.p2align	8
	.type	_ZL40rocblas_trsm_block_backward_substitutionI19rocblas_complex_numIdES1_PKS1_PS1_Lb1ELb0ELb1EEv18rocblas_operation_llT0_T1_lllT2_lllib,@function
_ZL40rocblas_trsm_block_backward_substitutionI19rocblas_complex_numIdES1_PKS1_PS1_Lb1ELb0ELb1EEv18rocblas_operation_llT0_T1_lllT2_lllib: ; @_ZL40rocblas_trsm_block_backward_substitutionI19rocblas_complex_numIdES1_PKS1_PS1_Lb1ELb0ELb1EEv18rocblas_operation_llT0_T1_lllT2_lllib
; %bb.0:
	s_load_dwordx16 s[12:27], s[4:5], 0x8
	s_load_dword s9, s[4:5], 0x6c
	s_load_dword s6, s[4:5], 0x7c
	v_mov_b32_e32 v2, v1
	s_waitcnt lgkmcnt(0)
	s_mul_i32 s0, s27, s8
	s_mul_hi_u32 s1, s26, s8
	s_add_i32 s1, s1, s0
	s_mul_i32 s0, s26, s8
	s_lshl_b64 s[0:1], s[0:1], 4
	s_add_u32 s2, s20, s0
	s_addc_u32 s3, s21, s1
	s_lshl_b64 s[0:1], s[22:23], 4
	s_add_u32 s2, s2, s0
	s_addc_u32 s3, s3, s1
	s_add_u32 s10, s4, 0x70
	s_addc_u32 s11, s5, 0
	s_lshr_b32 s6, s6, 16
	s_bitcmp0_b32 s9, 0
	s_cbranch_scc1 .LBB256_7
; %bb.1:
	v_cmp_lt_i64_e64 s[0:1], s[12:13], 1
	s_lshl_b32 s9, s6, 4
	s_add_i32 s20, s9, 0
	s_and_b64 vcc, exec, s[0:1]
	s_cbranch_vccnz .LBB256_6
; %bb.2:
	v_lshlrev_b32_e32 v3, 4, v0
	v_mov_b32_e32 v1, 0
	v_cmp_gt_u64_e64 s[0:1], s[12:13], v[0:1]
	v_mov_b32_e32 v4, s3
	v_add_co_u32_e32 v1, vcc, s2, v3
	v_add_u32_e32 v5, s20, v3
	v_addc_co_u32_e32 v6, vcc, 0, v4, vcc
	s_mov_b32 s9, 0
	s_branch .LBB256_4
.LBB256_3:                              ;   in Loop: Header=BB256_4 Depth=1
	s_or_b64 exec, exec, s[2:3]
	s_add_i32 s9, s9, s6
	s_ashr_i32 s2, s9, 31
	v_mov_b32_e32 v3, s9
	v_mov_b32_e32 v4, s2
	v_cmp_le_i64_e32 vcc, s[12:13], v[3:4]
	s_cbranch_vccnz .LBB256_6
.LBB256_4:                              ; =>This Inner Loop Header: Depth=1
	v_add_u32_e32 v3, s9, v2
	v_ashrrev_i32_e32 v4, 31, v3
	v_cmp_gt_i64_e32 vcc, s[12:13], v[3:4]
	v_cmp_lt_i32_e64 s[2:3], v0, v3
	s_and_b64 s[2:3], s[2:3], vcc
	s_and_b64 s[22:23], s[0:1], s[2:3]
	s_and_saveexec_b64 s[2:3], s[22:23]
	s_cbranch_execz .LBB256_3
; %bb.5:                                ;   in Loop: Header=BB256_4 Depth=1
	v_mul_lo_u32 v9, s25, v3
	v_mul_lo_u32 v4, s24, v4
	v_mad_u64_u32 v[7:8], s[22:23], s24, v3, 0
	s_load_dword s21, s[10:11], 0xc
	v_add3_u32 v8, v8, v4, v9
	v_lshlrev_b64 v[7:8], 4, v[7:8]
	v_add_co_u32_e32 v7, vcc, v1, v7
	v_addc_co_u32_e32 v8, vcc, v6, v8, vcc
	global_load_dwordx4 v[7:10], v[7:8], off
	s_waitcnt lgkmcnt(0)
	s_and_b32 s21, s21, 0xffff
	v_mul_lo_u32 v3, v3, s21
	v_lshl_add_u32 v3, v3, 4, v5
	s_waitcnt vmcnt(0)
	ds_write2_b64 v3, v[7:8], v[9:10] offset1:1
	s_branch .LBB256_3
.LBB256_6:
	s_mov_b64 s[0:1], src_shared_base
	s_load_dword s0, s[10:11], 0xc
	s_mov_b32 s21, s1
	s_mov_b32 s25, 0
	s_mov_b64 s[2:3], s[20:21]
	s_waitcnt lgkmcnt(0)
	s_and_b32 s24, s0, 0xffff
.LBB256_7:
	s_mul_i32 s7, s7, s6
	v_add_u32_e32 v3, s7, v2
	v_mov_b32_e32 v4, 0
	v_cmp_gt_i64_e32 vcc, s[14:15], v[3:4]
	s_and_saveexec_b64 s[0:1], vcc
	s_cbranch_execz .LBB256_18
; %bb.8:
	v_mov_b32_e32 v1, v4
	v_cmp_gt_i64_e32 vcc, s[12:13], v[0:1]
	s_and_b64 exec, exec, vcc
	s_cbranch_execz .LBB256_18
; %bb.9:
	s_load_dwordx8 s[36:43], s[4:5], 0x48
	v_lshlrev_b64 v[3:4], 4, v[3:4]
	s_waitcnt lgkmcnt(0)
	s_mul_i32 s1, s43, s8
	s_mul_hi_u32 s9, s42, s8
	v_mad_u64_u32 v[5:6], s[6:7], s40, v0, 0
	s_mul_i32 s0, s42, s8
	s_add_i32 s1, s9, s1
	s_lshl_b64 s[0:1], s[0:1], 4
	s_add_u32 s6, s36, s0
	s_addc_u32 s7, s37, s1
	v_mad_u64_u32 v[6:7], s[0:1], s41, v0, v[6:7]
	s_lshl_b64 s[0:1], s[38:39], 4
	s_add_u32 s0, s6, s0
	v_lshlrev_b64 v[5:6], 4, v[5:6]
	s_addc_u32 s1, s7, s1
	v_mov_b32_e32 v7, s1
	v_add_co_u32_e32 v5, vcc, s0, v5
	v_addc_co_u32_e32 v6, vcc, v7, v6, vcc
	v_add_co_u32_e32 v7, vcc, v5, v3
	v_addc_co_u32_e32 v8, vcc, v6, v4, vcc
	global_load_dwordx4 v[9:12], v[7:8], off
	v_cmp_lt_u64_e64 s[0:1], s[12:13], 2
	s_and_b64 vcc, exec, s[0:1]
	s_waitcnt vmcnt(0)
	v_mul_f64 v[3:4], s[18:19], v[11:12]
	v_mul_f64 v[5:6], s[16:17], v[11:12]
	v_fma_f64 v[3:4], s[16:17], v[9:10], -v[3:4]
	v_fma_f64 v[5:6], s[18:19], v[9:10], v[5:6]
	s_cbranch_vccnz .LBB256_17
; %bb.10:
	s_load_dword s0, s[4:5], 0x0
	v_lshlrev_b32_e32 v9, 4, v0
	v_lshl_add_u32 v2, v2, 4, 0
	s_waitcnt lgkmcnt(0)
	s_cmpk_eq_i32 s0, 0x71
	s_cselect_b64 s[0:1], -1, 0
	s_add_u32 s4, s12, -1
	s_addc_u32 s5, s13, -1
	s_mul_hi_u32 s6, s24, s4
	s_mul_i32 s8, s24, s5
	s_mul_i32 s7, s25, s4
	s_add_i32 s6, s6, s8
	s_add_i32 s7, s6, s7
	s_mul_i32 s6, s24, s4
	s_lshl_b64 s[6:7], s[6:7], 4
	s_add_u32 s2, s2, s6
	s_addc_u32 s3, s3, s7
	v_mov_b32_e32 v10, s3
	v_add_co_u32_e32 v9, vcc, s2, v9
	s_lshl_b64 s[2:3], s[24:25], 4
	s_sub_u32 s6, 0, s2
	v_addc_co_u32_e32 v10, vcc, 0, v10, vcc
	s_subb_u32 s7, 0, s3
.LBB256_11:                             ; =>This Inner Loop Header: Depth=1
	v_cmp_eq_u64_e32 vcc, s[4:5], v[0:1]
	s_barrier
	s_and_saveexec_b64 s[2:3], vcc
; %bb.12:                               ;   in Loop: Header=BB256_11 Depth=1
	ds_write2_b64 v2, v[3:4], v[5:6] offset1:1
; %bb.13:                               ;   in Loop: Header=BB256_11 Depth=1
	s_or_b64 exec, exec, s[2:3]
	v_cmp_gt_i64_e32 vcc, s[4:5], v[0:1]
	s_waitcnt lgkmcnt(0)
	s_barrier
	s_and_saveexec_b64 s[2:3], vcc
	s_cbranch_execz .LBB256_15
; %bb.14:                               ;   in Loop: Header=BB256_11 Depth=1
	flat_load_dwordx4 v[11:14], v[9:10]
	ds_read2_b64 v[15:18], v2 offset1:1
	s_waitcnt vmcnt(0) lgkmcnt(0)
	v_xor_b32_e32 v19, 0x80000000, v14
	v_cndmask_b32_e64 v14, v14, v19, s[0:1]
	v_mul_f64 v[19:20], v[13:14], v[17:18]
	v_mul_f64 v[17:18], v[11:12], v[17:18]
	v_fma_f64 v[11:12], v[11:12], v[15:16], -v[19:20]
	v_fma_f64 v[13:14], v[13:14], v[15:16], v[17:18]
	v_add_f64 v[3:4], v[3:4], -v[11:12]
	v_add_f64 v[5:6], v[5:6], -v[13:14]
.LBB256_15:                             ;   in Loop: Header=BB256_11 Depth=1
	s_or_b64 exec, exec, s[2:3]
	s_add_u32 s2, s4, -1
	s_addc_u32 s3, s5, -1
	s_add_u32 s4, s4, 1
	s_addc_u32 s5, s5, 0
	v_mov_b32_e32 v11, s7
	v_cmp_lt_u64_e64 s[4:5], s[4:5], 3
	v_add_co_u32_e32 v9, vcc, s6, v9
	v_addc_co_u32_e32 v10, vcc, v10, v11, vcc
	s_and_b64 vcc, exec, s[4:5]
	s_cbranch_vccnz .LBB256_17
; %bb.16:                               ;   in Loop: Header=BB256_11 Depth=1
	s_mov_b64 s[4:5], s[2:3]
	s_branch .LBB256_11
.LBB256_17:
	global_store_dwordx4 v[7:8], v[3:6], off
.LBB256_18:
	s_endpgm
	.section	.rodata,"a",@progbits
	.p2align	6, 0x0
	.amdhsa_kernel _ZL40rocblas_trsm_block_backward_substitutionI19rocblas_complex_numIdES1_PKS1_PS1_Lb1ELb0ELb1EEv18rocblas_operation_llT0_T1_lllT2_lllib
		.amdhsa_group_segment_fixed_size 0
		.amdhsa_private_segment_fixed_size 0
		.amdhsa_kernarg_size 368
		.amdhsa_user_sgpr_count 6
		.amdhsa_user_sgpr_private_segment_buffer 1
		.amdhsa_user_sgpr_dispatch_ptr 0
		.amdhsa_user_sgpr_queue_ptr 0
		.amdhsa_user_sgpr_kernarg_segment_ptr 1
		.amdhsa_user_sgpr_dispatch_id 0
		.amdhsa_user_sgpr_flat_scratch_init 0
		.amdhsa_user_sgpr_private_segment_size 0
		.amdhsa_uses_dynamic_stack 0
		.amdhsa_system_sgpr_private_segment_wavefront_offset 0
		.amdhsa_system_sgpr_workgroup_id_x 1
		.amdhsa_system_sgpr_workgroup_id_y 1
		.amdhsa_system_sgpr_workgroup_id_z 1
		.amdhsa_system_sgpr_workgroup_info 0
		.amdhsa_system_vgpr_workitem_id 1
		.amdhsa_next_free_vgpr 21
		.amdhsa_next_free_sgpr 44
		.amdhsa_reserve_vcc 1
		.amdhsa_reserve_flat_scratch 0
		.amdhsa_float_round_mode_32 0
		.amdhsa_float_round_mode_16_64 0
		.amdhsa_float_denorm_mode_32 3
		.amdhsa_float_denorm_mode_16_64 3
		.amdhsa_dx10_clamp 1
		.amdhsa_ieee_mode 1
		.amdhsa_fp16_overflow 0
		.amdhsa_exception_fp_ieee_invalid_op 0
		.amdhsa_exception_fp_denorm_src 0
		.amdhsa_exception_fp_ieee_div_zero 0
		.amdhsa_exception_fp_ieee_overflow 0
		.amdhsa_exception_fp_ieee_underflow 0
		.amdhsa_exception_fp_ieee_inexact 0
		.amdhsa_exception_int_div_zero 0
	.end_amdhsa_kernel
	.section	.text._ZL40rocblas_trsm_block_backward_substitutionI19rocblas_complex_numIdES1_PKS1_PS1_Lb1ELb0ELb1EEv18rocblas_operation_llT0_T1_lllT2_lllib,"axG",@progbits,_ZL40rocblas_trsm_block_backward_substitutionI19rocblas_complex_numIdES1_PKS1_PS1_Lb1ELb0ELb1EEv18rocblas_operation_llT0_T1_lllT2_lllib,comdat
.Lfunc_end256:
	.size	_ZL40rocblas_trsm_block_backward_substitutionI19rocblas_complex_numIdES1_PKS1_PS1_Lb1ELb0ELb1EEv18rocblas_operation_llT0_T1_lllT2_lllib, .Lfunc_end256-_ZL40rocblas_trsm_block_backward_substitutionI19rocblas_complex_numIdES1_PKS1_PS1_Lb1ELb0ELb1EEv18rocblas_operation_llT0_T1_lllT2_lllib
                                        ; -- End function
	.set _ZL40rocblas_trsm_block_backward_substitutionI19rocblas_complex_numIdES1_PKS1_PS1_Lb1ELb0ELb1EEv18rocblas_operation_llT0_T1_lllT2_lllib.num_vgpr, 21
	.set _ZL40rocblas_trsm_block_backward_substitutionI19rocblas_complex_numIdES1_PKS1_PS1_Lb1ELb0ELb1EEv18rocblas_operation_llT0_T1_lllT2_lllib.num_agpr, 0
	.set _ZL40rocblas_trsm_block_backward_substitutionI19rocblas_complex_numIdES1_PKS1_PS1_Lb1ELb0ELb1EEv18rocblas_operation_llT0_T1_lllT2_lllib.numbered_sgpr, 44
	.set _ZL40rocblas_trsm_block_backward_substitutionI19rocblas_complex_numIdES1_PKS1_PS1_Lb1ELb0ELb1EEv18rocblas_operation_llT0_T1_lllT2_lllib.num_named_barrier, 0
	.set _ZL40rocblas_trsm_block_backward_substitutionI19rocblas_complex_numIdES1_PKS1_PS1_Lb1ELb0ELb1EEv18rocblas_operation_llT0_T1_lllT2_lllib.private_seg_size, 0
	.set _ZL40rocblas_trsm_block_backward_substitutionI19rocblas_complex_numIdES1_PKS1_PS1_Lb1ELb0ELb1EEv18rocblas_operation_llT0_T1_lllT2_lllib.uses_vcc, 1
	.set _ZL40rocblas_trsm_block_backward_substitutionI19rocblas_complex_numIdES1_PKS1_PS1_Lb1ELb0ELb1EEv18rocblas_operation_llT0_T1_lllT2_lllib.uses_flat_scratch, 0
	.set _ZL40rocblas_trsm_block_backward_substitutionI19rocblas_complex_numIdES1_PKS1_PS1_Lb1ELb0ELb1EEv18rocblas_operation_llT0_T1_lllT2_lllib.has_dyn_sized_stack, 0
	.set _ZL40rocblas_trsm_block_backward_substitutionI19rocblas_complex_numIdES1_PKS1_PS1_Lb1ELb0ELb1EEv18rocblas_operation_llT0_T1_lllT2_lllib.has_recursion, 0
	.set _ZL40rocblas_trsm_block_backward_substitutionI19rocblas_complex_numIdES1_PKS1_PS1_Lb1ELb0ELb1EEv18rocblas_operation_llT0_T1_lllT2_lllib.has_indirect_call, 0
	.section	.AMDGPU.csdata,"",@progbits
; Kernel info:
; codeLenInByte = 868
; TotalNumSgprs: 48
; NumVgprs: 21
; ScratchSize: 0
; MemoryBound: 0
; FloatMode: 240
; IeeeMode: 1
; LDSByteSize: 0 bytes/workgroup (compile time only)
; SGPRBlocks: 5
; VGPRBlocks: 5
; NumSGPRsForWavesPerEU: 48
; NumVGPRsForWavesPerEU: 21
; Occupancy: 10
; WaveLimiterHint : 1
; COMPUTE_PGM_RSRC2:SCRATCH_EN: 0
; COMPUTE_PGM_RSRC2:USER_SGPR: 6
; COMPUTE_PGM_RSRC2:TRAP_HANDLER: 0
; COMPUTE_PGM_RSRC2:TGID_X_EN: 1
; COMPUTE_PGM_RSRC2:TGID_Y_EN: 1
; COMPUTE_PGM_RSRC2:TGID_Z_EN: 1
; COMPUTE_PGM_RSRC2:TIDIG_COMP_CNT: 1
	.section	.text._ZL26setup_batched_array_kernelILi128E19rocblas_complex_numIdEEvPT0_lPS3_,"axG",@progbits,_ZL26setup_batched_array_kernelILi128E19rocblas_complex_numIdEEvPT0_lPS3_,comdat
	.globl	_ZL26setup_batched_array_kernelILi128E19rocblas_complex_numIdEEvPT0_lPS3_ ; -- Begin function _ZL26setup_batched_array_kernelILi128E19rocblas_complex_numIdEEvPT0_lPS3_
	.p2align	8
	.type	_ZL26setup_batched_array_kernelILi128E19rocblas_complex_numIdEEvPT0_lPS3_,@function
_ZL26setup_batched_array_kernelILi128E19rocblas_complex_numIdEEvPT0_lPS3_: ; @_ZL26setup_batched_array_kernelILi128E19rocblas_complex_numIdEEvPT0_lPS3_
; %bb.0:
	s_load_dwordx4 s[0:3], s[4:5], 0x0
	s_mov_b32 s7, 0
	s_load_dwordx2 s[4:5], s[4:5], 0x10
	v_mov_b32_e32 v2, 0
	s_waitcnt lgkmcnt(0)
	s_mul_i32 s3, s3, s6
	s_mul_hi_u32 s8, s2, s6
	s_add_i32 s3, s8, s3
	s_mul_i32 s2, s2, s6
	s_lshl_b64 s[2:3], s[2:3], 4
	s_add_u32 s0, s0, s2
	s_addc_u32 s1, s1, s3
	s_lshl_b64 s[2:3], s[6:7], 3
	s_add_u32 s2, s4, s2
	v_mov_b32_e32 v0, s0
	s_addc_u32 s3, s5, s3
	v_mov_b32_e32 v1, s1
	global_store_dwordx2 v2, v[0:1], s[2:3]
	s_endpgm
	.section	.rodata,"a",@progbits
	.p2align	6, 0x0
	.amdhsa_kernel _ZL26setup_batched_array_kernelILi128E19rocblas_complex_numIdEEvPT0_lPS3_
		.amdhsa_group_segment_fixed_size 0
		.amdhsa_private_segment_fixed_size 0
		.amdhsa_kernarg_size 24
		.amdhsa_user_sgpr_count 6
		.amdhsa_user_sgpr_private_segment_buffer 1
		.amdhsa_user_sgpr_dispatch_ptr 0
		.amdhsa_user_sgpr_queue_ptr 0
		.amdhsa_user_sgpr_kernarg_segment_ptr 1
		.amdhsa_user_sgpr_dispatch_id 0
		.amdhsa_user_sgpr_flat_scratch_init 0
		.amdhsa_user_sgpr_private_segment_size 0
		.amdhsa_uses_dynamic_stack 0
		.amdhsa_system_sgpr_private_segment_wavefront_offset 0
		.amdhsa_system_sgpr_workgroup_id_x 1
		.amdhsa_system_sgpr_workgroup_id_y 0
		.amdhsa_system_sgpr_workgroup_id_z 0
		.amdhsa_system_sgpr_workgroup_info 0
		.amdhsa_system_vgpr_workitem_id 0
		.amdhsa_next_free_vgpr 3
		.amdhsa_next_free_sgpr 9
		.amdhsa_reserve_vcc 0
		.amdhsa_reserve_flat_scratch 0
		.amdhsa_float_round_mode_32 0
		.amdhsa_float_round_mode_16_64 0
		.amdhsa_float_denorm_mode_32 3
		.amdhsa_float_denorm_mode_16_64 3
		.amdhsa_dx10_clamp 1
		.amdhsa_ieee_mode 1
		.amdhsa_fp16_overflow 0
		.amdhsa_exception_fp_ieee_invalid_op 0
		.amdhsa_exception_fp_denorm_src 0
		.amdhsa_exception_fp_ieee_div_zero 0
		.amdhsa_exception_fp_ieee_overflow 0
		.amdhsa_exception_fp_ieee_underflow 0
		.amdhsa_exception_fp_ieee_inexact 0
		.amdhsa_exception_int_div_zero 0
	.end_amdhsa_kernel
	.section	.text._ZL26setup_batched_array_kernelILi128E19rocblas_complex_numIdEEvPT0_lPS3_,"axG",@progbits,_ZL26setup_batched_array_kernelILi128E19rocblas_complex_numIdEEvPT0_lPS3_,comdat
.Lfunc_end257:
	.size	_ZL26setup_batched_array_kernelILi128E19rocblas_complex_numIdEEvPT0_lPS3_, .Lfunc_end257-_ZL26setup_batched_array_kernelILi128E19rocblas_complex_numIdEEvPT0_lPS3_
                                        ; -- End function
	.set _ZL26setup_batched_array_kernelILi128E19rocblas_complex_numIdEEvPT0_lPS3_.num_vgpr, 3
	.set _ZL26setup_batched_array_kernelILi128E19rocblas_complex_numIdEEvPT0_lPS3_.num_agpr, 0
	.set _ZL26setup_batched_array_kernelILi128E19rocblas_complex_numIdEEvPT0_lPS3_.numbered_sgpr, 9
	.set _ZL26setup_batched_array_kernelILi128E19rocblas_complex_numIdEEvPT0_lPS3_.num_named_barrier, 0
	.set _ZL26setup_batched_array_kernelILi128E19rocblas_complex_numIdEEvPT0_lPS3_.private_seg_size, 0
	.set _ZL26setup_batched_array_kernelILi128E19rocblas_complex_numIdEEvPT0_lPS3_.uses_vcc, 0
	.set _ZL26setup_batched_array_kernelILi128E19rocblas_complex_numIdEEvPT0_lPS3_.uses_flat_scratch, 0
	.set _ZL26setup_batched_array_kernelILi128E19rocblas_complex_numIdEEvPT0_lPS3_.has_dyn_sized_stack, 0
	.set _ZL26setup_batched_array_kernelILi128E19rocblas_complex_numIdEEvPT0_lPS3_.has_recursion, 0
	.set _ZL26setup_batched_array_kernelILi128E19rocblas_complex_numIdEEvPT0_lPS3_.has_indirect_call, 0
	.section	.AMDGPU.csdata,"",@progbits
; Kernel info:
; codeLenInByte = 88
; TotalNumSgprs: 13
; NumVgprs: 3
; ScratchSize: 0
; MemoryBound: 0
; FloatMode: 240
; IeeeMode: 1
; LDSByteSize: 0 bytes/workgroup (compile time only)
; SGPRBlocks: 1
; VGPRBlocks: 0
; NumSGPRsForWavesPerEU: 13
; NumVGPRsForWavesPerEU: 3
; Occupancy: 10
; WaveLimiterHint : 0
; COMPUTE_PGM_RSRC2:SCRATCH_EN: 0
; COMPUTE_PGM_RSRC2:USER_SGPR: 6
; COMPUTE_PGM_RSRC2:TRAP_HANDLER: 0
; COMPUTE_PGM_RSRC2:TGID_X_EN: 1
; COMPUTE_PGM_RSRC2:TGID_Y_EN: 0
; COMPUTE_PGM_RSRC2:TGID_Z_EN: 0
; COMPUTE_PGM_RSRC2:TIDIG_COMP_CNT: 0
	.section	.text._ZL25rocblas_trtri_trsm_kernelILi128ELi16ELi8E19rocblas_complex_numIdEPKS1_PS1_Ev13rocblas_fill_17rocblas_diagonal_T3_lilT4_lli,"axG",@progbits,_ZL25rocblas_trtri_trsm_kernelILi128ELi16ELi8E19rocblas_complex_numIdEPKS1_PS1_Ev13rocblas_fill_17rocblas_diagonal_T3_lilT4_lli,comdat
	.globl	_ZL25rocblas_trtri_trsm_kernelILi128ELi16ELi8E19rocblas_complex_numIdEPKS1_PS1_Ev13rocblas_fill_17rocblas_diagonal_T3_lilT4_lli ; -- Begin function _ZL25rocblas_trtri_trsm_kernelILi128ELi16ELi8E19rocblas_complex_numIdEPKS1_PS1_Ev13rocblas_fill_17rocblas_diagonal_T3_lilT4_lli
	.p2align	8
	.type	_ZL25rocblas_trtri_trsm_kernelILi128ELi16ELi8E19rocblas_complex_numIdEPKS1_PS1_Ev13rocblas_fill_17rocblas_diagonal_T3_lilT4_lli,@function
_ZL25rocblas_trtri_trsm_kernelILi128ELi16ELi8E19rocblas_complex_numIdEPKS1_PS1_Ev13rocblas_fill_17rocblas_diagonal_T3_lilT4_lli: ; @_ZL25rocblas_trtri_trsm_kernelILi128ELi16ELi8E19rocblas_complex_numIdEPKS1_PS1_Ev13rocblas_fill_17rocblas_diagonal_T3_lilT4_lli
; %bb.0:
	v_cmp_gt_u32_e64 s[0:1], 16, v0
	v_cmp_lt_u32_e64 s[8:9], 15, v0
	v_cmp_gt_u32_e64 s[2:3], 32, v0
	v_cmp_lt_u32_e32 vcc, 31, v0
	v_mov_b32_e32 v9, v0
	s_and_saveexec_b64 s[10:11], s[8:9]
	s_cbranch_execz .LBB258_6
; %bb.1:
                                        ; implicit-def: $vgpr9
	s_and_saveexec_b64 s[8:9], vcc
	s_xor_b64 s[8:9], exec, s[8:9]
; %bb.2:
	v_subrev_u32_e32 v9, 32, v0
; %bb.3:
	s_andn2_saveexec_b64 s[8:9], s[8:9]
; %bb.4:
	v_add_u32_e32 v9, -16, v0
; %bb.5:
	s_or_b64 exec, exec, s[8:9]
.LBB258_6:
	s_or_b64 exec, exec, s[10:11]
	s_load_dword s18, s[4:5], 0x18
	s_load_dwordx2 s[16:17], s[4:5], 0x0
	s_load_dwordx4 s[36:39], s[4:5], 0x8
	s_load_dwordx8 s[8:15], s[4:5], 0x20
	s_lshl_b32 s24, s6, 1
	s_waitcnt lgkmcnt(0)
	s_ashr_i32 s19, s18, 31
	s_lshl_b64 s[20:21], s[18:19], 4
	s_add_u32 s27, s20, 16
	s_addc_u32 s28, s21, 0
	s_mul_i32 s9, s9, s7
	s_mul_hi_u32 s22, s8, s7
	s_mul_i32 s4, s28, s24
	s_mul_hi_u32 s5, s27, s24
	s_add_i32 s9, s22, s9
	s_mul_i32 s8, s8, s7
	s_add_i32 s5, s5, s4
	s_lshl_b64 s[8:9], s[8:9], 4
	s_mul_i32 s4, s27, s24
	s_add_u32 s8, s36, s8
	s_addc_u32 s9, s37, s9
	s_lshl_b64 s[4:5], s[4:5], 4
	s_add_u32 s8, s8, s4
	s_addc_u32 s9, s9, s5
	s_lshl_b64 s[4:5], s[38:39], 4
	s_add_u32 s25, s8, s4
	v_mov_b32_e32 v1, 0x3000
	s_addc_u32 s26, s9, s5
	v_cndmask_b32_e64 v3, 0, v1, s[2:3]
	v_mov_b32_e32 v4, 0x2000
	s_and_saveexec_b64 s[4:5], vcc
	s_xor_b64 s[4:5], exec, s[4:5]
	s_cbranch_execz .LBB258_13
; %bb.7:
	v_cmp_gt_u32_e32 vcc, 48, v0
	s_and_saveexec_b64 s[8:9], vcc
	s_cbranch_execz .LBB258_12
; %bb.8:
	v_mov_b32_e32 v10, 0
	v_lshlrev_b64 v[1:2], 4, v[9:10]
	s_cmpk_eq_i32 s16, 0x7a
	s_mov_b64 s[22:23], -1
	s_cbranch_scc1 .LBB258_10
; %bb.9:
	s_lshl_b64 s[22:23], s[18:19], 8
	s_add_u32 s22, s25, s22
	s_addc_u32 s23, s26, s23
	v_mov_b32_e32 v5, s23
	v_add_co_u32_e32 v18, vcc, s22, v1
	v_addc_co_u32_e32 v19, vcc, v5, v2, vcc
	v_mov_b32_e32 v5, 0xf0
	v_mad_i64_i32 v[10:11], s[22:23], s18, v5, v[18:19]
	s_sub_u32 s22, 0, s20
	s_subb_u32 s23, 0, s21
	v_mov_b32_e32 v12, s23
	v_add_co_u32_e32 v20, vcc, s22, v10
	v_addc_co_u32_e32 v21, vcc, v11, v12, vcc
	global_load_dwordx4 v[5:8], v[10:11], off
	v_mov_b32_e32 v10, s23
	v_add_co_u32_e32 v22, vcc, s22, v20
	v_addc_co_u32_e32 v23, vcc, v21, v10, vcc
	global_load_dwordx4 v[10:13], v[20:21], off
	global_load_dwordx4 v[14:17], v[22:23], off
	v_mov_b32_e32 v24, s23
	v_add_co_u32_e32 v30, vcc, s22, v22
	v_addc_co_u32_e32 v31, vcc, v23, v24, vcc
	v_mov_b32_e32 v25, s23
	v_add_co_u32_e32 v32, vcc, s22, v30
	v_addc_co_u32_e32 v33, vcc, v31, v25, vcc
	;; [unrolled: 3-line block ×7, first 2 shown]
	v_mov_b32_e32 v52, s23
	global_load_dwordx4 v[18:21], v[18:19], off
	s_nop 0
	global_load_dwordx4 v[22:25], v[30:31], off
	global_load_dwordx4 v[26:29], v[32:33], off
	v_lshlrev_b32_e32 v58, 4, v9
	global_load_dwordx4 v[30:33], v[34:35], off
	v_mov_b32_e32 v53, s23
	global_load_dwordx4 v[34:37], v[38:39], off
	v_add_u32_e32 v56, 0xf00, v58
	global_load_dwordx4 v[38:41], v[42:43], off
	v_add_u32_e32 v57, 0xe00, v58
	;; [unrolled: 2-line block ×3, first 2 shown]
	global_load_dwordx4 v[46:49], v[50:51], off
	v_add_co_u32_e32 v50, vcc, s22, v50
	v_addc_co_u32_e32 v51, vcc, v51, v52, vcc
	v_add_co_u32_e32 v54, vcc, s22, v50
	v_addc_co_u32_e32 v55, vcc, v51, v53, vcc
	v_mov_b32_e32 v60, s23
	global_load_dwordx4 v[50:53], v[50:51], off
	s_waitcnt vmcnt(11)
	ds_write2_b64 v56, v[5:6], v[7:8] offset1:1
	global_load_dwordx4 v[5:8], v[54:55], off
	s_waitcnt vmcnt(11)
	ds_write2_b64 v57, v[10:11], v[12:13] offset1:1
	s_waitcnt vmcnt(10)
	ds_write2_b64 v59, v[14:15], v[16:17] offset1:1
	v_add_co_u32_e32 v14, vcc, s22, v54
	v_addc_co_u32_e32 v15, vcc, v55, v60, vcc
	v_mov_b32_e32 v16, s23
	v_add_co_u32_e32 v54, vcc, s22, v14
	v_addc_co_u32_e32 v55, vcc, v15, v16, vcc
	global_load_dwordx4 v[10:13], v[14:15], off
	v_mov_b32_e32 v56, s23
	global_load_dwordx4 v[14:17], v[54:55], off
	v_add_co_u32_e32 v54, vcc, s22, v54
	v_addc_co_u32_e32 v55, vcc, v55, v56, vcc
	global_load_dwordx4 v[54:57], v[54:55], off
	v_add_u32_e32 v59, 0xc00, v58
	s_mov_b64 s[22:23], 0
	s_waitcnt vmcnt(11)
	ds_write2_b64 v59, v[22:23], v[24:25] offset1:1
	v_add_u32_e32 v22, 0xb00, v58
	s_waitcnt vmcnt(10)
	ds_write2_b64 v22, v[26:27], v[28:29] offset1:1
	v_add_u32_e32 v22, 0xa00, v58
	;; [unrolled: 3-line block ×4, first 2 shown]
	s_waitcnt vmcnt(7)
	ds_write2_b64 v22, v[38:39], v[40:41] offset1:1
	s_waitcnt vmcnt(6)
	ds_write2_b64 v58, v[42:43], v[44:45] offset0:224 offset1:225
	s_waitcnt vmcnt(5)
	ds_write2_b64 v58, v[46:47], v[48:49] offset0:192 offset1:193
	;; [unrolled: 2-line block ×7, first 2 shown]
	ds_write2_b64 v58, v[18:19], v[20:21] offset1:1
.LBB258_10:
	s_andn2_b64 vcc, exec, s[22:23]
	s_cbranch_vccnz .LBB258_12
; %bb.11:
	v_mov_b32_e32 v5, s26
	v_add_co_u32_e32 v1, vcc, s25, v1
	v_addc_co_u32_e32 v2, vcc, v5, v2, vcc
	global_load_dwordx4 v[5:8], v[1:2], off offset:256
	v_mov_b32_e32 v10, s21
	v_add_co_u32_e32 v1, vcc, s20, v1
	v_addc_co_u32_e32 v2, vcc, v2, v10, vcc
	global_load_dwordx4 v[10:13], v[1:2], off offset:256
	v_mov_b32_e32 v58, s21
	v_add_co_u32_e32 v1, vcc, s20, v1
	v_addc_co_u32_e32 v2, vcc, v2, v58, vcc
	v_add_co_u32_e32 v22, vcc, s20, v1
	v_addc_co_u32_e32 v23, vcc, v2, v58, vcc
	global_load_dwordx4 v[14:17], v[1:2], off offset:256
	global_load_dwordx4 v[18:21], v[22:23], off offset:256
	v_add_co_u32_e32 v1, vcc, s20, v22
	v_addc_co_u32_e32 v2, vcc, v23, v58, vcc
	v_add_co_u32_e32 v30, vcc, s20, v1
	v_addc_co_u32_e32 v31, vcc, v2, v58, vcc
	global_load_dwordx4 v[22:25], v[1:2], off offset:256
	global_load_dwordx4 v[26:29], v[30:31], off offset:256
	v_add_co_u32_e32 v1, vcc, s20, v30
	v_addc_co_u32_e32 v2, vcc, v31, v58, vcc
	global_load_dwordx4 v[30:33], v[1:2], off offset:256
	v_add_co_u32_e32 v1, vcc, s20, v1
	v_addc_co_u32_e32 v2, vcc, v2, v58, vcc
	;; [unrolled: 3-line block ×7, first 2 shown]
	global_load_dwordx4 v[54:57], v[1:2], off offset:256
	v_add_co_u32_e32 v1, vcc, s20, v1
	v_lshlrev_b32_e32 v62, 4, v9
	v_addc_co_u32_e32 v2, vcc, v2, v58, vcc
	s_waitcnt vmcnt(12)
	ds_write2_b64 v62, v[5:6], v[7:8] offset1:1
	global_load_dwordx4 v[5:8], v[1:2], off offset:256
	v_add_co_u32_e32 v1, vcc, s20, v1
	v_addc_co_u32_e32 v2, vcc, v2, v58, vcc
	s_waitcnt vmcnt(12)
	ds_write2_b64 v62, v[10:11], v[12:13] offset0:32 offset1:33
	global_load_dwordx4 v[10:13], v[1:2], off offset:256
	v_add_co_u32_e32 v1, vcc, s20, v1
	v_addc_co_u32_e32 v2, vcc, v2, v58, vcc
	global_load_dwordx4 v[58:61], v[1:2], off offset:256
	v_add_u32_e32 v1, 0x800, v62
	s_waitcnt vmcnt(13)
	ds_write2_b64 v62, v[14:15], v[16:17] offset0:64 offset1:65
	s_waitcnt vmcnt(12)
	ds_write2_b64 v62, v[18:19], v[20:21] offset0:96 offset1:97
	;; [unrolled: 2-line block ×6, first 2 shown]
	s_waitcnt vmcnt(7)
	ds_write2_b64 v1, v[38:39], v[40:41] offset1:1
	v_add_u32_e32 v1, 0x900, v62
	s_waitcnt vmcnt(6)
	ds_write2_b64 v1, v[42:43], v[44:45] offset1:1
	v_add_u32_e32 v1, 0xa00, v62
	;; [unrolled: 3-line block ×7, first 2 shown]
	s_waitcnt vmcnt(0)
	ds_write2_b64 v1, v[58:59], v[60:61] offset1:1
.LBB258_12:
	s_or_b64 exec, exec, s[8:9]
.LBB258_13:
	s_or_saveexec_b64 s[4:5], s[4:5]
	v_cndmask_b32_e64 v12, v3, v4, s[0:1]
	s_xor_b64 exec, exec, s[4:5]
	s_cbranch_execz .LBB258_80
; %bb.14:
	v_mov_b32_e32 v1, s28
	v_cndmask_b32_e64 v2, v1, 0, s[0:1]
	v_mov_b32_e32 v1, s27
	v_cndmask_b32_e64 v1, v1, 0, s[0:1]
	v_lshlrev_b64 v[7:8], 4, v[1:2]
	s_cmpk_eq_i32 s16, 0x7a
	s_mov_b64 s[8:9], -1
	s_cbranch_scc1 .LBB258_48
; %bb.15:
	v_mov_b32_e32 v10, 0
	v_mov_b32_e32 v1, s26
	v_add_co_u32_e32 v3, vcc, s25, v7
	v_addc_co_u32_e32 v4, vcc, v1, v8, vcc
	v_lshlrev_b64 v[1:2], 4, v[9:10]
	v_mov_b32_e32 v5, 0
	v_add_co_u32_e32 v10, vcc, v3, v1
	v_addc_co_u32_e32 v11, vcc, v4, v2, vcc
	v_mov_b32_e32 v1, 0
	v_mov_b32_e32 v3, 0
	v_mov_b32_e32 v2, 0
	v_mov_b32_e32 v4, 0
	v_mov_b32_e32 v6, 0
	v_cmp_gt_u32_e32 vcc, 16, v9
	s_and_saveexec_b64 s[8:9], vcc
	s_cbranch_execz .LBB258_17
; %bb.16:
	v_mov_b32_e32 v3, 0xf0
	v_mad_i64_i32 v[3:4], s[22:23], s18, v3, v[10:11]
	global_load_dwordx4 v[3:6], v[3:4], off
.LBB258_17:
	s_or_b64 exec, exec, s[8:9]
	v_sub_u32_e32 v13, 0xffffff10, v9
	v_lshl_add_u32 v13, v13, 4, v12
	s_waitcnt vmcnt(0)
	ds_write_b128 v13, v[3:6] offset:4080
	v_mov_b32_e32 v3, 0
	v_mov_b32_e32 v4, 0
	v_cmp_gt_u32_e32 vcc, 15, v9
	s_and_saveexec_b64 s[8:9], vcc
	s_cbranch_execz .LBB258_19
; %bb.18:
	v_mov_b32_e32 v1, 0xe0
	v_mad_i64_i32 v[1:2], s[22:23], s18, v1, v[10:11]
	global_load_dwordx4 v[1:4], v[1:2], off
.LBB258_19:
	s_or_b64 exec, exec, s[8:9]
	v_sub_u32_e32 v5, 0xffffff20, v9
	v_lshl_add_u32 v5, v5, 4, v12
	s_waitcnt vmcnt(0)
	ds_write_b128 v5, v[1:4] offset:4080
	v_mov_b32_e32 v1, 0
	v_mov_b32_e32 v3, 0
	v_mov_b32_e32 v5, 0
	v_mov_b32_e32 v2, 0
	v_mov_b32_e32 v4, 0
	v_mov_b32_e32 v6, 0
	v_cmp_gt_u32_e32 vcc, 14, v9
	s_and_saveexec_b64 s[8:9], vcc
	s_cbranch_execz .LBB258_21
; %bb.20:
	v_mov_b32_e32 v3, 0xd0
	v_mad_i64_i32 v[3:4], s[22:23], s18, v3, v[10:11]
	global_load_dwordx4 v[3:6], v[3:4], off
.LBB258_21:
	s_or_b64 exec, exec, s[8:9]
	v_sub_u32_e32 v13, 0xffffff30, v9
	v_lshl_add_u32 v13, v13, 4, v12
	s_waitcnt vmcnt(0)
	ds_write_b128 v13, v[3:6] offset:4080
	v_mov_b32_e32 v3, 0
	v_mov_b32_e32 v4, 0
	v_cmp_gt_u32_e32 vcc, 13, v9
	s_and_saveexec_b64 s[8:9], vcc
	s_cbranch_execz .LBB258_23
; %bb.22:
	v_mov_b32_e32 v1, 0xc0
	v_mad_i64_i32 v[1:2], s[22:23], s18, v1, v[10:11]
	global_load_dwordx4 v[1:4], v[1:2], off
.LBB258_23:
	s_or_b64 exec, exec, s[8:9]
	v_sub_u32_e32 v5, 0xffffff40, v9
	v_lshl_add_u32 v5, v5, 4, v12
	s_waitcnt vmcnt(0)
	ds_write_b128 v5, v[1:4] offset:4080
	v_mov_b32_e32 v1, 0
	;; [unrolled: 34-line block ×3, first 2 shown]
	v_mov_b32_e32 v3, 0
	v_mov_b32_e32 v5, 0
	;; [unrolled: 1-line block ×5, first 2 shown]
	v_cmp_gt_u32_e32 vcc, 10, v9
	s_and_saveexec_b64 s[8:9], vcc
	s_cbranch_execz .LBB258_29
; %bb.28:
	v_mov_b32_e32 v3, 0x90
	v_mad_i64_i32 v[3:4], s[22:23], s18, v3, v[10:11]
	global_load_dwordx4 v[3:6], v[3:4], off
.LBB258_29:
	s_or_b64 exec, exec, s[8:9]
	v_sub_u32_e32 v13, 0xffffff70, v9
	v_lshl_add_u32 v13, v13, 4, v12
	s_waitcnt vmcnt(0)
	ds_write_b128 v13, v[3:6] offset:4080
	v_mov_b32_e32 v3, 0
	v_mov_b32_e32 v4, 0
	v_cmp_gt_u32_e32 vcc, 9, v9
	s_and_saveexec_b64 s[8:9], vcc
	s_cbranch_execz .LBB258_31
; %bb.30:
	s_lshl_b64 s[22:23], s[18:19], 7
	v_mov_b32_e32 v2, s23
	v_add_co_u32_e32 v1, vcc, s22, v10
	v_addc_co_u32_e32 v2, vcc, v11, v2, vcc
	global_load_dwordx4 v[1:4], v[1:2], off
.LBB258_31:
	s_or_b64 exec, exec, s[8:9]
	v_sub_u32_e32 v5, 0xffffff80, v9
	v_lshl_add_u32 v5, v5, 4, v12
	s_waitcnt vmcnt(0)
	ds_write_b128 v5, v[1:4] offset:4080
	v_mov_b32_e32 v1, 0
	v_mov_b32_e32 v3, 0
	;; [unrolled: 1-line block ×6, first 2 shown]
	v_cmp_gt_u32_e32 vcc, 8, v9
	s_and_saveexec_b64 s[8:9], vcc
	s_cbranch_execz .LBB258_33
; %bb.32:
	v_mov_b32_e32 v3, 0x70
	v_mad_i64_i32 v[3:4], s[22:23], s18, v3, v[10:11]
	global_load_dwordx4 v[3:6], v[3:4], off
.LBB258_33:
	s_or_b64 exec, exec, s[8:9]
	v_sub_u32_e32 v13, 0xffffff90, v9
	v_lshl_add_u32 v13, v13, 4, v12
	s_waitcnt vmcnt(0)
	ds_write_b128 v13, v[3:6] offset:4080
	v_mov_b32_e32 v3, 0
	v_mov_b32_e32 v4, 0
	v_cmp_gt_u32_e32 vcc, 7, v9
	s_and_saveexec_b64 s[8:9], vcc
	s_cbranch_execz .LBB258_35
; %bb.34:
	v_mov_b32_e32 v1, 0x60
	v_mad_i64_i32 v[1:2], s[22:23], s18, v1, v[10:11]
	global_load_dwordx4 v[1:4], v[1:2], off
.LBB258_35:
	s_or_b64 exec, exec, s[8:9]
	v_sub_u32_e32 v5, 0xffffffa0, v9
	v_lshl_add_u32 v5, v5, 4, v12
	s_waitcnt vmcnt(0)
	ds_write_b128 v5, v[1:4] offset:4080
	v_mov_b32_e32 v1, 0
	v_mov_b32_e32 v3, 0
	;; [unrolled: 1-line block ×6, first 2 shown]
	v_cmp_gt_u32_e32 vcc, 6, v9
	s_and_saveexec_b64 s[8:9], vcc
	s_cbranch_execz .LBB258_37
; %bb.36:
	v_mov_b32_e32 v3, 0x50
	v_mad_i64_i32 v[3:4], s[22:23], s18, v3, v[10:11]
	global_load_dwordx4 v[3:6], v[3:4], off
.LBB258_37:
	s_or_b64 exec, exec, s[8:9]
	v_sub_u32_e32 v13, 0xffffffb0, v9
	v_lshl_add_u32 v13, v13, 4, v12
	s_waitcnt vmcnt(0)
	ds_write_b128 v13, v[3:6] offset:4080
	v_mov_b32_e32 v3, 0
	v_mov_b32_e32 v4, 0
	v_cmp_gt_u32_e32 vcc, 5, v9
	s_and_saveexec_b64 s[8:9], vcc
	s_cbranch_execz .LBB258_39
; %bb.38:
	s_lshl_b64 s[22:23], s[18:19], 6
	v_mov_b32_e32 v2, s23
	v_add_co_u32_e32 v1, vcc, s22, v10
	v_addc_co_u32_e32 v2, vcc, v11, v2, vcc
	global_load_dwordx4 v[1:4], v[1:2], off
.LBB258_39:
	s_or_b64 exec, exec, s[8:9]
	v_sub_u32_e32 v5, 0xffffffc0, v9
	v_lshl_add_u32 v5, v5, 4, v12
	s_waitcnt vmcnt(0)
	ds_write_b128 v5, v[1:4] offset:4080
	v_mov_b32_e32 v1, 0
	v_mov_b32_e32 v3, 0
	;; [unrolled: 1-line block ×6, first 2 shown]
	v_cmp_gt_u32_e32 vcc, 4, v9
	s_and_saveexec_b64 s[8:9], vcc
	s_cbranch_execz .LBB258_41
; %bb.40:
	v_mad_i64_i32 v[3:4], s[22:23], s18, 48, v[10:11]
	global_load_dwordx4 v[3:6], v[3:4], off
.LBB258_41:
	s_or_b64 exec, exec, s[8:9]
	v_sub_u32_e32 v13, 0xffffffd0, v9
	v_lshl_add_u32 v13, v13, 4, v12
	s_waitcnt vmcnt(0)
	ds_write_b128 v13, v[3:6] offset:4080
	v_mov_b32_e32 v3, 0
	v_mov_b32_e32 v4, 0
	v_cmp_gt_u32_e32 vcc, 3, v9
	s_and_saveexec_b64 s[8:9], vcc
	s_cbranch_execz .LBB258_43
; %bb.42:
	s_lshl_b64 s[22:23], s[18:19], 5
	v_mov_b32_e32 v2, s23
	v_add_co_u32_e32 v1, vcc, s22, v10
	v_addc_co_u32_e32 v2, vcc, v11, v2, vcc
	global_load_dwordx4 v[1:4], v[1:2], off
.LBB258_43:
	s_or_b64 exec, exec, s[8:9]
	v_sub_u32_e32 v5, 0xffffffe0, v9
	v_lshl_add_u32 v5, v5, 4, v12
	s_waitcnt vmcnt(0)
	ds_write_b128 v5, v[1:4] offset:4080
	v_mov_b32_e32 v1, 0
	v_mov_b32_e32 v3, 0
	;; [unrolled: 1-line block ×6, first 2 shown]
	v_cmp_gt_u32_e32 vcc, 2, v9
	s_and_saveexec_b64 s[8:9], vcc
	s_cbranch_execz .LBB258_45
; %bb.44:
	v_mov_b32_e32 v4, s21
	v_add_co_u32_e32 v3, vcc, s20, v10
	v_addc_co_u32_e32 v4, vcc, v11, v4, vcc
	global_load_dwordx4 v[3:6], v[3:4], off
.LBB258_45:
	s_or_b64 exec, exec, s[8:9]
	v_sub_u32_e32 v13, -16, v9
	v_lshl_add_u32 v13, v13, 4, v12
	s_waitcnt vmcnt(0)
	ds_write_b128 v13, v[3:6] offset:4080
	v_mov_b32_e32 v3, 0
	v_mov_b32_e32 v4, 0
	v_cmp_eq_u32_e32 vcc, 0, v9
	s_and_saveexec_b64 s[8:9], vcc
	s_cbranch_execz .LBB258_47
; %bb.46:
	global_load_dwordx4 v[1:4], v[10:11], off
.LBB258_47:
	s_or_b64 exec, exec, s[8:9]
	v_lshlrev_b32_e32 v5, 4, v9
	v_sub_u32_e32 v5, v12, v5
	s_mov_b64 s[8:9], 0
	s_waitcnt vmcnt(0)
	ds_write_b128 v5, v[1:4] offset:4080
.LBB258_48:
	s_and_b64 vcc, exec, s[8:9]
	s_cbranch_vccz .LBB258_80
; %bb.49:
	v_mov_b32_e32 v10, 0
	v_mov_b32_e32 v1, s26
	v_add_co_u32_e32 v3, vcc, s25, v7
	v_addc_co_u32_e32 v4, vcc, v1, v8, vcc
	v_lshlrev_b64 v[1:2], 4, v[9:10]
	v_mov_b32_e32 v5, 0
	v_add_co_u32_e32 v7, vcc, v3, v1
	v_addc_co_u32_e32 v8, vcc, v4, v2, vcc
	global_load_dwordx4 v[13:16], v[7:8], off
	v_mov_b32_e32 v1, 0
	v_mov_b32_e32 v3, 0
	v_lshl_add_u32 v10, v9, 4, v12
	v_mov_b32_e32 v2, 0
	v_mov_b32_e32 v4, 0
	;; [unrolled: 1-line block ×3, first 2 shown]
	v_cmp_ne_u32_e32 vcc, 0, v9
	s_waitcnt vmcnt(0)
	ds_write_b128 v10, v[13:16]
	s_and_saveexec_b64 s[8:9], vcc
	s_cbranch_execz .LBB258_51
; %bb.50:
	v_mov_b32_e32 v4, s21
	v_add_co_u32_e32 v3, vcc, s20, v7
	v_addc_co_u32_e32 v4, vcc, v8, v4, vcc
	global_load_dwordx4 v[3:6], v[3:4], off
.LBB258_51:
	s_or_b64 exec, exec, s[8:9]
	s_waitcnt vmcnt(0)
	ds_write_b128 v10, v[3:6] offset:256
	v_mov_b32_e32 v3, 0
	v_mov_b32_e32 v4, 0
	v_cmp_lt_u32_e32 vcc, 1, v9
	s_and_saveexec_b64 s[8:9], vcc
	s_cbranch_execz .LBB258_53
; %bb.52:
	s_lshl_b64 s[20:21], s[18:19], 5
	v_mov_b32_e32 v2, s21
	v_add_co_u32_e32 v1, vcc, s20, v7
	v_addc_co_u32_e32 v2, vcc, v8, v2, vcc
	global_load_dwordx4 v[1:4], v[1:2], off
.LBB258_53:
	s_or_b64 exec, exec, s[8:9]
	s_waitcnt vmcnt(0)
	ds_write_b128 v10, v[1:4] offset:512
	v_mov_b32_e32 v1, 0
	v_mov_b32_e32 v3, 0
	v_mov_b32_e32 v5, 0
	v_mov_b32_e32 v2, 0
	v_mov_b32_e32 v4, 0
	v_mov_b32_e32 v6, 0
	v_cmp_lt_u32_e32 vcc, 2, v9
	s_and_saveexec_b64 s[8:9], vcc
	s_cbranch_execz .LBB258_55
; %bb.54:
	v_mad_i64_i32 v[3:4], s[20:21], s18, 48, v[7:8]
	global_load_dwordx4 v[3:6], v[3:4], off
.LBB258_55:
	s_or_b64 exec, exec, s[8:9]
	s_waitcnt vmcnt(0)
	ds_write_b128 v10, v[3:6] offset:768
	v_mov_b32_e32 v3, 0
	v_mov_b32_e32 v4, 0
	v_cmp_lt_u32_e32 vcc, 3, v9
	s_and_saveexec_b64 s[8:9], vcc
	s_cbranch_execz .LBB258_57
; %bb.56:
	s_lshl_b64 s[20:21], s[18:19], 6
	v_mov_b32_e32 v2, s21
	v_add_co_u32_e32 v1, vcc, s20, v7
	v_addc_co_u32_e32 v2, vcc, v8, v2, vcc
	global_load_dwordx4 v[1:4], v[1:2], off
.LBB258_57:
	s_or_b64 exec, exec, s[8:9]
	s_waitcnt vmcnt(0)
	ds_write_b128 v10, v[1:4] offset:1024
	v_mov_b32_e32 v1, 0
	v_mov_b32_e32 v3, 0
	;; [unrolled: 1-line block ×6, first 2 shown]
	v_cmp_lt_u32_e32 vcc, 4, v9
	s_and_saveexec_b64 s[8:9], vcc
	s_cbranch_execz .LBB258_59
; %bb.58:
	v_mov_b32_e32 v3, 0x50
	v_mad_i64_i32 v[3:4], s[20:21], s18, v3, v[7:8]
	global_load_dwordx4 v[3:6], v[3:4], off
.LBB258_59:
	s_or_b64 exec, exec, s[8:9]
	s_waitcnt vmcnt(0)
	ds_write_b128 v10, v[3:6] offset:1280
	v_mov_b32_e32 v3, 0
	v_mov_b32_e32 v4, 0
	v_cmp_lt_u32_e32 vcc, 5, v9
	s_and_saveexec_b64 s[8:9], vcc
	s_cbranch_execz .LBB258_61
; %bb.60:
	v_mov_b32_e32 v1, 0x60
	v_mad_i64_i32 v[1:2], s[20:21], s18, v1, v[7:8]
	global_load_dwordx4 v[1:4], v[1:2], off
.LBB258_61:
	s_or_b64 exec, exec, s[8:9]
	s_waitcnt vmcnt(0)
	ds_write_b128 v10, v[1:4] offset:1536
	v_mov_b32_e32 v1, 0
	v_mov_b32_e32 v3, 0
	;; [unrolled: 1-line block ×6, first 2 shown]
	v_cmp_lt_u32_e32 vcc, 6, v9
	s_and_saveexec_b64 s[8:9], vcc
	s_cbranch_execz .LBB258_63
; %bb.62:
	v_mov_b32_e32 v3, 0x70
	v_mad_i64_i32 v[3:4], s[20:21], s18, v3, v[7:8]
	global_load_dwordx4 v[3:6], v[3:4], off
.LBB258_63:
	s_or_b64 exec, exec, s[8:9]
	s_waitcnt vmcnt(0)
	ds_write_b128 v10, v[3:6] offset:1792
	v_mov_b32_e32 v3, 0
	v_mov_b32_e32 v4, 0
	v_cmp_lt_u32_e32 vcc, 7, v9
	s_and_saveexec_b64 s[8:9], vcc
	s_cbranch_execz .LBB258_65
; %bb.64:
	s_lshl_b64 s[20:21], s[18:19], 7
	v_mov_b32_e32 v2, s21
	v_add_co_u32_e32 v1, vcc, s20, v7
	v_addc_co_u32_e32 v2, vcc, v8, v2, vcc
	global_load_dwordx4 v[1:4], v[1:2], off
.LBB258_65:
	s_or_b64 exec, exec, s[8:9]
	s_waitcnt vmcnt(0)
	ds_write_b128 v10, v[1:4] offset:2048
	v_mov_b32_e32 v1, 0
	v_mov_b32_e32 v3, 0
	v_mov_b32_e32 v5, 0
	v_mov_b32_e32 v2, 0
	v_mov_b32_e32 v4, 0
	v_mov_b32_e32 v6, 0
	v_cmp_lt_u32_e32 vcc, 8, v9
	s_and_saveexec_b64 s[8:9], vcc
	s_cbranch_execz .LBB258_67
; %bb.66:
	v_mov_b32_e32 v3, 0x90
	v_mad_i64_i32 v[3:4], s[20:21], s18, v3, v[7:8]
	global_load_dwordx4 v[3:6], v[3:4], off
.LBB258_67:
	s_or_b64 exec, exec, s[8:9]
	s_waitcnt vmcnt(0)
	ds_write_b128 v10, v[3:6] offset:2304
	v_mov_b32_e32 v3, 0
	v_mov_b32_e32 v4, 0
	v_cmp_lt_u32_e32 vcc, 9, v9
	s_and_saveexec_b64 s[8:9], vcc
	s_cbranch_execz .LBB258_69
; %bb.68:
	v_mov_b32_e32 v1, 0xa0
	v_mad_i64_i32 v[1:2], s[20:21], s18, v1, v[7:8]
	global_load_dwordx4 v[1:4], v[1:2], off
.LBB258_69:
	s_or_b64 exec, exec, s[8:9]
	s_waitcnt vmcnt(0)
	ds_write_b128 v10, v[1:4] offset:2560
	v_mov_b32_e32 v1, 0
	v_mov_b32_e32 v3, 0
	v_mov_b32_e32 v5, 0
	v_mov_b32_e32 v2, 0
	v_mov_b32_e32 v4, 0
	v_mov_b32_e32 v6, 0
	v_cmp_lt_u32_e32 vcc, 10, v9
	s_and_saveexec_b64 s[8:9], vcc
	s_cbranch_execz .LBB258_71
; %bb.70:
	v_mov_b32_e32 v3, 0xb0
	v_mad_i64_i32 v[3:4], s[20:21], s18, v3, v[7:8]
	global_load_dwordx4 v[3:6], v[3:4], off
.LBB258_71:
	s_or_b64 exec, exec, s[8:9]
	s_waitcnt vmcnt(0)
	ds_write_b128 v10, v[3:6] offset:2816
	v_mov_b32_e32 v3, 0
	v_mov_b32_e32 v4, 0
	v_cmp_lt_u32_e32 vcc, 11, v9
	s_and_saveexec_b64 s[8:9], vcc
	s_cbranch_execz .LBB258_73
; %bb.72:
	v_mov_b32_e32 v1, 0xc0
	v_mad_i64_i32 v[1:2], s[20:21], s18, v1, v[7:8]
	global_load_dwordx4 v[1:4], v[1:2], off
.LBB258_73:
	s_or_b64 exec, exec, s[8:9]
	s_waitcnt vmcnt(0)
	ds_write_b128 v10, v[1:4] offset:3072
	v_mov_b32_e32 v1, 0
	v_mov_b32_e32 v3, 0
	v_mov_b32_e32 v5, 0
	v_mov_b32_e32 v2, 0
	v_mov_b32_e32 v4, 0
	v_mov_b32_e32 v6, 0
	v_cmp_lt_u32_e32 vcc, 12, v9
	s_and_saveexec_b64 s[8:9], vcc
	s_cbranch_execz .LBB258_75
; %bb.74:
	v_mov_b32_e32 v3, 0xd0
	v_mad_i64_i32 v[3:4], s[20:21], s18, v3, v[7:8]
	global_load_dwordx4 v[3:6], v[3:4], off
.LBB258_75:
	s_or_b64 exec, exec, s[8:9]
	s_waitcnt vmcnt(0)
	ds_write_b128 v10, v[3:6] offset:3328
	v_mov_b32_e32 v3, 0
	v_mov_b32_e32 v4, 0
	v_cmp_lt_u32_e32 vcc, 13, v9
	s_and_saveexec_b64 s[8:9], vcc
	s_cbranch_execz .LBB258_77
; %bb.76:
	v_mov_b32_e32 v1, 0xe0
	v_mad_i64_i32 v[1:2], s[20:21], s18, v1, v[7:8]
	global_load_dwordx4 v[1:4], v[1:2], off
.LBB258_77:
	s_or_b64 exec, exec, s[8:9]
	s_waitcnt vmcnt(0)
	ds_write_b128 v10, v[1:4] offset:3584
	v_mov_b32_e32 v1, 0
	v_mov_b32_e32 v3, 0
	;; [unrolled: 1-line block ×4, first 2 shown]
	v_cmp_lt_u32_e32 vcc, 14, v9
	s_and_saveexec_b64 s[8:9], vcc
	s_cbranch_execz .LBB258_79
; %bb.78:
	v_mov_b32_e32 v1, 0xf0
	v_mad_i64_i32 v[1:2], s[18:19], s18, v1, v[7:8]
	global_load_dwordx4 v[1:4], v[1:2], off
.LBB258_79:
	s_or_b64 exec, exec, s[8:9]
	s_waitcnt vmcnt(0)
	ds_write_b128 v10, v[1:4] offset:3840
.LBB258_80:
	s_or_b64 exec, exec, s[4:5]
	s_waitcnt lgkmcnt(0)
	s_barrier
	s_and_saveexec_b64 s[8:9], s[2:3]
	s_cbranch_execz .LBB258_91
; %bb.81:
	v_mul_i32_i24_e32 v1, 0x110, v9
	s_cmpk_eq_i32 s17, 0x84
	v_add_u32_e32 v10, v12, v1
	s_cbranch_scc1 .LBB258_89
; %bb.82:
	ds_read_b128 v[1:4], v10
	v_mov_b32_e32 v7, 0
	v_mov_b32_e32 v5, 0
	;; [unrolled: 1-line block ×4, first 2 shown]
	s_waitcnt lgkmcnt(0)
	v_cmp_neq_f64_e32 vcc, 0, v[1:2]
	v_cmp_neq_f64_e64 s[4:5], 0, v[3:4]
	s_or_b64 s[18:19], vcc, s[4:5]
	s_and_saveexec_b64 s[4:5], s[18:19]
	s_cbranch_execz .LBB258_88
; %bb.83:
	v_cmp_ngt_f64_e64 s[18:19], |v[1:2]|, |v[3:4]|
                                        ; implicit-def: $vgpr7_vgpr8
	s_and_saveexec_b64 s[20:21], s[18:19]
	s_xor_b64 s[18:19], exec, s[20:21]
	s_cbranch_execz .LBB258_85
; %bb.84:
	v_div_scale_f64 v[5:6], s[20:21], v[3:4], v[3:4], v[1:2]
	v_rcp_f64_e32 v[7:8], v[5:6]
	v_fma_f64 v[13:14], -v[5:6], v[7:8], 1.0
	v_fma_f64 v[7:8], v[7:8], v[13:14], v[7:8]
	v_div_scale_f64 v[13:14], vcc, v[1:2], v[3:4], v[1:2]
	v_fma_f64 v[15:16], -v[5:6], v[7:8], 1.0
	v_fma_f64 v[7:8], v[7:8], v[15:16], v[7:8]
	v_mul_f64 v[15:16], v[13:14], v[7:8]
	v_fma_f64 v[5:6], -v[5:6], v[15:16], v[13:14]
	v_div_fmas_f64 v[5:6], v[5:6], v[7:8], v[15:16]
	v_div_fixup_f64 v[5:6], v[5:6], v[3:4], v[1:2]
	v_fma_f64 v[1:2], v[1:2], v[5:6], v[3:4]
	v_div_scale_f64 v[3:4], s[20:21], v[1:2], v[1:2], 1.0
	v_div_scale_f64 v[15:16], vcc, 1.0, v[1:2], 1.0
	v_rcp_f64_e32 v[7:8], v[3:4]
	v_fma_f64 v[13:14], -v[3:4], v[7:8], 1.0
	v_fma_f64 v[7:8], v[7:8], v[13:14], v[7:8]
	v_fma_f64 v[13:14], -v[3:4], v[7:8], 1.0
	v_fma_f64 v[7:8], v[7:8], v[13:14], v[7:8]
	v_mul_f64 v[13:14], v[15:16], v[7:8]
	v_fma_f64 v[3:4], -v[3:4], v[13:14], v[15:16]
	v_div_fmas_f64 v[3:4], v[3:4], v[7:8], v[13:14]
	v_div_fixup_f64 v[7:8], v[3:4], v[1:2], 1.0
                                        ; implicit-def: $vgpr1_vgpr2
	v_mul_f64 v[5:6], v[5:6], v[7:8]
	v_xor_b32_e32 v8, 0x80000000, v8
.LBB258_85:
	s_andn2_saveexec_b64 s[18:19], s[18:19]
	s_cbranch_execz .LBB258_87
; %bb.86:
	v_div_scale_f64 v[5:6], s[20:21], v[1:2], v[1:2], v[3:4]
	v_rcp_f64_e32 v[7:8], v[5:6]
	v_fma_f64 v[13:14], -v[5:6], v[7:8], 1.0
	v_fma_f64 v[7:8], v[7:8], v[13:14], v[7:8]
	v_div_scale_f64 v[13:14], vcc, v[3:4], v[1:2], v[3:4]
	v_fma_f64 v[15:16], -v[5:6], v[7:8], 1.0
	v_fma_f64 v[7:8], v[7:8], v[15:16], v[7:8]
	v_mul_f64 v[15:16], v[13:14], v[7:8]
	v_fma_f64 v[5:6], -v[5:6], v[15:16], v[13:14]
	v_div_fmas_f64 v[5:6], v[5:6], v[7:8], v[15:16]
	v_div_fixup_f64 v[7:8], v[5:6], v[1:2], v[3:4]
	v_fma_f64 v[1:2], v[3:4], v[7:8], v[1:2]
	v_div_scale_f64 v[3:4], s[20:21], v[1:2], v[1:2], 1.0
	v_div_scale_f64 v[15:16], vcc, 1.0, v[1:2], 1.0
	v_rcp_f64_e32 v[5:6], v[3:4]
	v_fma_f64 v[13:14], -v[3:4], v[5:6], 1.0
	v_fma_f64 v[5:6], v[5:6], v[13:14], v[5:6]
	v_fma_f64 v[13:14], -v[3:4], v[5:6], 1.0
	v_fma_f64 v[5:6], v[5:6], v[13:14], v[5:6]
	v_mul_f64 v[13:14], v[15:16], v[5:6]
	v_fma_f64 v[3:4], -v[3:4], v[13:14], v[15:16]
	v_div_fmas_f64 v[3:4], v[3:4], v[5:6], v[13:14]
	v_div_fixup_f64 v[5:6], v[3:4], v[1:2], 1.0
	v_mul_f64 v[7:8], v[7:8], -v[5:6]
.LBB258_87:
	s_or_b64 exec, exec, s[18:19]
.LBB258_88:
	s_or_b64 exec, exec, s[4:5]
	s_branch .LBB258_90
.LBB258_89:
	v_mov_b32_e32 v7, 0
	v_mov_b32_e32 v5, 0
	;; [unrolled: 1-line block ×4, first 2 shown]
.LBB258_90:
	ds_write_b128 v10, v[5:8]
.LBB258_91:
	s_or_b64 exec, exec, s[8:9]
	s_waitcnt lgkmcnt(0)
	s_barrier
	s_and_saveexec_b64 s[4:5], s[2:3]
	s_cbranch_execz .LBB258_103
; %bb.92:
	v_lshl_add_u32 v5, v9, 4, v12
	v_mul_i32_i24_e32 v1, 0x110, v9
	v_add_u32_e32 v6, 0x100, v5
	v_add_u32_e32 v7, 16, v12
	s_mov_b32 s17, 0
	v_add_u32_e32 v8, v12, v1
	s_branch .LBB258_94
.LBB258_93:                             ;   in Loop: Header=BB258_94 Depth=1
	v_add_u32_e32 v6, 0x100, v6
	s_cmp_eq_u32 s17, 16
	v_add_u32_e32 v7, 0x110, v7
	s_cbranch_scc1 .LBB258_103
.LBB258_94:                             ; =>This Loop Header: Depth=1
                                        ;     Child Loop BB258_99 Depth 2
	s_mov_b32 s18, s17
	v_mov_b32_e32 v1, 0
	v_mov_b32_e32 v3, 0
	;; [unrolled: 1-line block ×4, first 2 shown]
	v_cmp_lt_i32_e32 vcc, s18, v9
	s_and_saveexec_b64 s[8:9], vcc
	s_cbranch_execz .LBB258_96
; %bb.95:                               ;   in Loop: Header=BB258_94 Depth=1
	s_mul_i32 s17, s18, 0x110
	v_add_u32_e32 v1, s17, v12
	v_lshl_add_u32 v10, s18, 8, v5
	ds_read_b128 v[1:4], v1
	ds_read_b128 v[13:16], v10
	s_waitcnt lgkmcnt(0)
	v_mul_f64 v[10:11], v[3:4], v[15:16]
	v_mul_f64 v[15:16], v[1:2], v[15:16]
	v_fma_f64 v[1:2], v[1:2], v[13:14], -v[10:11]
	v_fma_f64 v[3:4], v[3:4], v[13:14], v[15:16]
	v_add_f64 v[1:2], v[1:2], 0
	v_add_f64 v[3:4], v[3:4], 0
.LBB258_96:                             ;   in Loop: Header=BB258_94 Depth=1
	s_or_b64 exec, exec, s[8:9]
	s_add_i32 s17, s18, 1
	s_cmp_gt_u32 s18, 14
	s_cbranch_scc1 .LBB258_93
; %bb.97:                               ;   in Loop: Header=BB258_94 Depth=1
	s_lshl_b32 s8, s18, 8
	v_add_u32_e32 v10, s8, v5
	v_mov_b32_e32 v11, v7
	v_mov_b32_e32 v13, v6
	s_mov_b32 s18, s17
	s_branch .LBB258_99
.LBB258_98:                             ;   in Loop: Header=BB258_99 Depth=2
	s_or_b64 exec, exec, s[8:9]
	s_add_i32 s18, s18, 1
	v_add_u32_e32 v13, 0x100, v13
	s_cmp_eq_u32 s18, 16
	v_add_u32_e32 v11, 16, v11
	s_cbranch_scc1 .LBB258_93
.LBB258_99:                             ;   Parent Loop BB258_94 Depth=1
                                        ; =>  This Inner Loop Header: Depth=2
	v_cmp_eq_u32_e32 vcc, s18, v9
	s_and_saveexec_b64 s[8:9], vcc
	s_cbranch_execz .LBB258_101
; %bb.100:                              ;   in Loop: Header=BB258_99 Depth=2
	ds_read_b128 v[14:17], v8
	v_add_f64 v[18:19], -v[1:2], 0
	s_waitcnt lgkmcnt(0)
	v_mul_f64 v[20:21], v[3:4], v[16:17]
	v_mul_f64 v[22:23], v[3:4], v[14:15]
	v_fma_f64 v[14:15], v[18:19], v[14:15], v[20:21]
	v_fma_f64 v[16:17], v[18:19], v[16:17], -v[22:23]
	ds_write_b128 v10, v[14:17]
.LBB258_101:                            ;   in Loop: Header=BB258_99 Depth=2
	s_or_b64 exec, exec, s[8:9]
	v_cmp_lt_i32_e32 vcc, s18, v9
	s_and_saveexec_b64 s[8:9], vcc
	s_cbranch_execz .LBB258_98
; %bb.102:                              ;   in Loop: Header=BB258_99 Depth=2
	ds_read_b128 v[14:17], v11
	ds_read_b128 v[18:21], v13
	s_waitcnt lgkmcnt(0)
	v_mul_f64 v[22:23], v[16:17], v[20:21]
	v_mul_f64 v[20:21], v[14:15], v[20:21]
	v_fma_f64 v[14:15], v[14:15], v[18:19], -v[22:23]
	v_fma_f64 v[16:17], v[16:17], v[18:19], v[20:21]
	v_add_f64 v[1:2], v[1:2], v[14:15]
	v_add_f64 v[3:4], v[3:4], v[16:17]
	s_branch .LBB258_98
.LBB258_103:
	s_or_b64 exec, exec, s[4:5]
	s_cmpk_lg_i32 s16, 0x7a
	s_cselect_b64 s[8:9], -1, 0
	s_movk_i32 s4, 0x100
	v_and_b32_e32 v5, 15, v0
	v_lshrrev_b32_e32 v6, 4, v0
	v_cmp_gt_u32_e64 s[4:5], s4, v0
	s_and_b64 vcc, exec, s[8:9]
	s_waitcnt lgkmcnt(0)
	s_barrier
	s_cbranch_vccz .LBB258_108
; %bb.104:
	s_mov_b64 s[18:19], 0
	s_mov_b64 s[16:17], 0
                                        ; implicit-def: $vgpr3_vgpr4
	s_and_saveexec_b64 s[20:21], s[4:5]
	s_cbranch_execz .LBB258_109
; %bb.105:
	s_movk_i32 s16, 0xf0
	v_bfi_b32 v1, v0, 0, s16
	v_mov_b32_e32 v2, 0x30f0
	v_lshl_or_b32 v10, v1, 4, v2
	v_mov_b32_e32 v3, 0
	v_mov_b32_e32 v1, 0
	v_lshlrev_b32_e32 v7, 4, v5
	v_add_u32_e32 v8, 1, v6
	v_mov_b32_e32 v4, 0
	v_mov_b32_e32 v2, 0
	s_mov_b64 s[16:17], 0
.LBB258_106:                            ; =>This Inner Loop Header: Depth=1
	ds_read_b128 v[13:16], v10
	ds_read_b128 v[17:20], v7
	v_add_u32_e32 v8, -1, v8
	v_cmp_eq_u32_e32 vcc, 0, v8
	v_add_u32_e32 v10, -16, v10
	s_or_b64 s[16:17], vcc, s[16:17]
	s_waitcnt lgkmcnt(0)
	v_mul_f64 v[21:22], v[15:16], v[19:20]
	v_mul_f64 v[19:20], v[13:14], v[19:20]
	v_add_u32_e32 v7, 0x100, v7
	v_fma_f64 v[13:14], v[13:14], v[17:18], -v[21:22]
	v_fma_f64 v[15:16], v[15:16], v[17:18], v[19:20]
	v_add_f64 v[1:2], v[1:2], v[13:14]
	v_add_f64 v[3:4], v[3:4], v[15:16]
	s_andn2_b64 exec, exec, s[16:17]
	s_cbranch_execnz .LBB258_106
; %bb.107:
	s_or_b64 exec, exec, s[16:17]
	s_mov_b64 s[16:17], exec
	s_or_b64 exec, exec, s[20:21]
	s_and_b64 vcc, exec, s[18:19]
	s_cbranch_vccnz .LBB258_110
	s_branch .LBB258_115
.LBB258_108:
	s_mov_b64 s[16:17], 0
                                        ; implicit-def: $vgpr3_vgpr4
	s_cbranch_execnz .LBB258_110
	s_branch .LBB258_115
.LBB258_109:
	s_or_b64 exec, exec, s[20:21]
	s_and_b64 vcc, exec, s[18:19]
	s_cbranch_vccz .LBB258_115
.LBB258_110:
                                        ; implicit-def: $vgpr3_vgpr4
	s_and_saveexec_b64 s[18:19], s[4:5]
	s_cbranch_execz .LBB258_114
; %bb.111:
	v_lshlrev_b32_e32 v1, 4, v0
	v_and_b32_e32 v1, 0xf00, v1
	v_lshlrev_b32_e32 v2, 4, v6
	s_movk_i32 s20, 0x2000
	v_or3_b32 v8, v1, v2, s20
	v_lshlrev_b32_e32 v1, 4, v5
	v_lshl_or_b32 v10, v6, 8, v1
	v_mov_b32_e32 v3, 0
	v_mov_b32_e32 v1, 0
	v_add_u32_e32 v7, -1, v6
	v_mov_b32_e32 v4, 0
	v_mov_b32_e32 v2, 0
	s_mov_b64 s[20:21], 0
.LBB258_112:                            ; =>This Inner Loop Header: Depth=1
	ds_read_b128 v[13:16], v8
	ds_read_b128 v[17:20], v10
	v_add_u32_e32 v7, 1, v7
	v_cmp_lt_u32_e32 vcc, 14, v7
	v_add_u32_e32 v8, 16, v8
	s_or_b64 s[20:21], vcc, s[20:21]
	s_waitcnt lgkmcnt(0)
	v_mul_f64 v[21:22], v[15:16], v[19:20]
	v_mul_f64 v[19:20], v[13:14], v[19:20]
	v_add_u32_e32 v10, 0x100, v10
	v_fma_f64 v[13:14], v[13:14], v[17:18], -v[21:22]
	v_fma_f64 v[15:16], v[15:16], v[17:18], v[19:20]
	v_add_f64 v[1:2], v[1:2], v[13:14]
	v_add_f64 v[3:4], v[3:4], v[15:16]
	s_andn2_b64 exec, exec, s[20:21]
	s_cbranch_execnz .LBB258_112
; %bb.113:
	s_or_b64 exec, exec, s[20:21]
	s_or_b64 s[16:17], s[16:17], exec
.LBB258_114:
	s_or_b64 exec, exec, s[18:19]
.LBB258_115:
	s_and_saveexec_b64 s[18:19], s[16:17]
; %bb.116:
	v_lshlrev_b32_e32 v7, 4, v0
	ds_write_b128 v7, v[1:4] offset:4096
; %bb.117:
	s_or_b64 exec, exec, s[18:19]
	s_bfe_u32 s16, s6, 0x1d0002
	s_mul_i32 s6, s15, s7
	s_mul_hi_u32 s15, s14, s7
	s_add_i32 s15, s15, s6
	s_mul_i32 s14, s14, s7
	s_and_b32 s18, s24, 6
	s_lshl_b64 s[6:7], s[14:15], 4
	s_mov_b32 s17, 0
	s_add_u32 s10, s10, s6
	s_addc_u32 s11, s11, s7
	s_lshl_b64 s[6:7], s[16:17], 18
	s_add_u32 s6, s10, s6
	s_addc_u32 s7, s11, s7
	s_mul_i32 s18, s18, 0x8100
	s_add_u32 s10, s6, s18
	s_addc_u32 s11, s7, 0
	s_lshl_b64 s[6:7], s[12:13], 4
	s_add_u32 s14, s10, s6
	s_addc_u32 s15, s11, s7
	s_and_b64 vcc, exec, s[8:9]
	s_waitcnt lgkmcnt(0)
	s_barrier
	s_cbranch_vccz .LBB258_122
; %bb.118:
	s_mov_b64 s[10:11], 0
	s_mov_b64 s[6:7], 0
                                        ; implicit-def: $vgpr3_vgpr4
                                        ; implicit-def: $vgpr1_vgpr2
	s_and_saveexec_b64 s[12:13], s[4:5]
	s_cbranch_execz .LBB258_128
; %bb.119:
	v_lshlrev_b32_e32 v2, 4, v0
	v_xor_b32_e32 v1, 15, v5
	v_and_b32_e32 v2, 0xf00, v2
	v_lshlrev_b32_e32 v3, 4, v5
	s_movk_i32 s6, 0x1000
	v_or3_b32 v8, v2, v3, s6
	v_lshlrev_b32_e32 v1, 4, v1
	v_lshlrev_b32_e32 v2, 8, v5
	v_sub_u32_e32 v1, v1, v2
	v_add_u32_e32 v10, 0x2f00, v1
	v_mov_b32_e32 v1, 0
	v_mov_b32_e32 v3, 0
	v_add_u32_e32 v7, -1, v5
	v_mov_b32_e32 v2, 0
	v_mov_b32_e32 v4, 0
	s_mov_b64 s[6:7], 0
.LBB258_120:                            ; =>This Inner Loop Header: Depth=1
	ds_read_b128 v[13:16], v10
	ds_read_b128 v[17:20], v8
	v_add_u32_e32 v7, 1, v7
	v_cmp_lt_u32_e32 vcc, 14, v7
	v_add_u32_e32 v8, 16, v8
	s_or_b64 s[6:7], vcc, s[6:7]
	s_waitcnt lgkmcnt(0)
	v_mul_f64 v[21:22], v[13:14], v[17:18]
	v_mul_f64 v[13:14], v[13:14], v[19:20]
	v_add_u32_e32 v10, 0xffffff00, v10
	v_fma_f64 v[19:20], v[15:16], v[19:20], -v[21:22]
	v_fma_f64 v[13:14], v[17:18], -v[15:16], -v[13:14]
	v_add_f64 v[1:2], v[1:2], v[19:20]
	v_add_f64 v[3:4], v[3:4], v[13:14]
	s_andn2_b64 exec, exec, s[6:7]
	s_cbranch_execnz .LBB258_120
; %bb.121:
	s_or_b64 exec, exec, s[6:7]
	s_mov_b64 s[6:7], exec
	s_or_b64 exec, exec, s[12:13]
	s_and_b64 vcc, exec, s[10:11]
	s_cbranch_vccnz .LBB258_123
	s_branch .LBB258_129
.LBB258_122:
	s_mov_b64 s[6:7], 0
                                        ; implicit-def: $vgpr3_vgpr4
                                        ; implicit-def: $vgpr1_vgpr2
	s_cbranch_execz .LBB258_129
.LBB258_123:
                                        ; implicit-def: $vgpr3_vgpr4
                                        ; implicit-def: $vgpr1_vgpr2
	s_and_saveexec_b64 s[10:11], s[4:5]
	s_cbranch_execz .LBB258_127
; %bb.124:
	v_mov_b32_e32 v1, 0x3000
	v_lshl_or_b32 v7, v5, 4, v1
	v_and_b32_e32 v0, 0xf0, v0
	v_mov_b32_e32 v1, 0x1000
	v_lshl_or_b32 v0, v0, 4, v1
	v_mov_b32_e32 v1, 0
	v_mov_b32_e32 v3, 0
	v_add_u32_e32 v8, 1, v5
	v_mov_b32_e32 v2, 0
	v_mov_b32_e32 v4, 0
	s_mov_b64 s[4:5], 0
.LBB258_125:                            ; =>This Inner Loop Header: Depth=1
	ds_read_b128 v[13:16], v7
	ds_read_b128 v[17:20], v0
	v_add_u32_e32 v8, -1, v8
	v_cmp_eq_u32_e32 vcc, 0, v8
	v_add_u32_e32 v0, 16, v0
	s_or_b64 s[4:5], vcc, s[4:5]
	s_waitcnt lgkmcnt(0)
	v_mul_f64 v[10:11], v[13:14], v[17:18]
	v_mul_f64 v[13:14], v[13:14], v[19:20]
	v_add_u32_e32 v7, 0x100, v7
	v_fma_f64 v[10:11], v[15:16], v[19:20], -v[10:11]
	v_fma_f64 v[13:14], v[17:18], -v[15:16], -v[13:14]
	v_add_f64 v[1:2], v[1:2], v[10:11]
	v_add_f64 v[3:4], v[3:4], v[13:14]
	s_andn2_b64 exec, exec, s[4:5]
	s_cbranch_execnz .LBB258_125
; %bb.126:
	s_or_b64 exec, exec, s[4:5]
	s_or_b64 s[6:7], s[6:7], exec
.LBB258_127:
	s_or_b64 exec, exec, s[10:11]
	s_mov_b64 s[10:11], 0x100
	s_mov_b64 s[4:5], 0x108
	s_and_saveexec_b64 s[12:13], s[6:7]
	s_cbranch_execnz .LBB258_130
	s_branch .LBB258_131
.LBB258_128:
	s_or_b64 exec, exec, s[12:13]
	s_and_b64 vcc, exec, s[10:11]
	s_cbranch_vccnz .LBB258_123
.LBB258_129:
	s_mov_b64 s[10:11], 0x8000
	s_mov_b64 s[4:5], 0x8008
	s_and_saveexec_b64 s[12:13], s[6:7]
	s_cbranch_execz .LBB258_131
.LBB258_130:
	v_lshlrev_b32_e32 v0, 4, v5
	v_lshl_or_b32 v0, v6, 11, v0
	v_mov_b32_e32 v5, s15
	v_add_co_u32_e32 v0, vcc, s14, v0
	v_addc_co_u32_e32 v7, vcc, 0, v5, vcc
	v_mov_b32_e32 v6, s11
	v_add_co_u32_e32 v5, vcc, s10, v0
	v_addc_co_u32_e32 v6, vcc, v7, v6, vcc
	global_store_dwordx2 v[5:6], v[1:2], off
	v_mov_b32_e32 v1, s5
	v_add_co_u32_e32 v0, vcc, s4, v0
	v_addc_co_u32_e32 v1, vcc, v7, v1, vcc
	global_store_dwordx2 v[0:1], v[3:4], off
.LBB258_131:
	s_or_b64 exec, exec, s[12:13]
	s_and_saveexec_b64 s[4:5], s[2:3]
	s_cbranch_execz .LBB258_141
; %bb.132:
	v_mov_b32_e32 v0, 0x810
	v_cndmask_b32_e64 v0, v0, 0, s[0:1]
	s_andn2_b64 vcc, exec, s[8:9]
	s_mov_b64 s[0:1], -1
	s_cbranch_vccnz .LBB258_137
; %bb.133:
	s_mov_b32 s0, 16
	v_cmp_gt_i32_e32 vcc, 16, v9
	s_and_saveexec_b64 s[2:3], vcc
	s_cbranch_execz .LBB258_136
; %bb.134:
	v_lshlrev_b32_e32 v1, 4, v0
	v_mov_b32_e32 v10, 0
	v_mov_b32_e32 v2, s15
	v_add_co_u32_e32 v3, vcc, s14, v1
	v_addc_co_u32_e32 v4, vcc, 0, v2, vcc
	v_lshlrev_b64 v[1:2], 4, v[9:10]
	s_mov_b64 s[4:5], 0
	v_add_co_u32_e32 v1, vcc, v3, v1
	v_lshlrev_b32_e32 v3, 4, v9
	v_sub_u32_e32 v3, v12, v3
	v_addc_co_u32_e32 v2, vcc, v4, v2, vcc
	v_add_u32_e32 v3, 0xf0, v3
	s_mov_b32 s1, 0
.LBB258_135:                            ; =>This Inner Loop Header: Depth=1
	ds_read2_b64 v[4:7], v3 offset1:1
	s_add_i32 s0, s0, -1
	s_lshl_b64 s[6:7], s[0:1], 11
	v_cmp_le_i32_e32 vcc, s0, v9
	v_mov_b32_e32 v8, s7
	s_or_b64 s[4:5], vcc, s[4:5]
	v_add_co_u32_e32 v10, vcc, s6, v1
	v_add_u32_e32 v3, 0x100, v3
	v_addc_co_u32_e32 v11, vcc, v2, v8, vcc
	s_waitcnt lgkmcnt(0)
	global_store_dwordx4 v[10:11], v[4:7], off
	s_andn2_b64 exec, exec, s[4:5]
	s_cbranch_execnz .LBB258_135
.LBB258_136:
	s_or_b64 exec, exec, s[2:3]
	s_mov_b64 s[0:1], 0
.LBB258_137:
	s_andn2_b64 vcc, exec, s[0:1]
	s_cbranch_vccnz .LBB258_141
; %bb.138:
	v_cmp_lt_i32_e32 vcc, -1, v9
	s_and_b64 exec, exec, vcc
	s_cbranch_execz .LBB258_141
; %bb.139:
	v_lshlrev_b32_e32 v0, 4, v0
	v_mov_b32_e32 v10, 0
	v_mov_b32_e32 v1, s15
	v_add_co_u32_e32 v3, vcc, s14, v0
	v_addc_co_u32_e32 v4, vcc, 0, v1, vcc
	v_lshlrev_b64 v[0:1], 4, v[9:10]
	v_lshl_add_u32 v2, v9, 4, v12
	v_add_co_u32_e32 v0, vcc, v3, v0
	v_addc_co_u32_e32 v1, vcc, v4, v1, vcc
	v_add_u32_e32 v3, 1, v9
	s_mov_b64 s[0:1], 0
.LBB258_140:                            ; =>This Inner Loop Header: Depth=1
	ds_read2_b64 v[4:7], v2 offset1:1
	v_add_u32_e32 v3, -1, v3
	v_cmp_eq_u32_e32 vcc, 0, v3
	s_or_b64 s[0:1], vcc, s[0:1]
	v_add_u32_e32 v2, 0x100, v2
	s_waitcnt lgkmcnt(0)
	global_store_dwordx4 v[0:1], v[4:7], off
	v_add_co_u32_e32 v0, vcc, 0x800, v0
	v_addc_co_u32_e32 v1, vcc, 0, v1, vcc
	s_andn2_b64 exec, exec, s[0:1]
	s_cbranch_execnz .LBB258_140
.LBB258_141:
	s_endpgm
	.section	.rodata,"a",@progbits
	.p2align	6, 0x0
	.amdhsa_kernel _ZL25rocblas_trtri_trsm_kernelILi128ELi16ELi8E19rocblas_complex_numIdEPKS1_PS1_Ev13rocblas_fill_17rocblas_diagonal_T3_lilT4_lli
		.amdhsa_group_segment_fixed_size 16384
		.amdhsa_private_segment_fixed_size 0
		.amdhsa_kernarg_size 68
		.amdhsa_user_sgpr_count 6
		.amdhsa_user_sgpr_private_segment_buffer 1
		.amdhsa_user_sgpr_dispatch_ptr 0
		.amdhsa_user_sgpr_queue_ptr 0
		.amdhsa_user_sgpr_kernarg_segment_ptr 1
		.amdhsa_user_sgpr_dispatch_id 0
		.amdhsa_user_sgpr_flat_scratch_init 0
		.amdhsa_user_sgpr_private_segment_size 0
		.amdhsa_uses_dynamic_stack 0
		.amdhsa_system_sgpr_private_segment_wavefront_offset 0
		.amdhsa_system_sgpr_workgroup_id_x 1
		.amdhsa_system_sgpr_workgroup_id_y 0
		.amdhsa_system_sgpr_workgroup_id_z 1
		.amdhsa_system_sgpr_workgroup_info 0
		.amdhsa_system_vgpr_workitem_id 0
		.amdhsa_next_free_vgpr 63
		.amdhsa_next_free_sgpr 98
		.amdhsa_reserve_vcc 1
		.amdhsa_reserve_flat_scratch 0
		.amdhsa_float_round_mode_32 0
		.amdhsa_float_round_mode_16_64 0
		.amdhsa_float_denorm_mode_32 3
		.amdhsa_float_denorm_mode_16_64 3
		.amdhsa_dx10_clamp 1
		.amdhsa_ieee_mode 1
		.amdhsa_fp16_overflow 0
		.amdhsa_exception_fp_ieee_invalid_op 0
		.amdhsa_exception_fp_denorm_src 0
		.amdhsa_exception_fp_ieee_div_zero 0
		.amdhsa_exception_fp_ieee_overflow 0
		.amdhsa_exception_fp_ieee_underflow 0
		.amdhsa_exception_fp_ieee_inexact 0
		.amdhsa_exception_int_div_zero 0
	.end_amdhsa_kernel
	.section	.text._ZL25rocblas_trtri_trsm_kernelILi128ELi16ELi8E19rocblas_complex_numIdEPKS1_PS1_Ev13rocblas_fill_17rocblas_diagonal_T3_lilT4_lli,"axG",@progbits,_ZL25rocblas_trtri_trsm_kernelILi128ELi16ELi8E19rocblas_complex_numIdEPKS1_PS1_Ev13rocblas_fill_17rocblas_diagonal_T3_lilT4_lli,comdat
.Lfunc_end258:
	.size	_ZL25rocblas_trtri_trsm_kernelILi128ELi16ELi8E19rocblas_complex_numIdEPKS1_PS1_Ev13rocblas_fill_17rocblas_diagonal_T3_lilT4_lli, .Lfunc_end258-_ZL25rocblas_trtri_trsm_kernelILi128ELi16ELi8E19rocblas_complex_numIdEPKS1_PS1_Ev13rocblas_fill_17rocblas_diagonal_T3_lilT4_lli
                                        ; -- End function
	.set _ZL25rocblas_trtri_trsm_kernelILi128ELi16ELi8E19rocblas_complex_numIdEPKS1_PS1_Ev13rocblas_fill_17rocblas_diagonal_T3_lilT4_lli.num_vgpr, 63
	.set _ZL25rocblas_trtri_trsm_kernelILi128ELi16ELi8E19rocblas_complex_numIdEPKS1_PS1_Ev13rocblas_fill_17rocblas_diagonal_T3_lilT4_lli.num_agpr, 0
	.set _ZL25rocblas_trtri_trsm_kernelILi128ELi16ELi8E19rocblas_complex_numIdEPKS1_PS1_Ev13rocblas_fill_17rocblas_diagonal_T3_lilT4_lli.numbered_sgpr, 40
	.set _ZL25rocblas_trtri_trsm_kernelILi128ELi16ELi8E19rocblas_complex_numIdEPKS1_PS1_Ev13rocblas_fill_17rocblas_diagonal_T3_lilT4_lli.num_named_barrier, 0
	.set _ZL25rocblas_trtri_trsm_kernelILi128ELi16ELi8E19rocblas_complex_numIdEPKS1_PS1_Ev13rocblas_fill_17rocblas_diagonal_T3_lilT4_lli.private_seg_size, 0
	.set _ZL25rocblas_trtri_trsm_kernelILi128ELi16ELi8E19rocblas_complex_numIdEPKS1_PS1_Ev13rocblas_fill_17rocblas_diagonal_T3_lilT4_lli.uses_vcc, 1
	.set _ZL25rocblas_trtri_trsm_kernelILi128ELi16ELi8E19rocblas_complex_numIdEPKS1_PS1_Ev13rocblas_fill_17rocblas_diagonal_T3_lilT4_lli.uses_flat_scratch, 0
	.set _ZL25rocblas_trtri_trsm_kernelILi128ELi16ELi8E19rocblas_complex_numIdEPKS1_PS1_Ev13rocblas_fill_17rocblas_diagonal_T3_lilT4_lli.has_dyn_sized_stack, 0
	.set _ZL25rocblas_trtri_trsm_kernelILi128ELi16ELi8E19rocblas_complex_numIdEPKS1_PS1_Ev13rocblas_fill_17rocblas_diagonal_T3_lilT4_lli.has_recursion, 0
	.set _ZL25rocblas_trtri_trsm_kernelILi128ELi16ELi8E19rocblas_complex_numIdEPKS1_PS1_Ev13rocblas_fill_17rocblas_diagonal_T3_lilT4_lli.has_indirect_call, 0
	.section	.AMDGPU.csdata,"",@progbits
; Kernel info:
; codeLenInByte = 6296
; TotalNumSgprs: 44
; NumVgprs: 63
; ScratchSize: 0
; MemoryBound: 1
; FloatMode: 240
; IeeeMode: 1
; LDSByteSize: 16384 bytes/workgroup (compile time only)
; SGPRBlocks: 12
; VGPRBlocks: 15
; NumSGPRsForWavesPerEU: 102
; NumVGPRsForWavesPerEU: 63
; Occupancy: 4
; WaveLimiterHint : 0
; COMPUTE_PGM_RSRC2:SCRATCH_EN: 0
; COMPUTE_PGM_RSRC2:USER_SGPR: 6
; COMPUTE_PGM_RSRC2:TRAP_HANDLER: 0
; COMPUTE_PGM_RSRC2:TGID_X_EN: 1
; COMPUTE_PGM_RSRC2:TGID_Y_EN: 0
; COMPUTE_PGM_RSRC2:TGID_Z_EN: 1
; COMPUTE_PGM_RSRC2:TIDIG_COMP_CNT: 0
	.section	.text._ZL18rocblas_trtri_fillILi128E19rocblas_complex_numIdEPS1_EvP15_rocblas_handle13rocblas_fill_ililT1_llii,"axG",@progbits,_ZL18rocblas_trtri_fillILi128E19rocblas_complex_numIdEPS1_EvP15_rocblas_handle13rocblas_fill_ililT1_llii,comdat
	.globl	_ZL18rocblas_trtri_fillILi128E19rocblas_complex_numIdEPS1_EvP15_rocblas_handle13rocblas_fill_ililT1_llii ; -- Begin function _ZL18rocblas_trtri_fillILi128E19rocblas_complex_numIdEPS1_EvP15_rocblas_handle13rocblas_fill_ililT1_llii
	.p2align	8
	.type	_ZL18rocblas_trtri_fillILi128E19rocblas_complex_numIdEPS1_EvP15_rocblas_handle13rocblas_fill_ililT1_llii,@function
_ZL18rocblas_trtri_fillILi128E19rocblas_complex_numIdEPS1_EvP15_rocblas_handle13rocblas_fill_ililT1_llii: ; @_ZL18rocblas_trtri_fillILi128E19rocblas_complex_numIdEPS1_EvP15_rocblas_handle13rocblas_fill_ililT1_llii
; %bb.0:
	s_load_dword s1, s[4:5], 0x40
	s_load_dwordx2 s[2:3], s[4:5], 0x10
	s_mov_b32 s0, s6
	s_waitcnt lgkmcnt(0)
	s_ashr_i32 s6, s1, 31
	s_mul_hi_u32 s8, s2, s1
	s_mul_i32 s6, s2, s6
	s_add_i32 s6, s8, s6
	s_mul_i32 s8, s3, s1
	s_mul_i32 s16, s2, s1
	s_mov_b32 s1, 0
	s_lshl_b64 s[0:1], s[0:1], 7
	s_add_i32 s17, s6, s8
	v_or_b32_e32 v0, s0, v0
	v_mov_b32_e32 v1, s1
	v_cmp_gt_u64_e32 vcc, s[16:17], v[0:1]
	s_and_saveexec_b64 s[0:1], vcc
	s_cbranch_execz .LBB259_16
; %bb.1:
	s_load_dword s18, s[4:5], 0x18
	s_load_dwordx8 s[8:15], s[4:5], 0x20
	s_load_dwordx2 s[20:21], s[4:5], 0x8
	v_cvt_f32_u32_e32 v5, s2
	v_cvt_f32_u32_e32 v6, s3
	s_waitcnt lgkmcnt(0)
	s_ashr_i32 s19, s18, 31
	s_mul_i32 s0, s15, s7
	s_mul_hi_u32 s1, s14, s7
	v_mac_f32_e32 v5, 0x4f800000, v6
	s_add_i32 s1, s1, s0
	s_mul_i32 s0, s14, s7
	v_rcp_f32_e32 v5, v5
	s_lshl_b64 s[0:1], s[0:1], 4
	s_add_u32 s6, s10, s0
	s_addc_u32 s7, s11, s1
	s_lshl_b64 s[0:1], s[12:13], 4
	s_add_u32 s22, s6, s0
	v_mul_f32_e32 v5, 0x5f7ffffc, v5
	s_addc_u32 s23, s7, s1
	s_add_i32 s0, s21, -2
	s_load_dword s6, s[4:5], 0x48
	s_load_dword s7, s[4:5], 0x54
	v_mul_f32_e32 v6, 0x2f800000, v5
	v_cvt_f64_i32_e32 v[2:3], s0
	s_add_i32 s0, s21, -1
	v_trunc_f32_e32 v6, v6
	s_mul_hi_i32 s1, s0, s21
	s_mul_i32 s0, s0, s21
	v_mac_f32_e32 v5, 0xcf800000, v6
	s_ashr_i32 s24, s21, 31
	s_lshl_b64 s[4:5], s[0:1], 2
	v_cvt_u32_f32_e32 v13, v5
	v_cvt_u32_f32_e32 v14, v6
	s_mov_b32 s25, s21
	s_add_u32 s21, s4, -7
	s_addc_u32 s26, s5, -1
	s_lshr_b64 s[4:5], s[0:1], 1
	s_waitcnt lgkmcnt(0)
	s_and_b32 s0, s7, 0xffff
	s_mov_b32 s10, 0
	s_mov_b32 s12, 0
	s_mul_hi_u32 s27, s0, s6
	s_mul_i32 s28, s0, s6
	s_mov_b64 s[6:7], 0
	v_mov_b32_e32 v4, 0
	s_brev_b32 s11, 8
	v_mov_b32_e32 v12, 0x260
	s_movk_i32 s29, 0xffe0
	s_mov_b32 s13, 0xc1f00000
	v_mov_b32_e32 v15, 0x100
	v_mov_b32_e32 v16, 0xffffff80
	s_branch .LBB259_3
.LBB259_2:                              ;   in Loop: Header=BB259_3 Depth=1
	v_mov_b32_e32 v5, s27
	v_add_co_u32_e32 v0, vcc, s28, v0
	v_addc_co_u32_e32 v1, vcc, v1, v5, vcc
	v_cmp_le_u64_e32 vcc, s[16:17], v[0:1]
	s_or_b64 s[6:7], vcc, s[6:7]
	s_andn2_b64 exec, exec, s[6:7]
	s_cbranch_execz .LBB259_16
.LBB259_3:                              ; =>This Inner Loop Header: Depth=1
	v_or_b32_e32 v5, s3, v1
	v_cmp_ne_u64_e32 vcc, 0, v[4:5]
                                        ; implicit-def: $vgpr6_vgpr7
	s_and_saveexec_b64 s[0:1], vcc
	s_xor_b64 s[14:15], exec, s[0:1]
	s_cbranch_execz .LBB259_5
; %bb.4:                                ;   in Loop: Header=BB259_3 Depth=1
	s_sub_u32 s30, 0, s2
	v_readfirstlane_b32 s0, v13
	v_readfirstlane_b32 s34, v14
	s_subb_u32 s31, 0, s3
	s_mul_hi_u32 s33, s30, s0
	s_mul_i32 s35, s30, s34
	s_mul_i32 s1, s31, s0
	s_add_i32 s33, s33, s35
	s_add_i32 s33, s33, s1
	s_mul_i32 s36, s30, s0
	s_mul_i32 s35, s0, s33
	s_mul_hi_u32 s37, s0, s36
	s_mul_hi_u32 s1, s0, s33
	s_add_u32 s35, s37, s35
	s_addc_u32 s1, 0, s1
	s_mul_hi_u32 s38, s34, s36
	s_mul_i32 s36, s34, s36
	s_add_u32 s35, s35, s36
	s_mul_hi_u32 s37, s34, s33
	s_addc_u32 s1, s1, s38
	s_addc_u32 s35, s37, 0
	s_mul_i32 s33, s34, s33
	s_add_u32 s1, s1, s33
	s_addc_u32 s33, 0, s35
	s_add_u32 s35, s0, s1
	s_cselect_b64 s[0:1], -1, 0
	s_cmp_lg_u64 s[0:1], 0
	s_addc_u32 s33, s34, s33
	s_mul_i32 s0, s30, s33
	s_mul_hi_u32 s1, s30, s35
	s_add_i32 s0, s1, s0
	s_mul_i32 s31, s31, s35
	s_add_i32 s0, s0, s31
	s_mul_i32 s30, s30, s35
	s_mul_hi_u32 s31, s33, s30
	s_mul_i32 s34, s33, s30
	s_mul_i32 s37, s35, s0
	s_mul_hi_u32 s30, s35, s30
	s_mul_hi_u32 s36, s35, s0
	s_add_u32 s30, s30, s37
	s_addc_u32 s36, 0, s36
	s_add_u32 s30, s30, s34
	s_mul_hi_u32 s1, s33, s0
	s_addc_u32 s30, s36, s31
	s_addc_u32 s1, s1, 0
	s_mul_i32 s0, s33, s0
	s_add_u32 s0, s30, s0
	s_addc_u32 s30, 0, s1
	s_add_u32 s31, s35, s0
	s_cselect_b64 s[0:1], -1, 0
	s_cmp_lg_u64 s[0:1], 0
	s_addc_u32 s30, s33, s30
	v_mad_u64_u32 v[5:6], s[0:1], v0, s30, 0
	v_mul_hi_u32 v7, v0, s31
	v_add_co_u32_e32 v9, vcc, v7, v5
	v_addc_co_u32_e32 v10, vcc, 0, v6, vcc
	v_mad_u64_u32 v[5:6], s[0:1], v1, s31, 0
	v_mad_u64_u32 v[7:8], s[0:1], v1, s30, 0
	v_add_co_u32_e32 v5, vcc, v9, v5
	v_addc_co_u32_e32 v5, vcc, v10, v6, vcc
	v_addc_co_u32_e32 v6, vcc, 0, v8, vcc
	v_add_co_u32_e32 v8, vcc, v5, v7
	v_addc_co_u32_e32 v7, vcc, 0, v6, vcc
	v_mul_lo_u32 v9, s3, v8
	v_mul_lo_u32 v10, s2, v7
	v_mad_u64_u32 v[5:6], s[0:1], s2, v8, 0
	v_add3_u32 v6, v6, v10, v9
	v_sub_u32_e32 v9, v1, v6
	v_mov_b32_e32 v10, s3
	v_sub_co_u32_e32 v5, vcc, v0, v5
	v_subb_co_u32_e64 v9, s[0:1], v9, v10, vcc
	v_subrev_co_u32_e64 v10, s[0:1], s2, v5
	v_subbrev_co_u32_e64 v9, s[0:1], 0, v9, s[0:1]
	v_cmp_le_u32_e64 s[0:1], s3, v9
	v_cndmask_b32_e64 v11, 0, -1, s[0:1]
	v_cmp_le_u32_e64 s[0:1], s2, v10
	v_cndmask_b32_e64 v10, 0, -1, s[0:1]
	v_cmp_eq_u32_e64 s[0:1], s3, v9
	v_cndmask_b32_e64 v9, v11, v10, s[0:1]
	v_add_co_u32_e64 v10, s[0:1], 2, v8
	v_addc_co_u32_e64 v11, s[0:1], 0, v7, s[0:1]
	v_add_co_u32_e64 v17, s[0:1], 1, v8
	v_addc_co_u32_e64 v18, s[0:1], 0, v7, s[0:1]
	v_subb_co_u32_e32 v6, vcc, v1, v6, vcc
	v_cmp_ne_u32_e64 s[0:1], 0, v9
	v_cmp_le_u32_e32 vcc, s3, v6
	v_cndmask_b32_e64 v9, v18, v11, s[0:1]
	v_cndmask_b32_e64 v11, 0, -1, vcc
	v_cmp_le_u32_e32 vcc, s2, v5
	v_cndmask_b32_e64 v5, 0, -1, vcc
	v_cmp_eq_u32_e32 vcc, s3, v6
	v_cndmask_b32_e32 v5, v11, v5, vcc
	v_cmp_ne_u32_e32 vcc, 0, v5
	v_cndmask_b32_e64 v5, v17, v10, s[0:1]
	v_cndmask_b32_e32 v7, v7, v9, vcc
	v_cndmask_b32_e32 v6, v8, v5, vcc
.LBB259_5:                              ;   in Loop: Header=BB259_3 Depth=1
	s_andn2_saveexec_b64 s[0:1], s[14:15]
	s_cbranch_execz .LBB259_7
; %bb.6:                                ;   in Loop: Header=BB259_3 Depth=1
	v_cvt_f32_u32_e32 v5, s2
	s_sub_i32 s14, 0, s2
	v_rcp_iflag_f32_e32 v5, v5
	v_mul_f32_e32 v5, 0x4f7ffffe, v5
	v_cvt_u32_f32_e32 v5, v5
	v_mul_lo_u32 v6, s14, v5
	v_mul_hi_u32 v6, v5, v6
	v_add_u32_e32 v5, v5, v6
	v_mul_hi_u32 v5, v0, v5
	v_mul_lo_u32 v6, v5, s2
	v_add_u32_e32 v7, 1, v5
	v_sub_u32_e32 v6, v0, v6
	v_subrev_u32_e32 v8, s2, v6
	v_cmp_le_u32_e32 vcc, s2, v6
	v_cndmask_b32_e32 v6, v6, v8, vcc
	v_cndmask_b32_e32 v5, v5, v7, vcc
	v_add_u32_e32 v7, 1, v5
	v_cmp_le_u32_e32 vcc, s2, v6
	v_cndmask_b32_e32 v6, v5, v7, vcc
	v_mov_b32_e32 v7, v4
.LBB259_7:                              ;   in Loop: Header=BB259_3 Depth=1
	s_or_b64 exec, exec, s[0:1]
	v_mul_lo_u32 v5, v7, s2
	v_mul_lo_u32 v10, v6, s3
	v_mad_u64_u32 v[8:9], s[0:1], v6, s2, 0
	s_cmpk_lt_i32 s20, 0x7a
	v_add3_u32 v5, v9, v10, v5
	v_sub_co_u32_e32 v8, vcc, v0, v8
	v_subb_co_u32_e32 v9, vcc, v1, v5, vcc
	s_cbranch_scc1 .LBB259_10
; %bb.8:                                ;   in Loop: Header=BB259_3 Depth=1
	s_mov_b64 s[0:1], 0
	s_cmpk_eq_i32 s20, 0x7a
	s_mov_b64 s[14:15], 0
                                        ; implicit-def: $vgpr10_vgpr11
	s_cbranch_scc0 .LBB259_11
; %bb.9:                                ;   in Loop: Header=BB259_3 Depth=1
	v_lshlrev_b64 v[10:11], 3, v[8:9]
	v_sub_co_u32_e32 v5, vcc, s21, v10
	v_mov_b32_e32 v10, s26
	v_subb_co_u32_e32 v10, vcc, v10, v11, vcc
	v_cvt_f64_u32_e32 v[10:11], v10
	v_cvt_f64_u32_e32 v[17:18], v5
	v_ldexp_f64 v[10:11], v[10:11], 32
	v_add_f64 v[10:11], v[10:11], v[17:18]
	v_cmp_gt_f64_e32 vcc, s[10:11], v[10:11]
	v_cndmask_b32_e32 v5, 0, v15, vcc
	v_ldexp_f64 v[10:11], v[10:11], v5
	v_cndmask_b32_e32 v5, 0, v16, vcc
	v_rsq_f64_e32 v[17:18], v[10:11]
	v_cmp_class_f64_e32 vcc, v[10:11], v12
	v_mul_f64 v[19:20], v[10:11], v[17:18]
	v_mul_f64 v[17:18], v[17:18], 0.5
	v_fma_f64 v[21:22], -v[17:18], v[19:20], 0.5
	v_fma_f64 v[19:20], v[19:20], v[21:22], v[19:20]
	v_fma_f64 v[17:18], v[17:18], v[21:22], v[17:18]
	v_fma_f64 v[21:22], -v[19:20], v[19:20], v[10:11]
	v_fma_f64 v[19:20], v[21:22], v[17:18], v[19:20]
	v_fma_f64 v[21:22], -v[19:20], v[19:20], v[10:11]
	v_fma_f64 v[17:18], v[21:22], v[17:18], v[19:20]
	v_mul_lo_u32 v19, v6, s9
	v_ldexp_f64 v[17:18], v[17:18], v5
	v_mul_lo_u32 v5, v7, s8
	v_cndmask_b32_e32 v11, v18, v11, vcc
	v_cndmask_b32_e32 v10, v17, v10, vcc
	v_fma_f64 v[10:11], v[10:11], 0.5, -0.5
	v_mad_u64_u32 v[17:18], s[14:15], v6, s8, 0
	v_add3_u32 v18, v18, v19, v5
	v_mov_b32_e32 v5, s23
	v_floor_f64_e32 v[10:11], v[10:11]
	v_add_f64 v[10:11], v[2:3], -v[10:11]
	v_trunc_f64_e32 v[10:11], v[10:11]
	v_ldexp_f64 v[19:20], v[10:11], s29
	v_floor_f64_e32 v[19:20], v[19:20]
	v_fma_f64 v[10:11], v[19:20], s[12:13], v[10:11]
	v_cvt_u32_f64_e32 v20, v[19:20]
	v_cvt_u32_f64_e32 v19, v[10:11]
	v_lshlrev_b64 v[10:11], 4, v[17:18]
	v_mul_lo_u32 v17, v20, s18
	v_add_co_u32_e32 v21, vcc, s22, v10
	v_addc_co_u32_e32 v5, vcc, v5, v11, vcc
	v_mul_lo_u32 v18, v19, s19
	v_mad_u64_u32 v[10:11], s[14:15], v19, s18, 0
	v_add3_u32 v11, v11, v18, v17
	v_mov_b32_e32 v17, s24
	v_sub_co_u32_e32 v18, vcc, s25, v19
	v_subb_co_u32_e32 v17, vcc, v17, v20, vcc
	v_add_co_u32_e32 v22, vcc, -1, v18
	v_lshlrev_b64 v[10:11], 4, v[10:11]
	v_addc_co_u32_e32 v23, vcc, -1, v17, vcc
	v_add_co_u32_e32 v21, vcc, v21, v10
	v_addc_co_u32_e32 v5, vcc, v5, v11, vcc
	v_mov_b32_e32 v11, s5
	v_subrev_co_u32_e32 v10, vcc, s4, v8
	v_subb_co_u32_e32 v11, vcc, v9, v11, vcc
	v_lshlrev_b64 v[10:11], 4, v[10:11]
	v_mul_lo_u32 v24, v22, v17
	v_mul_lo_u32 v23, v23, v18
	v_mad_u64_u32 v[17:18], s[14:15], v22, v18, 0
	v_add_co_u32_e32 v21, vcc, v21, v10
	v_addc_co_u32_e32 v5, vcc, v5, v11, vcc
	v_lshlrev_b64 v[10:11], 4, v[19:20]
	v_add3_u32 v18, v18, v24, v23
	v_add_co_u32_e32 v19, vcc, v21, v10
	v_addc_co_u32_e32 v5, vcc, v5, v11, vcc
	v_lshlrev_b64 v[10:11], 3, v[17:18]
	s_mov_b64 s[14:15], -1
	v_and_b32_e32 v10, -16, v10
	v_add_co_u32_e32 v17, vcc, v19, v10
	v_addc_co_u32_e32 v18, vcc, v5, v11, vcc
	v_mov_b32_e32 v5, v4
	v_add_co_u32_e32 v10, vcc, 16, v17
	v_addc_co_u32_e32 v11, vcc, 0, v18, vcc
	global_store_dwordx2 v[17:18], v[4:5], off offset:16
	s_branch .LBB259_11
.LBB259_10:                             ;   in Loop: Header=BB259_3 Depth=1
	s_mov_b64 s[0:1], -1
	s_mov_b64 s[14:15], 0
                                        ; implicit-def: $vgpr10_vgpr11
.LBB259_11:                             ;   in Loop: Header=BB259_3 Depth=1
	s_and_b64 vcc, exec, s[0:1]
	s_cbranch_vccz .LBB259_14
; %bb.12:                               ;   in Loop: Header=BB259_3 Depth=1
	s_cmpk_eq_i32 s20, 0x79
                                        ; implicit-def: $vgpr10_vgpr11
	s_cbranch_scc0 .LBB259_14
; %bb.13:                               ;   in Loop: Header=BB259_3 Depth=1
	v_lshlrev_b64 v[10:11], 3, v[8:9]
	v_mov_b32_e32 v23, s23
	v_cvt_f64_u32_e32 v[17:18], v11
	v_or_b32_e32 v5, 1, v10
	v_cvt_f64_u32_e32 v[10:11], v5
	s_mov_b64 s[14:15], -1
	v_ldexp_f64 v[17:18], v[17:18], 32
	v_add_f64 v[10:11], v[17:18], v[10:11]
	v_cmp_gt_f64_e32 vcc, s[10:11], v[10:11]
	v_cndmask_b32_e32 v5, 0, v15, vcc
	v_ldexp_f64 v[10:11], v[10:11], v5
	v_cndmask_b32_e32 v5, 0, v16, vcc
	v_rsq_f64_e32 v[17:18], v[10:11]
	v_cmp_class_f64_e32 vcc, v[10:11], v12
	v_mul_f64 v[19:20], v[10:11], v[17:18]
	v_mul_f64 v[17:18], v[17:18], 0.5
	v_fma_f64 v[21:22], -v[17:18], v[19:20], 0.5
	v_fma_f64 v[19:20], v[19:20], v[21:22], v[19:20]
	v_fma_f64 v[17:18], v[17:18], v[21:22], v[17:18]
	v_fma_f64 v[21:22], -v[19:20], v[19:20], v[10:11]
	v_fma_f64 v[19:20], v[21:22], v[17:18], v[19:20]
	v_fma_f64 v[21:22], -v[19:20], v[19:20], v[10:11]
	v_fma_f64 v[17:18], v[21:22], v[17:18], v[19:20]
	v_mul_lo_u32 v21, v7, s8
	v_mul_lo_u32 v22, v6, s9
	v_mad_u64_u32 v[6:7], s[0:1], v6, s8, 0
	v_mov_b32_e32 v20, s19
	v_mov_b32_e32 v19, s18
	v_add3_u32 v7, v7, v22, v21
	v_ldexp_f64 v[17:18], v[17:18], v5
	v_lshlrev_b64 v[6:7], 4, v[6:7]
	v_mov_b32_e32 v5, v4
	v_cndmask_b32_e32 v11, v18, v11, vcc
	v_cndmask_b32_e32 v10, v17, v10, vcc
	v_add_f64 v[10:11], v[10:11], -1.0
	v_mul_f64 v[10:11], v[10:11], 0.5
	v_trunc_f64_e32 v[10:11], v[10:11]
	v_ldexp_f64 v[17:18], v[10:11], s29
	v_floor_f64_e32 v[17:18], v[17:18]
	v_fma_f64 v[10:11], v[17:18], s[12:13], v[10:11]
	v_cvt_u32_f64_e32 v18, v[17:18]
	v_mul_lo_u32 v21, s18, v18
	v_cvt_u32_f64_e32 v17, v[10:11]
	v_mad_u64_u32 v[10:11], s[0:1], v17, v17, v[17:18]
	v_mul_lo_u32 v22, v17, v18
	v_mad_u64_u32 v[18:19], s[0:1], s18, v17, v[19:20]
	v_mul_lo_u32 v17, s19, v17
	v_add_co_u32_e32 v20, vcc, s22, v6
	v_add3_u32 v11, v22, v11, v22
	v_addc_co_u32_e32 v23, vcc, v23, v7, vcc
	v_lshrrev_b64 v[6:7], 1, v[10:11]
	v_add3_u32 v19, v17, v19, v21
	v_lshlrev_b64 v[10:11], 4, v[18:19]
	v_sub_co_u32_e32 v6, vcc, v8, v6
	v_subb_co_u32_e32 v7, vcc, v9, v7, vcc
	v_add_co_u32_e32 v8, vcc, v20, v10
	v_lshlrev_b64 v[6:7], 4, v[6:7]
	v_addc_co_u32_e32 v9, vcc, v23, v11, vcc
	v_add_co_u32_e32 v10, vcc, v8, v6
	v_addc_co_u32_e32 v11, vcc, v9, v7, vcc
	global_store_dwordx2 v[10:11], v[4:5], off
.LBB259_14:                             ;   in Loop: Header=BB259_3 Depth=1
	s_and_b64 vcc, exec, s[14:15]
	s_cbranch_vccz .LBB259_2
; %bb.15:                               ;   in Loop: Header=BB259_3 Depth=1
	v_mov_b32_e32 v5, v4
	global_store_dwordx2 v[10:11], v[4:5], off offset:8
	s_branch .LBB259_2
.LBB259_16:
	s_endpgm
	.section	.rodata,"a",@progbits
	.p2align	6, 0x0
	.amdhsa_kernel _ZL18rocblas_trtri_fillILi128E19rocblas_complex_numIdEPS1_EvP15_rocblas_handle13rocblas_fill_ililT1_llii
		.amdhsa_group_segment_fixed_size 0
		.amdhsa_private_segment_fixed_size 0
		.amdhsa_kernarg_size 328
		.amdhsa_user_sgpr_count 6
		.amdhsa_user_sgpr_private_segment_buffer 1
		.amdhsa_user_sgpr_dispatch_ptr 0
		.amdhsa_user_sgpr_queue_ptr 0
		.amdhsa_user_sgpr_kernarg_segment_ptr 1
		.amdhsa_user_sgpr_dispatch_id 0
		.amdhsa_user_sgpr_flat_scratch_init 0
		.amdhsa_user_sgpr_private_segment_size 0
		.amdhsa_uses_dynamic_stack 0
		.amdhsa_system_sgpr_private_segment_wavefront_offset 0
		.amdhsa_system_sgpr_workgroup_id_x 1
		.amdhsa_system_sgpr_workgroup_id_y 0
		.amdhsa_system_sgpr_workgroup_id_z 1
		.amdhsa_system_sgpr_workgroup_info 0
		.amdhsa_system_vgpr_workitem_id 0
		.amdhsa_next_free_vgpr 25
		.amdhsa_next_free_sgpr 39
		.amdhsa_reserve_vcc 1
		.amdhsa_reserve_flat_scratch 0
		.amdhsa_float_round_mode_32 0
		.amdhsa_float_round_mode_16_64 0
		.amdhsa_float_denorm_mode_32 3
		.amdhsa_float_denorm_mode_16_64 3
		.amdhsa_dx10_clamp 1
		.amdhsa_ieee_mode 1
		.amdhsa_fp16_overflow 0
		.amdhsa_exception_fp_ieee_invalid_op 0
		.amdhsa_exception_fp_denorm_src 0
		.amdhsa_exception_fp_ieee_div_zero 0
		.amdhsa_exception_fp_ieee_overflow 0
		.amdhsa_exception_fp_ieee_underflow 0
		.amdhsa_exception_fp_ieee_inexact 0
		.amdhsa_exception_int_div_zero 0
	.end_amdhsa_kernel
	.section	.text._ZL18rocblas_trtri_fillILi128E19rocblas_complex_numIdEPS1_EvP15_rocblas_handle13rocblas_fill_ililT1_llii,"axG",@progbits,_ZL18rocblas_trtri_fillILi128E19rocblas_complex_numIdEPS1_EvP15_rocblas_handle13rocblas_fill_ililT1_llii,comdat
.Lfunc_end259:
	.size	_ZL18rocblas_trtri_fillILi128E19rocblas_complex_numIdEPS1_EvP15_rocblas_handle13rocblas_fill_ililT1_llii, .Lfunc_end259-_ZL18rocblas_trtri_fillILi128E19rocblas_complex_numIdEPS1_EvP15_rocblas_handle13rocblas_fill_ililT1_llii
                                        ; -- End function
	.set _ZL18rocblas_trtri_fillILi128E19rocblas_complex_numIdEPS1_EvP15_rocblas_handle13rocblas_fill_ililT1_llii.num_vgpr, 25
	.set _ZL18rocblas_trtri_fillILi128E19rocblas_complex_numIdEPS1_EvP15_rocblas_handle13rocblas_fill_ililT1_llii.num_agpr, 0
	.set _ZL18rocblas_trtri_fillILi128E19rocblas_complex_numIdEPS1_EvP15_rocblas_handle13rocblas_fill_ililT1_llii.numbered_sgpr, 39
	.set _ZL18rocblas_trtri_fillILi128E19rocblas_complex_numIdEPS1_EvP15_rocblas_handle13rocblas_fill_ililT1_llii.num_named_barrier, 0
	.set _ZL18rocblas_trtri_fillILi128E19rocblas_complex_numIdEPS1_EvP15_rocblas_handle13rocblas_fill_ililT1_llii.private_seg_size, 0
	.set _ZL18rocblas_trtri_fillILi128E19rocblas_complex_numIdEPS1_EvP15_rocblas_handle13rocblas_fill_ililT1_llii.uses_vcc, 1
	.set _ZL18rocblas_trtri_fillILi128E19rocblas_complex_numIdEPS1_EvP15_rocblas_handle13rocblas_fill_ililT1_llii.uses_flat_scratch, 0
	.set _ZL18rocblas_trtri_fillILi128E19rocblas_complex_numIdEPS1_EvP15_rocblas_handle13rocblas_fill_ililT1_llii.has_dyn_sized_stack, 0
	.set _ZL18rocblas_trtri_fillILi128E19rocblas_complex_numIdEPS1_EvP15_rocblas_handle13rocblas_fill_ililT1_llii.has_recursion, 0
	.set _ZL18rocblas_trtri_fillILi128E19rocblas_complex_numIdEPS1_EvP15_rocblas_handle13rocblas_fill_ililT1_llii.has_indirect_call, 0
	.section	.AMDGPU.csdata,"",@progbits
; Kernel info:
; codeLenInByte = 1948
; TotalNumSgprs: 43
; NumVgprs: 25
; ScratchSize: 0
; MemoryBound: 0
; FloatMode: 240
; IeeeMode: 1
; LDSByteSize: 0 bytes/workgroup (compile time only)
; SGPRBlocks: 5
; VGPRBlocks: 6
; NumSGPRsForWavesPerEU: 43
; NumVGPRsForWavesPerEU: 25
; Occupancy: 9
; WaveLimiterHint : 0
; COMPUTE_PGM_RSRC2:SCRATCH_EN: 0
; COMPUTE_PGM_RSRC2:USER_SGPR: 6
; COMPUTE_PGM_RSRC2:TRAP_HANDLER: 0
; COMPUTE_PGM_RSRC2:TGID_X_EN: 1
; COMPUTE_PGM_RSRC2:TGID_Y_EN: 0
; COMPUTE_PGM_RSRC2:TGID_Z_EN: 1
; COMPUTE_PGM_RSRC2:TIDIG_COMP_CNT: 0
	.section	.text._ZL24rocblas_copy_matrix_trsmILi128ELi8E19rocblas_complex_numIdEPKS1_PS1_EviiiT2_ilT3_illli,"axG",@progbits,_ZL24rocblas_copy_matrix_trsmILi128ELi8E19rocblas_complex_numIdEPKS1_PS1_EviiiT2_ilT3_illli,comdat
	.globl	_ZL24rocblas_copy_matrix_trsmILi128ELi8E19rocblas_complex_numIdEPKS1_PS1_EviiiT2_ilT3_illli ; -- Begin function _ZL24rocblas_copy_matrix_trsmILi128ELi8E19rocblas_complex_numIdEPKS1_PS1_EviiiT2_ilT3_illli
	.p2align	8
	.type	_ZL24rocblas_copy_matrix_trsmILi128ELi8E19rocblas_complex_numIdEPKS1_PS1_EviiiT2_ilT3_illli,@function
_ZL24rocblas_copy_matrix_trsmILi128ELi8E19rocblas_complex_numIdEPKS1_PS1_EviiiT2_ilT3_illli: ; @_ZL24rocblas_copy_matrix_trsmILi128ELi8E19rocblas_complex_numIdEPKS1_PS1_EviiiT2_ilT3_illli
; %bb.0:
	s_load_dwordx2 s[0:1], s[4:5], 0x0
	v_mov_b32_e32 v3, 0
	v_lshl_add_u32 v2, s6, 7, v0
	v_lshl_add_u32 v0, s7, 3, v1
	v_mov_b32_e32 v1, v3
	s_waitcnt lgkmcnt(0)
	s_ashr_i32 s7, s1, 31
	s_mov_b32 s6, s1
	s_ashr_i32 s1, s0, 31
	v_cmp_gt_u64_e32 vcc, s[0:1], v[2:3]
	v_cmp_gt_u64_e64 s[0:1], s[6:7], v[0:1]
	s_and_b64 s[0:1], vcc, s[0:1]
	s_and_saveexec_b64 s[2:3], s[0:1]
	s_cbranch_execz .LBB260_3
; %bb.1:
	s_load_dwordx2 s[10:11], s[4:5], 0x10
	s_load_dword s18, s[4:5], 0x18
	s_load_dwordx4 s[12:15], s[4:5], 0x20
	s_load_dword s19, s[4:5], 0x30
	s_load_dwordx4 s[0:3], s[4:5], 0x38
	s_load_dwordx2 s[16:17], s[4:5], 0x48
	s_load_dword s9, s[4:5], 0x5c
	s_waitcnt lgkmcnt(0)
	s_ashr_i32 s20, s18, 31
	v_mad_u64_u32 v[4:5], s[4:5], s19, v0, 0
	s_ashr_i32 s21, s19, 31
	s_mul_i32 s1, s1, s8
	v_mad_u64_u32 v[5:6], s[4:5], s21, v0, v[5:6]
	s_mul_hi_u32 s22, s0, s8
	s_add_i32 s1, s22, s1
	s_mul_i32 s0, s0, s8
	s_lshl_b32 s9, s9, 3
	s_lshl_b64 s[0:1], s[0:1], 4
	s_lshl_b64 s[4:5], s[16:17], 4
	v_lshlrev_b64 v[4:5], 4, v[4:5]
	s_add_u32 s0, s4, s0
	s_addc_u32 s1, s5, s1
	v_mov_b32_e32 v6, s1
	v_add_co_u32_e32 v7, vcc, s0, v4
	v_addc_co_u32_e32 v6, vcc, v6, v5, vcc
	v_lshlrev_b64 v[4:5], 4, v[2:3]
	s_mul_i32 s21, s21, s9
	v_add_co_u32_e32 v2, vcc, v7, v4
	v_addc_co_u32_e32 v3, vcc, v6, v5, vcc
	v_mov_b32_e32 v6, s15
	v_add_co_u32_e32 v2, vcc, s14, v2
	v_addc_co_u32_e32 v3, vcc, v6, v3, vcc
	v_mad_u64_u32 v[6:7], s[4:5], s18, v0, 0
	s_mul_hi_u32 s0, s19, s9
	s_mul_i32 s13, s13, s8
	v_mad_u64_u32 v[7:8], s[4:5], s20, v0, v[7:8]
	s_mul_hi_u32 s14, s12, s8
	s_add_i32 s1, s0, s21
	s_mul_i32 s0, s19, s9
	s_add_i32 s5, s14, s13
	s_mul_i32 s4, s12, s8
	s_lshl_b64 s[0:1], s[0:1], 4
	s_lshl_b64 s[4:5], s[4:5], 4
	;; [unrolled: 1-line block ×3, first 2 shown]
	v_lshlrev_b64 v[6:7], 4, v[6:7]
	s_add_u32 s2, s2, s4
	s_addc_u32 s3, s3, s5
	v_mov_b32_e32 v8, s3
	v_add_co_u32_e32 v6, vcc, s2, v6
	v_addc_co_u32_e32 v7, vcc, v8, v7, vcc
	v_add_co_u32_e32 v4, vcc, v6, v4
	s_mul_i32 s20, s20, s9
	s_mul_hi_u32 s2, s18, s9
	v_addc_co_u32_e32 v5, vcc, v7, v5, vcc
	s_add_i32 s3, s2, s20
	s_mul_i32 s2, s18, s9
	v_mov_b32_e32 v6, s11
	v_add_co_u32_e32 v4, vcc, s10, v4
	s_lshl_b64 s[2:3], s[2:3], 4
	v_addc_co_u32_e32 v5, vcc, v6, v5, vcc
	s_mov_b64 s[4:5], 0
	v_mov_b32_e32 v6, s1
	v_mov_b32_e32 v7, s3
.LBB260_2:                              ; =>This Inner Loop Header: Depth=1
	global_load_dwordx4 v[8:11], v[4:5], off
	v_add_co_u32_e32 v0, vcc, s9, v0
	v_addc_co_u32_e32 v1, vcc, 0, v1, vcc
	v_add_co_u32_e32 v4, vcc, s2, v4
	v_addc_co_u32_e32 v5, vcc, v5, v7, vcc
	v_cmp_le_u64_e32 vcc, s[6:7], v[0:1]
	s_or_b64 s[4:5], vcc, s[4:5]
	s_waitcnt vmcnt(0)
	global_store_dwordx4 v[2:3], v[8:11], off
	v_add_co_u32_e32 v2, vcc, s0, v2
	v_addc_co_u32_e32 v3, vcc, v3, v6, vcc
	s_andn2_b64 exec, exec, s[4:5]
	s_cbranch_execnz .LBB260_2
.LBB260_3:
	s_endpgm
	.section	.rodata,"a",@progbits
	.p2align	6, 0x0
	.amdhsa_kernel _ZL24rocblas_copy_matrix_trsmILi128ELi8E19rocblas_complex_numIdEPKS1_PS1_EviiiT2_ilT3_illli
		.amdhsa_group_segment_fixed_size 0
		.amdhsa_private_segment_fixed_size 0
		.amdhsa_kernarg_size 344
		.amdhsa_user_sgpr_count 6
		.amdhsa_user_sgpr_private_segment_buffer 1
		.amdhsa_user_sgpr_dispatch_ptr 0
		.amdhsa_user_sgpr_queue_ptr 0
		.amdhsa_user_sgpr_kernarg_segment_ptr 1
		.amdhsa_user_sgpr_dispatch_id 0
		.amdhsa_user_sgpr_flat_scratch_init 0
		.amdhsa_user_sgpr_private_segment_size 0
		.amdhsa_uses_dynamic_stack 0
		.amdhsa_system_sgpr_private_segment_wavefront_offset 0
		.amdhsa_system_sgpr_workgroup_id_x 1
		.amdhsa_system_sgpr_workgroup_id_y 1
		.amdhsa_system_sgpr_workgroup_id_z 1
		.amdhsa_system_sgpr_workgroup_info 0
		.amdhsa_system_vgpr_workitem_id 1
		.amdhsa_next_free_vgpr 12
		.amdhsa_next_free_sgpr 23
		.amdhsa_reserve_vcc 1
		.amdhsa_reserve_flat_scratch 0
		.amdhsa_float_round_mode_32 0
		.amdhsa_float_round_mode_16_64 0
		.amdhsa_float_denorm_mode_32 3
		.amdhsa_float_denorm_mode_16_64 3
		.amdhsa_dx10_clamp 1
		.amdhsa_ieee_mode 1
		.amdhsa_fp16_overflow 0
		.amdhsa_exception_fp_ieee_invalid_op 0
		.amdhsa_exception_fp_denorm_src 0
		.amdhsa_exception_fp_ieee_div_zero 0
		.amdhsa_exception_fp_ieee_overflow 0
		.amdhsa_exception_fp_ieee_underflow 0
		.amdhsa_exception_fp_ieee_inexact 0
		.amdhsa_exception_int_div_zero 0
	.end_amdhsa_kernel
	.section	.text._ZL24rocblas_copy_matrix_trsmILi128ELi8E19rocblas_complex_numIdEPKS1_PS1_EviiiT2_ilT3_illli,"axG",@progbits,_ZL24rocblas_copy_matrix_trsmILi128ELi8E19rocblas_complex_numIdEPKS1_PS1_EviiiT2_ilT3_illli,comdat
.Lfunc_end260:
	.size	_ZL24rocblas_copy_matrix_trsmILi128ELi8E19rocblas_complex_numIdEPKS1_PS1_EviiiT2_ilT3_illli, .Lfunc_end260-_ZL24rocblas_copy_matrix_trsmILi128ELi8E19rocblas_complex_numIdEPKS1_PS1_EviiiT2_ilT3_illli
                                        ; -- End function
	.set _ZL24rocblas_copy_matrix_trsmILi128ELi8E19rocblas_complex_numIdEPKS1_PS1_EviiiT2_ilT3_illli.num_vgpr, 12
	.set _ZL24rocblas_copy_matrix_trsmILi128ELi8E19rocblas_complex_numIdEPKS1_PS1_EviiiT2_ilT3_illli.num_agpr, 0
	.set _ZL24rocblas_copy_matrix_trsmILi128ELi8E19rocblas_complex_numIdEPKS1_PS1_EviiiT2_ilT3_illli.numbered_sgpr, 23
	.set _ZL24rocblas_copy_matrix_trsmILi128ELi8E19rocblas_complex_numIdEPKS1_PS1_EviiiT2_ilT3_illli.num_named_barrier, 0
	.set _ZL24rocblas_copy_matrix_trsmILi128ELi8E19rocblas_complex_numIdEPKS1_PS1_EviiiT2_ilT3_illli.private_seg_size, 0
	.set _ZL24rocblas_copy_matrix_trsmILi128ELi8E19rocblas_complex_numIdEPKS1_PS1_EviiiT2_ilT3_illli.uses_vcc, 1
	.set _ZL24rocblas_copy_matrix_trsmILi128ELi8E19rocblas_complex_numIdEPKS1_PS1_EviiiT2_ilT3_illli.uses_flat_scratch, 0
	.set _ZL24rocblas_copy_matrix_trsmILi128ELi8E19rocblas_complex_numIdEPKS1_PS1_EviiiT2_ilT3_illli.has_dyn_sized_stack, 0
	.set _ZL24rocblas_copy_matrix_trsmILi128ELi8E19rocblas_complex_numIdEPKS1_PS1_EviiiT2_ilT3_illli.has_recursion, 0
	.set _ZL24rocblas_copy_matrix_trsmILi128ELi8E19rocblas_complex_numIdEPKS1_PS1_EviiiT2_ilT3_illli.has_indirect_call, 0
	.section	.AMDGPU.csdata,"",@progbits
; Kernel info:
; codeLenInByte = 444
; TotalNumSgprs: 27
; NumVgprs: 12
; ScratchSize: 0
; MemoryBound: 0
; FloatMode: 240
; IeeeMode: 1
; LDSByteSize: 0 bytes/workgroup (compile time only)
; SGPRBlocks: 3
; VGPRBlocks: 2
; NumSGPRsForWavesPerEU: 27
; NumVGPRsForWavesPerEU: 12
; Occupancy: 10
; WaveLimiterHint : 0
; COMPUTE_PGM_RSRC2:SCRATCH_EN: 0
; COMPUTE_PGM_RSRC2:USER_SGPR: 6
; COMPUTE_PGM_RSRC2:TRAP_HANDLER: 0
; COMPUTE_PGM_RSRC2:TGID_X_EN: 1
; COMPUTE_PGM_RSRC2:TGID_Y_EN: 1
; COMPUTE_PGM_RSRC2:TGID_Z_EN: 1
; COMPUTE_PGM_RSRC2:TIDIG_COMP_CNT: 1
	.section	.AMDGPU.gpr_maximums,"",@progbits
	.set amdgpu.max_num_vgpr, 0
	.set amdgpu.max_num_agpr, 0
	.set amdgpu.max_num_sgpr, 0
	.section	.AMDGPU.csdata,"",@progbits
	.type	__const._ZL38rocblas_trsm_small_left_device_sharedBILi4ELi4ELb0E19rocblas_complex_numIfES1_PKS1_PS1_Ev13rocblas_fill_18rocblas_operation_17rocblas_diagonal_iiT3_T4_lilT5_lili.step_sizes,@object ; @__const._ZL38rocblas_trsm_small_left_device_sharedBILi4ELi4ELb0E19rocblas_complex_numIfES1_PKS1_PS1_Ev13rocblas_fill_18rocblas_operation_17rocblas_diagonal_iiT3_T4_lilT5_lili.step_sizes
	.section	.rodata,"a",@progbits
	.p2align	2, 0x0
__const._ZL38rocblas_trsm_small_left_device_sharedBILi4ELi4ELb0E19rocblas_complex_numIfES1_PKS1_PS1_Ev13rocblas_fill_18rocblas_operation_17rocblas_diagonal_iiT3_T4_lilT5_lili.step_sizes:
	.long	4                               ; 0x4
	.long	1                               ; 0x1
	;; [unrolled: 1-line block ×3, first 2 shown]
	.size	__const._ZL38rocblas_trsm_small_left_device_sharedBILi4ELi4ELb0E19rocblas_complex_numIfES1_PKS1_PS1_Ev13rocblas_fill_18rocblas_operation_17rocblas_diagonal_iiT3_T4_lilT5_lili.step_sizes, 12

	.type	__const._ZL30rocblas_trsm_small_left_deviceILi4ELi4ELb0E19rocblas_complex_numIfES1_PKS1_PS1_Ev13rocblas_fill_18rocblas_operation_17rocblas_diagonal_iiT3_T4_lilT5_lili.step_sizes,@object ; @__const._ZL30rocblas_trsm_small_left_deviceILi4ELi4ELb0E19rocblas_complex_numIfES1_PKS1_PS1_Ev13rocblas_fill_18rocblas_operation_17rocblas_diagonal_iiT3_T4_lilT5_lili.step_sizes
	.p2align	2, 0x0
__const._ZL30rocblas_trsm_small_left_deviceILi4ELi4ELb0E19rocblas_complex_numIfES1_PKS1_PS1_Ev13rocblas_fill_18rocblas_operation_17rocblas_diagonal_iiT3_T4_lilT5_lili.step_sizes:
	.long	4                               ; 0x4
	.long	1                               ; 0x1
	;; [unrolled: 1-line block ×3, first 2 shown]
	.size	__const._ZL30rocblas_trsm_small_left_deviceILi4ELi4ELb0E19rocblas_complex_numIfES1_PKS1_PS1_Ev13rocblas_fill_18rocblas_operation_17rocblas_diagonal_iiT3_T4_lilT5_lili.step_sizes, 12

	.type	__const._ZL38rocblas_trsm_small_left_device_sharedBILi4ELi4ELb1E19rocblas_complex_numIfES1_PKS1_PS1_Ev13rocblas_fill_18rocblas_operation_17rocblas_diagonal_iiT3_T4_lilT5_lili.step_sizes,@object ; @__const._ZL38rocblas_trsm_small_left_device_sharedBILi4ELi4ELb1E19rocblas_complex_numIfES1_PKS1_PS1_Ev13rocblas_fill_18rocblas_operation_17rocblas_diagonal_iiT3_T4_lilT5_lili.step_sizes
	.p2align	2, 0x0
__const._ZL38rocblas_trsm_small_left_device_sharedBILi4ELi4ELb1E19rocblas_complex_numIfES1_PKS1_PS1_Ev13rocblas_fill_18rocblas_operation_17rocblas_diagonal_iiT3_T4_lilT5_lili.step_sizes:
	.long	4                               ; 0x4
	.long	1                               ; 0x1
	;; [unrolled: 1-line block ×3, first 2 shown]
	.size	__const._ZL38rocblas_trsm_small_left_device_sharedBILi4ELi4ELb1E19rocblas_complex_numIfES1_PKS1_PS1_Ev13rocblas_fill_18rocblas_operation_17rocblas_diagonal_iiT3_T4_lilT5_lili.step_sizes, 12

	.type	__const._ZL30rocblas_trsm_small_left_deviceILi4ELi4ELb1E19rocblas_complex_numIfES1_PKS1_PS1_Ev13rocblas_fill_18rocblas_operation_17rocblas_diagonal_iiT3_T4_lilT5_lili.step_sizes,@object ; @__const._ZL30rocblas_trsm_small_left_deviceILi4ELi4ELb1E19rocblas_complex_numIfES1_PKS1_PS1_Ev13rocblas_fill_18rocblas_operation_17rocblas_diagonal_iiT3_T4_lilT5_lili.step_sizes
	.p2align	2, 0x0
__const._ZL30rocblas_trsm_small_left_deviceILi4ELi4ELb1E19rocblas_complex_numIfES1_PKS1_PS1_Ev13rocblas_fill_18rocblas_operation_17rocblas_diagonal_iiT3_T4_lilT5_lili.step_sizes:
	.long	4                               ; 0x4
	.long	1                               ; 0x1
	;; [unrolled: 1-line block ×3, first 2 shown]
	.size	__const._ZL30rocblas_trsm_small_left_deviceILi4ELi4ELb1E19rocblas_complex_numIfES1_PKS1_PS1_Ev13rocblas_fill_18rocblas_operation_17rocblas_diagonal_iiT3_T4_lilT5_lili.step_sizes, 12

	.type	__const._ZL38rocblas_trsm_small_left_device_sharedBILi8ELi8ELb0E19rocblas_complex_numIfES1_PKS1_PS1_Ev13rocblas_fill_18rocblas_operation_17rocblas_diagonal_iiT3_T4_lilT5_lili.step_sizes,@object ; @__const._ZL38rocblas_trsm_small_left_device_sharedBILi8ELi8ELb0E19rocblas_complex_numIfES1_PKS1_PS1_Ev13rocblas_fill_18rocblas_operation_17rocblas_diagonal_iiT3_T4_lilT5_lili.step_sizes
	.p2align	2, 0x0
__const._ZL38rocblas_trsm_small_left_device_sharedBILi8ELi8ELb0E19rocblas_complex_numIfES1_PKS1_PS1_Ev13rocblas_fill_18rocblas_operation_17rocblas_diagonal_iiT3_T4_lilT5_lili.step_sizes:
	.long	8                               ; 0x8
	.long	4                               ; 0x4
	.long	1                               ; 0x1
	.size	__const._ZL38rocblas_trsm_small_left_device_sharedBILi8ELi8ELb0E19rocblas_complex_numIfES1_PKS1_PS1_Ev13rocblas_fill_18rocblas_operation_17rocblas_diagonal_iiT3_T4_lilT5_lili.step_sizes, 12

	.type	__const._ZL30rocblas_trsm_small_left_deviceILi8ELi8ELb0E19rocblas_complex_numIfES1_PKS1_PS1_Ev13rocblas_fill_18rocblas_operation_17rocblas_diagonal_iiT3_T4_lilT5_lili.step_sizes,@object ; @__const._ZL30rocblas_trsm_small_left_deviceILi8ELi8ELb0E19rocblas_complex_numIfES1_PKS1_PS1_Ev13rocblas_fill_18rocblas_operation_17rocblas_diagonal_iiT3_T4_lilT5_lili.step_sizes
	.p2align	2, 0x0
__const._ZL30rocblas_trsm_small_left_deviceILi8ELi8ELb0E19rocblas_complex_numIfES1_PKS1_PS1_Ev13rocblas_fill_18rocblas_operation_17rocblas_diagonal_iiT3_T4_lilT5_lili.step_sizes:
	.long	8                               ; 0x8
	.long	4                               ; 0x4
	;; [unrolled: 1-line block ×3, first 2 shown]
	.size	__const._ZL30rocblas_trsm_small_left_deviceILi8ELi8ELb0E19rocblas_complex_numIfES1_PKS1_PS1_Ev13rocblas_fill_18rocblas_operation_17rocblas_diagonal_iiT3_T4_lilT5_lili.step_sizes, 12

	.type	__const._ZL38rocblas_trsm_small_left_device_sharedBILi8ELi8ELb1E19rocblas_complex_numIfES1_PKS1_PS1_Ev13rocblas_fill_18rocblas_operation_17rocblas_diagonal_iiT3_T4_lilT5_lili.step_sizes,@object ; @__const._ZL38rocblas_trsm_small_left_device_sharedBILi8ELi8ELb1E19rocblas_complex_numIfES1_PKS1_PS1_Ev13rocblas_fill_18rocblas_operation_17rocblas_diagonal_iiT3_T4_lilT5_lili.step_sizes
	.p2align	2, 0x0
__const._ZL38rocblas_trsm_small_left_device_sharedBILi8ELi8ELb1E19rocblas_complex_numIfES1_PKS1_PS1_Ev13rocblas_fill_18rocblas_operation_17rocblas_diagonal_iiT3_T4_lilT5_lili.step_sizes:
	.long	8                               ; 0x8
	.long	4                               ; 0x4
	;; [unrolled: 1-line block ×3, first 2 shown]
	.size	__const._ZL38rocblas_trsm_small_left_device_sharedBILi8ELi8ELb1E19rocblas_complex_numIfES1_PKS1_PS1_Ev13rocblas_fill_18rocblas_operation_17rocblas_diagonal_iiT3_T4_lilT5_lili.step_sizes, 12

	.type	__const._ZL30rocblas_trsm_small_left_deviceILi8ELi8ELb1E19rocblas_complex_numIfES1_PKS1_PS1_Ev13rocblas_fill_18rocblas_operation_17rocblas_diagonal_iiT3_T4_lilT5_lili.step_sizes,@object ; @__const._ZL30rocblas_trsm_small_left_deviceILi8ELi8ELb1E19rocblas_complex_numIfES1_PKS1_PS1_Ev13rocblas_fill_18rocblas_operation_17rocblas_diagonal_iiT3_T4_lilT5_lili.step_sizes
	.p2align	2, 0x0
__const._ZL30rocblas_trsm_small_left_deviceILi8ELi8ELb1E19rocblas_complex_numIfES1_PKS1_PS1_Ev13rocblas_fill_18rocblas_operation_17rocblas_diagonal_iiT3_T4_lilT5_lili.step_sizes:
	.long	8                               ; 0x8
	.long	4                               ; 0x4
	;; [unrolled: 1-line block ×3, first 2 shown]
	.size	__const._ZL30rocblas_trsm_small_left_deviceILi8ELi8ELb1E19rocblas_complex_numIfES1_PKS1_PS1_Ev13rocblas_fill_18rocblas_operation_17rocblas_diagonal_iiT3_T4_lilT5_lili.step_sizes, 12

	.type	__const._ZL38rocblas_trsm_small_left_device_sharedBILi12ELi12ELb0E19rocblas_complex_numIfES1_PKS1_PS1_Ev13rocblas_fill_18rocblas_operation_17rocblas_diagonal_iiT3_T4_lilT5_lili.step_sizes,@object ; @__const._ZL38rocblas_trsm_small_left_device_sharedBILi12ELi12ELb0E19rocblas_complex_numIfES1_PKS1_PS1_Ev13rocblas_fill_18rocblas_operation_17rocblas_diagonal_iiT3_T4_lilT5_lili.step_sizes
	.p2align	2, 0x0
__const._ZL38rocblas_trsm_small_left_device_sharedBILi12ELi12ELb0E19rocblas_complex_numIfES1_PKS1_PS1_Ev13rocblas_fill_18rocblas_operation_17rocblas_diagonal_iiT3_T4_lilT5_lili.step_sizes:
	.long	12                              ; 0xc
	.long	8                               ; 0x8
	.long	1                               ; 0x1
	.size	__const._ZL38rocblas_trsm_small_left_device_sharedBILi12ELi12ELb0E19rocblas_complex_numIfES1_PKS1_PS1_Ev13rocblas_fill_18rocblas_operation_17rocblas_diagonal_iiT3_T4_lilT5_lili.step_sizes, 12

	.type	__const._ZL30rocblas_trsm_small_left_deviceILi12ELi12ELb0E19rocblas_complex_numIfES1_PKS1_PS1_Ev13rocblas_fill_18rocblas_operation_17rocblas_diagonal_iiT3_T4_lilT5_lili.step_sizes,@object ; @__const._ZL30rocblas_trsm_small_left_deviceILi12ELi12ELb0E19rocblas_complex_numIfES1_PKS1_PS1_Ev13rocblas_fill_18rocblas_operation_17rocblas_diagonal_iiT3_T4_lilT5_lili.step_sizes
	.p2align	2, 0x0
__const._ZL30rocblas_trsm_small_left_deviceILi12ELi12ELb0E19rocblas_complex_numIfES1_PKS1_PS1_Ev13rocblas_fill_18rocblas_operation_17rocblas_diagonal_iiT3_T4_lilT5_lili.step_sizes:
	.long	12                              ; 0xc
	.long	8                               ; 0x8
	.long	1                               ; 0x1
	.size	__const._ZL30rocblas_trsm_small_left_deviceILi12ELi12ELb0E19rocblas_complex_numIfES1_PKS1_PS1_Ev13rocblas_fill_18rocblas_operation_17rocblas_diagonal_iiT3_T4_lilT5_lili.step_sizes, 12

	.type	__const._ZL38rocblas_trsm_small_left_device_sharedBILi12ELi12ELb1E19rocblas_complex_numIfES1_PKS1_PS1_Ev13rocblas_fill_18rocblas_operation_17rocblas_diagonal_iiT3_T4_lilT5_lili.step_sizes,@object ; @__const._ZL38rocblas_trsm_small_left_device_sharedBILi12ELi12ELb1E19rocblas_complex_numIfES1_PKS1_PS1_Ev13rocblas_fill_18rocblas_operation_17rocblas_diagonal_iiT3_T4_lilT5_lili.step_sizes
	.p2align	2, 0x0
__const._ZL38rocblas_trsm_small_left_device_sharedBILi12ELi12ELb1E19rocblas_complex_numIfES1_PKS1_PS1_Ev13rocblas_fill_18rocblas_operation_17rocblas_diagonal_iiT3_T4_lilT5_lili.step_sizes:
	.long	12                              ; 0xc
	.long	8                               ; 0x8
	.long	1                               ; 0x1
	.size	__const._ZL38rocblas_trsm_small_left_device_sharedBILi12ELi12ELb1E19rocblas_complex_numIfES1_PKS1_PS1_Ev13rocblas_fill_18rocblas_operation_17rocblas_diagonal_iiT3_T4_lilT5_lili.step_sizes, 12

	.type	__const._ZL30rocblas_trsm_small_left_deviceILi12ELi12ELb1E19rocblas_complex_numIfES1_PKS1_PS1_Ev13rocblas_fill_18rocblas_operation_17rocblas_diagonal_iiT3_T4_lilT5_lili.step_sizes,@object ; @__const._ZL30rocblas_trsm_small_left_deviceILi12ELi12ELb1E19rocblas_complex_numIfES1_PKS1_PS1_Ev13rocblas_fill_18rocblas_operation_17rocblas_diagonal_iiT3_T4_lilT5_lili.step_sizes
	.p2align	2, 0x0
__const._ZL30rocblas_trsm_small_left_deviceILi12ELi12ELb1E19rocblas_complex_numIfES1_PKS1_PS1_Ev13rocblas_fill_18rocblas_operation_17rocblas_diagonal_iiT3_T4_lilT5_lili.step_sizes:
	.long	12                              ; 0xc
	.long	8                               ; 0x8
	.long	1                               ; 0x1
	.size	__const._ZL30rocblas_trsm_small_left_deviceILi12ELi12ELb1E19rocblas_complex_numIfES1_PKS1_PS1_Ev13rocblas_fill_18rocblas_operation_17rocblas_diagonal_iiT3_T4_lilT5_lili.step_sizes, 12

	.type	__const._ZL38rocblas_trsm_small_left_device_sharedBILi16ELi16ELb0E19rocblas_complex_numIfES1_PKS1_PS1_Ev13rocblas_fill_18rocblas_operation_17rocblas_diagonal_iiT3_T4_lilT5_lili.step_sizes,@object ; @__const._ZL38rocblas_trsm_small_left_device_sharedBILi16ELi16ELb0E19rocblas_complex_numIfES1_PKS1_PS1_Ev13rocblas_fill_18rocblas_operation_17rocblas_diagonal_iiT3_T4_lilT5_lili.step_sizes
	.p2align	2, 0x0
__const._ZL38rocblas_trsm_small_left_device_sharedBILi16ELi16ELb0E19rocblas_complex_numIfES1_PKS1_PS1_Ev13rocblas_fill_18rocblas_operation_17rocblas_diagonal_iiT3_T4_lilT5_lili.step_sizes:
	.long	16                              ; 0x10
	.long	12                              ; 0xc
	.long	1                               ; 0x1
	.size	__const._ZL38rocblas_trsm_small_left_device_sharedBILi16ELi16ELb0E19rocblas_complex_numIfES1_PKS1_PS1_Ev13rocblas_fill_18rocblas_operation_17rocblas_diagonal_iiT3_T4_lilT5_lili.step_sizes, 12

	.type	__const._ZL30rocblas_trsm_small_left_deviceILi16ELi16ELb0E19rocblas_complex_numIfES1_PKS1_PS1_Ev13rocblas_fill_18rocblas_operation_17rocblas_diagonal_iiT3_T4_lilT5_lili.step_sizes,@object ; @__const._ZL30rocblas_trsm_small_left_deviceILi16ELi16ELb0E19rocblas_complex_numIfES1_PKS1_PS1_Ev13rocblas_fill_18rocblas_operation_17rocblas_diagonal_iiT3_T4_lilT5_lili.step_sizes
	.p2align	2, 0x0
__const._ZL30rocblas_trsm_small_left_deviceILi16ELi16ELb0E19rocblas_complex_numIfES1_PKS1_PS1_Ev13rocblas_fill_18rocblas_operation_17rocblas_diagonal_iiT3_T4_lilT5_lili.step_sizes:
	.long	16                              ; 0x10
	.long	12                              ; 0xc
	.long	1                               ; 0x1
	.size	__const._ZL30rocblas_trsm_small_left_deviceILi16ELi16ELb0E19rocblas_complex_numIfES1_PKS1_PS1_Ev13rocblas_fill_18rocblas_operation_17rocblas_diagonal_iiT3_T4_lilT5_lili.step_sizes, 12

	.type	__const._ZL38rocblas_trsm_small_left_device_sharedBILi16ELi16ELb1E19rocblas_complex_numIfES1_PKS1_PS1_Ev13rocblas_fill_18rocblas_operation_17rocblas_diagonal_iiT3_T4_lilT5_lili.step_sizes,@object ; @__const._ZL38rocblas_trsm_small_left_device_sharedBILi16ELi16ELb1E19rocblas_complex_numIfES1_PKS1_PS1_Ev13rocblas_fill_18rocblas_operation_17rocblas_diagonal_iiT3_T4_lilT5_lili.step_sizes
	.p2align	2, 0x0
__const._ZL38rocblas_trsm_small_left_device_sharedBILi16ELi16ELb1E19rocblas_complex_numIfES1_PKS1_PS1_Ev13rocblas_fill_18rocblas_operation_17rocblas_diagonal_iiT3_T4_lilT5_lili.step_sizes:
	.long	16                              ; 0x10
	.long	12                              ; 0xc
	.long	1                               ; 0x1
	.size	__const._ZL38rocblas_trsm_small_left_device_sharedBILi16ELi16ELb1E19rocblas_complex_numIfES1_PKS1_PS1_Ev13rocblas_fill_18rocblas_operation_17rocblas_diagonal_iiT3_T4_lilT5_lili.step_sizes, 12

	.type	__const._ZL30rocblas_trsm_small_left_deviceILi16ELi16ELb1E19rocblas_complex_numIfES1_PKS1_PS1_Ev13rocblas_fill_18rocblas_operation_17rocblas_diagonal_iiT3_T4_lilT5_lili.step_sizes,@object ; @__const._ZL30rocblas_trsm_small_left_deviceILi16ELi16ELb1E19rocblas_complex_numIfES1_PKS1_PS1_Ev13rocblas_fill_18rocblas_operation_17rocblas_diagonal_iiT3_T4_lilT5_lili.step_sizes
	.p2align	2, 0x0
__const._ZL30rocblas_trsm_small_left_deviceILi16ELi16ELb1E19rocblas_complex_numIfES1_PKS1_PS1_Ev13rocblas_fill_18rocblas_operation_17rocblas_diagonal_iiT3_T4_lilT5_lili.step_sizes:
	.long	16                              ; 0x10
	.long	12                              ; 0xc
	.long	1                               ; 0x1
	.size	__const._ZL30rocblas_trsm_small_left_deviceILi16ELi16ELb1E19rocblas_complex_numIfES1_PKS1_PS1_Ev13rocblas_fill_18rocblas_operation_17rocblas_diagonal_iiT3_T4_lilT5_lili.step_sizes, 12

	.type	__const._ZL38rocblas_trsm_small_left_device_sharedBILi20ELi20ELb0E19rocblas_complex_numIfES1_PKS1_PS1_Ev13rocblas_fill_18rocblas_operation_17rocblas_diagonal_iiT3_T4_lilT5_lili.step_sizes,@object ; @__const._ZL38rocblas_trsm_small_left_device_sharedBILi20ELi20ELb0E19rocblas_complex_numIfES1_PKS1_PS1_Ev13rocblas_fill_18rocblas_operation_17rocblas_diagonal_iiT3_T4_lilT5_lili.step_sizes
	.p2align	2, 0x0
__const._ZL38rocblas_trsm_small_left_device_sharedBILi20ELi20ELb0E19rocblas_complex_numIfES1_PKS1_PS1_Ev13rocblas_fill_18rocblas_operation_17rocblas_diagonal_iiT3_T4_lilT5_lili.step_sizes:
	.long	20                              ; 0x14
	.long	16                              ; 0x10
	.long	1                               ; 0x1
	.size	__const._ZL38rocblas_trsm_small_left_device_sharedBILi20ELi20ELb0E19rocblas_complex_numIfES1_PKS1_PS1_Ev13rocblas_fill_18rocblas_operation_17rocblas_diagonal_iiT3_T4_lilT5_lili.step_sizes, 12

	.type	__const._ZL30rocblas_trsm_small_left_deviceILi20ELi20ELb0E19rocblas_complex_numIfES1_PKS1_PS1_Ev13rocblas_fill_18rocblas_operation_17rocblas_diagonal_iiT3_T4_lilT5_lili.step_sizes,@object ; @__const._ZL30rocblas_trsm_small_left_deviceILi20ELi20ELb0E19rocblas_complex_numIfES1_PKS1_PS1_Ev13rocblas_fill_18rocblas_operation_17rocblas_diagonal_iiT3_T4_lilT5_lili.step_sizes
	.p2align	2, 0x0
__const._ZL30rocblas_trsm_small_left_deviceILi20ELi20ELb0E19rocblas_complex_numIfES1_PKS1_PS1_Ev13rocblas_fill_18rocblas_operation_17rocblas_diagonal_iiT3_T4_lilT5_lili.step_sizes:
	.long	20                              ; 0x14
	.long	16                              ; 0x10
	.long	1                               ; 0x1
	.size	__const._ZL30rocblas_trsm_small_left_deviceILi20ELi20ELb0E19rocblas_complex_numIfES1_PKS1_PS1_Ev13rocblas_fill_18rocblas_operation_17rocblas_diagonal_iiT3_T4_lilT5_lili.step_sizes, 12

	.type	__const._ZL38rocblas_trsm_small_left_device_sharedBILi20ELi20ELb1E19rocblas_complex_numIfES1_PKS1_PS1_Ev13rocblas_fill_18rocblas_operation_17rocblas_diagonal_iiT3_T4_lilT5_lili.step_sizes,@object ; @__const._ZL38rocblas_trsm_small_left_device_sharedBILi20ELi20ELb1E19rocblas_complex_numIfES1_PKS1_PS1_Ev13rocblas_fill_18rocblas_operation_17rocblas_diagonal_iiT3_T4_lilT5_lili.step_sizes
	.p2align	2, 0x0
__const._ZL38rocblas_trsm_small_left_device_sharedBILi20ELi20ELb1E19rocblas_complex_numIfES1_PKS1_PS1_Ev13rocblas_fill_18rocblas_operation_17rocblas_diagonal_iiT3_T4_lilT5_lili.step_sizes:
	.long	20                              ; 0x14
	.long	16                              ; 0x10
	.long	1                               ; 0x1
	.size	__const._ZL38rocblas_trsm_small_left_device_sharedBILi20ELi20ELb1E19rocblas_complex_numIfES1_PKS1_PS1_Ev13rocblas_fill_18rocblas_operation_17rocblas_diagonal_iiT3_T4_lilT5_lili.step_sizes, 12

	.type	__const._ZL30rocblas_trsm_small_left_deviceILi20ELi20ELb1E19rocblas_complex_numIfES1_PKS1_PS1_Ev13rocblas_fill_18rocblas_operation_17rocblas_diagonal_iiT3_T4_lilT5_lili.step_sizes,@object ; @__const._ZL30rocblas_trsm_small_left_deviceILi20ELi20ELb1E19rocblas_complex_numIfES1_PKS1_PS1_Ev13rocblas_fill_18rocblas_operation_17rocblas_diagonal_iiT3_T4_lilT5_lili.step_sizes
	.p2align	2, 0x0
__const._ZL30rocblas_trsm_small_left_deviceILi20ELi20ELb1E19rocblas_complex_numIfES1_PKS1_PS1_Ev13rocblas_fill_18rocblas_operation_17rocblas_diagonal_iiT3_T4_lilT5_lili.step_sizes:
	.long	20                              ; 0x14
	.long	16                              ; 0x10
	.long	1                               ; 0x1
	.size	__const._ZL30rocblas_trsm_small_left_deviceILi20ELi20ELb1E19rocblas_complex_numIfES1_PKS1_PS1_Ev13rocblas_fill_18rocblas_operation_17rocblas_diagonal_iiT3_T4_lilT5_lili.step_sizes, 12

	.type	__const._ZL38rocblas_trsm_small_left_device_sharedBILi24ELi24ELb0E19rocblas_complex_numIfES1_PKS1_PS1_Ev13rocblas_fill_18rocblas_operation_17rocblas_diagonal_iiT3_T4_lilT5_lili.step_sizes,@object ; @__const._ZL38rocblas_trsm_small_left_device_sharedBILi24ELi24ELb0E19rocblas_complex_numIfES1_PKS1_PS1_Ev13rocblas_fill_18rocblas_operation_17rocblas_diagonal_iiT3_T4_lilT5_lili.step_sizes
	.p2align	2, 0x0
__const._ZL38rocblas_trsm_small_left_device_sharedBILi24ELi24ELb0E19rocblas_complex_numIfES1_PKS1_PS1_Ev13rocblas_fill_18rocblas_operation_17rocblas_diagonal_iiT3_T4_lilT5_lili.step_sizes:
	.long	24                              ; 0x18
	.long	20                              ; 0x14
	.long	1                               ; 0x1
	.size	__const._ZL38rocblas_trsm_small_left_device_sharedBILi24ELi24ELb0E19rocblas_complex_numIfES1_PKS1_PS1_Ev13rocblas_fill_18rocblas_operation_17rocblas_diagonal_iiT3_T4_lilT5_lili.step_sizes, 12

	.type	__const._ZL30rocblas_trsm_small_left_deviceILi24ELi24ELb0E19rocblas_complex_numIfES1_PKS1_PS1_Ev13rocblas_fill_18rocblas_operation_17rocblas_diagonal_iiT3_T4_lilT5_lili.step_sizes,@object ; @__const._ZL30rocblas_trsm_small_left_deviceILi24ELi24ELb0E19rocblas_complex_numIfES1_PKS1_PS1_Ev13rocblas_fill_18rocblas_operation_17rocblas_diagonal_iiT3_T4_lilT5_lili.step_sizes
	.p2align	2, 0x0
__const._ZL30rocblas_trsm_small_left_deviceILi24ELi24ELb0E19rocblas_complex_numIfES1_PKS1_PS1_Ev13rocblas_fill_18rocblas_operation_17rocblas_diagonal_iiT3_T4_lilT5_lili.step_sizes:
	.long	24                              ; 0x18
	.long	20                              ; 0x14
	.long	1                               ; 0x1
	.size	__const._ZL30rocblas_trsm_small_left_deviceILi24ELi24ELb0E19rocblas_complex_numIfES1_PKS1_PS1_Ev13rocblas_fill_18rocblas_operation_17rocblas_diagonal_iiT3_T4_lilT5_lili.step_sizes, 12

	.type	__const._ZL38rocblas_trsm_small_left_device_sharedBILi24ELi24ELb1E19rocblas_complex_numIfES1_PKS1_PS1_Ev13rocblas_fill_18rocblas_operation_17rocblas_diagonal_iiT3_T4_lilT5_lili.step_sizes,@object ; @__const._ZL38rocblas_trsm_small_left_device_sharedBILi24ELi24ELb1E19rocblas_complex_numIfES1_PKS1_PS1_Ev13rocblas_fill_18rocblas_operation_17rocblas_diagonal_iiT3_T4_lilT5_lili.step_sizes
	.p2align	2, 0x0
__const._ZL38rocblas_trsm_small_left_device_sharedBILi24ELi24ELb1E19rocblas_complex_numIfES1_PKS1_PS1_Ev13rocblas_fill_18rocblas_operation_17rocblas_diagonal_iiT3_T4_lilT5_lili.step_sizes:
	.long	24                              ; 0x18
	.long	20                              ; 0x14
	.long	1                               ; 0x1
	.size	__const._ZL38rocblas_trsm_small_left_device_sharedBILi24ELi24ELb1E19rocblas_complex_numIfES1_PKS1_PS1_Ev13rocblas_fill_18rocblas_operation_17rocblas_diagonal_iiT3_T4_lilT5_lili.step_sizes, 12

	.type	__const._ZL30rocblas_trsm_small_left_deviceILi24ELi24ELb1E19rocblas_complex_numIfES1_PKS1_PS1_Ev13rocblas_fill_18rocblas_operation_17rocblas_diagonal_iiT3_T4_lilT5_lili.step_sizes,@object ; @__const._ZL30rocblas_trsm_small_left_deviceILi24ELi24ELb1E19rocblas_complex_numIfES1_PKS1_PS1_Ev13rocblas_fill_18rocblas_operation_17rocblas_diagonal_iiT3_T4_lilT5_lili.step_sizes
	.p2align	2, 0x0
__const._ZL30rocblas_trsm_small_left_deviceILi24ELi24ELb1E19rocblas_complex_numIfES1_PKS1_PS1_Ev13rocblas_fill_18rocblas_operation_17rocblas_diagonal_iiT3_T4_lilT5_lili.step_sizes:
	.long	24                              ; 0x18
	.long	20                              ; 0x14
	.long	1                               ; 0x1
	.size	__const._ZL30rocblas_trsm_small_left_deviceILi24ELi24ELb1E19rocblas_complex_numIfES1_PKS1_PS1_Ev13rocblas_fill_18rocblas_operation_17rocblas_diagonal_iiT3_T4_lilT5_lili.step_sizes, 12

	.type	__const._ZL38rocblas_trsm_small_left_device_sharedBILi28ELi28ELb0E19rocblas_complex_numIfES1_PKS1_PS1_Ev13rocblas_fill_18rocblas_operation_17rocblas_diagonal_iiT3_T4_lilT5_lili.step_sizes,@object ; @__const._ZL38rocblas_trsm_small_left_device_sharedBILi28ELi28ELb0E19rocblas_complex_numIfES1_PKS1_PS1_Ev13rocblas_fill_18rocblas_operation_17rocblas_diagonal_iiT3_T4_lilT5_lili.step_sizes
	.p2align	2, 0x0
__const._ZL38rocblas_trsm_small_left_device_sharedBILi28ELi28ELb0E19rocblas_complex_numIfES1_PKS1_PS1_Ev13rocblas_fill_18rocblas_operation_17rocblas_diagonal_iiT3_T4_lilT5_lili.step_sizes:
	.long	28                              ; 0x1c
	.long	24                              ; 0x18
	.long	1                               ; 0x1
	.size	__const._ZL38rocblas_trsm_small_left_device_sharedBILi28ELi28ELb0E19rocblas_complex_numIfES1_PKS1_PS1_Ev13rocblas_fill_18rocblas_operation_17rocblas_diagonal_iiT3_T4_lilT5_lili.step_sizes, 12

	.type	__const._ZL30rocblas_trsm_small_left_deviceILi28ELi28ELb0E19rocblas_complex_numIfES1_PKS1_PS1_Ev13rocblas_fill_18rocblas_operation_17rocblas_diagonal_iiT3_T4_lilT5_lili.step_sizes,@object ; @__const._ZL30rocblas_trsm_small_left_deviceILi28ELi28ELb0E19rocblas_complex_numIfES1_PKS1_PS1_Ev13rocblas_fill_18rocblas_operation_17rocblas_diagonal_iiT3_T4_lilT5_lili.step_sizes
	.p2align	2, 0x0
__const._ZL30rocblas_trsm_small_left_deviceILi28ELi28ELb0E19rocblas_complex_numIfES1_PKS1_PS1_Ev13rocblas_fill_18rocblas_operation_17rocblas_diagonal_iiT3_T4_lilT5_lili.step_sizes:
	.long	28                              ; 0x1c
	.long	24                              ; 0x18
	.long	1                               ; 0x1
	.size	__const._ZL30rocblas_trsm_small_left_deviceILi28ELi28ELb0E19rocblas_complex_numIfES1_PKS1_PS1_Ev13rocblas_fill_18rocblas_operation_17rocblas_diagonal_iiT3_T4_lilT5_lili.step_sizes, 12

	.type	__const._ZL38rocblas_trsm_small_left_device_sharedBILi28ELi28ELb1E19rocblas_complex_numIfES1_PKS1_PS1_Ev13rocblas_fill_18rocblas_operation_17rocblas_diagonal_iiT3_T4_lilT5_lili.step_sizes,@object ; @__const._ZL38rocblas_trsm_small_left_device_sharedBILi28ELi28ELb1E19rocblas_complex_numIfES1_PKS1_PS1_Ev13rocblas_fill_18rocblas_operation_17rocblas_diagonal_iiT3_T4_lilT5_lili.step_sizes
	.p2align	2, 0x0
__const._ZL38rocblas_trsm_small_left_device_sharedBILi28ELi28ELb1E19rocblas_complex_numIfES1_PKS1_PS1_Ev13rocblas_fill_18rocblas_operation_17rocblas_diagonal_iiT3_T4_lilT5_lili.step_sizes:
	.long	28                              ; 0x1c
	.long	24                              ; 0x18
	.long	1                               ; 0x1
	.size	__const._ZL38rocblas_trsm_small_left_device_sharedBILi28ELi28ELb1E19rocblas_complex_numIfES1_PKS1_PS1_Ev13rocblas_fill_18rocblas_operation_17rocblas_diagonal_iiT3_T4_lilT5_lili.step_sizes, 12

	.type	__const._ZL30rocblas_trsm_small_left_deviceILi28ELi28ELb1E19rocblas_complex_numIfES1_PKS1_PS1_Ev13rocblas_fill_18rocblas_operation_17rocblas_diagonal_iiT3_T4_lilT5_lili.step_sizes,@object ; @__const._ZL30rocblas_trsm_small_left_deviceILi28ELi28ELb1E19rocblas_complex_numIfES1_PKS1_PS1_Ev13rocblas_fill_18rocblas_operation_17rocblas_diagonal_iiT3_T4_lilT5_lili.step_sizes
	.p2align	2, 0x0
__const._ZL30rocblas_trsm_small_left_deviceILi28ELi28ELb1E19rocblas_complex_numIfES1_PKS1_PS1_Ev13rocblas_fill_18rocblas_operation_17rocblas_diagonal_iiT3_T4_lilT5_lili.step_sizes:
	.long	28                              ; 0x1c
	.long	24                              ; 0x18
	.long	1                               ; 0x1
	.size	__const._ZL30rocblas_trsm_small_left_deviceILi28ELi28ELb1E19rocblas_complex_numIfES1_PKS1_PS1_Ev13rocblas_fill_18rocblas_operation_17rocblas_diagonal_iiT3_T4_lilT5_lili.step_sizes, 12

	.type	__const._ZL38rocblas_trsm_small_left_device_sharedBILi32ELi32ELb0E19rocblas_complex_numIfES1_PKS1_PS1_Ev13rocblas_fill_18rocblas_operation_17rocblas_diagonal_iiT3_T4_lilT5_lili.step_sizes,@object ; @__const._ZL38rocblas_trsm_small_left_device_sharedBILi32ELi32ELb0E19rocblas_complex_numIfES1_PKS1_PS1_Ev13rocblas_fill_18rocblas_operation_17rocblas_diagonal_iiT3_T4_lilT5_lili.step_sizes
	.p2align	2, 0x0
__const._ZL38rocblas_trsm_small_left_device_sharedBILi32ELi32ELb0E19rocblas_complex_numIfES1_PKS1_PS1_Ev13rocblas_fill_18rocblas_operation_17rocblas_diagonal_iiT3_T4_lilT5_lili.step_sizes:
	.long	32                              ; 0x20
	.long	28                              ; 0x1c
	.long	1                               ; 0x1
	.size	__const._ZL38rocblas_trsm_small_left_device_sharedBILi32ELi32ELb0E19rocblas_complex_numIfES1_PKS1_PS1_Ev13rocblas_fill_18rocblas_operation_17rocblas_diagonal_iiT3_T4_lilT5_lili.step_sizes, 12

	.type	__const._ZL30rocblas_trsm_small_left_deviceILi32ELi32ELb0E19rocblas_complex_numIfES1_PKS1_PS1_Ev13rocblas_fill_18rocblas_operation_17rocblas_diagonal_iiT3_T4_lilT5_lili.step_sizes,@object ; @__const._ZL30rocblas_trsm_small_left_deviceILi32ELi32ELb0E19rocblas_complex_numIfES1_PKS1_PS1_Ev13rocblas_fill_18rocblas_operation_17rocblas_diagonal_iiT3_T4_lilT5_lili.step_sizes
	.p2align	2, 0x0
__const._ZL30rocblas_trsm_small_left_deviceILi32ELi32ELb0E19rocblas_complex_numIfES1_PKS1_PS1_Ev13rocblas_fill_18rocblas_operation_17rocblas_diagonal_iiT3_T4_lilT5_lili.step_sizes:
	.long	32                              ; 0x20
	.long	28                              ; 0x1c
	.long	1                               ; 0x1
	.size	__const._ZL30rocblas_trsm_small_left_deviceILi32ELi32ELb0E19rocblas_complex_numIfES1_PKS1_PS1_Ev13rocblas_fill_18rocblas_operation_17rocblas_diagonal_iiT3_T4_lilT5_lili.step_sizes, 12

	.type	__const._ZL38rocblas_trsm_small_left_device_sharedBILi32ELi32ELb1E19rocblas_complex_numIfES1_PKS1_PS1_Ev13rocblas_fill_18rocblas_operation_17rocblas_diagonal_iiT3_T4_lilT5_lili.step_sizes,@object ; @__const._ZL38rocblas_trsm_small_left_device_sharedBILi32ELi32ELb1E19rocblas_complex_numIfES1_PKS1_PS1_Ev13rocblas_fill_18rocblas_operation_17rocblas_diagonal_iiT3_T4_lilT5_lili.step_sizes
	.p2align	2, 0x0
__const._ZL38rocblas_trsm_small_left_device_sharedBILi32ELi32ELb1E19rocblas_complex_numIfES1_PKS1_PS1_Ev13rocblas_fill_18rocblas_operation_17rocblas_diagonal_iiT3_T4_lilT5_lili.step_sizes:
	.long	32                              ; 0x20
	.long	28                              ; 0x1c
	.long	1                               ; 0x1
	.size	__const._ZL38rocblas_trsm_small_left_device_sharedBILi32ELi32ELb1E19rocblas_complex_numIfES1_PKS1_PS1_Ev13rocblas_fill_18rocblas_operation_17rocblas_diagonal_iiT3_T4_lilT5_lili.step_sizes, 12

	.type	__const._ZL30rocblas_trsm_small_left_deviceILi32ELi32ELb1E19rocblas_complex_numIfES1_PKS1_PS1_Ev13rocblas_fill_18rocblas_operation_17rocblas_diagonal_iiT3_T4_lilT5_lili.step_sizes,@object ; @__const._ZL30rocblas_trsm_small_left_deviceILi32ELi32ELb1E19rocblas_complex_numIfES1_PKS1_PS1_Ev13rocblas_fill_18rocblas_operation_17rocblas_diagonal_iiT3_T4_lilT5_lili.step_sizes
	.p2align	2, 0x0
__const._ZL30rocblas_trsm_small_left_deviceILi32ELi32ELb1E19rocblas_complex_numIfES1_PKS1_PS1_Ev13rocblas_fill_18rocblas_operation_17rocblas_diagonal_iiT3_T4_lilT5_lili.step_sizes:
	.long	32                              ; 0x20
	.long	28                              ; 0x1c
	.long	1                               ; 0x1
	.size	__const._ZL30rocblas_trsm_small_left_deviceILi32ELi32ELb1E19rocblas_complex_numIfES1_PKS1_PS1_Ev13rocblas_fill_18rocblas_operation_17rocblas_diagonal_iiT3_T4_lilT5_lili.step_sizes, 12

	.type	__const._ZL38rocblas_trsm_small_left_device_sharedBILi64ELi32ELb0E19rocblas_complex_numIfES1_PKS1_PS1_Ev13rocblas_fill_18rocblas_operation_17rocblas_diagonal_iiT3_T4_lilT5_lili.step_sizes,@object ; @__const._ZL38rocblas_trsm_small_left_device_sharedBILi64ELi32ELb0E19rocblas_complex_numIfES1_PKS1_PS1_Ev13rocblas_fill_18rocblas_operation_17rocblas_diagonal_iiT3_T4_lilT5_lili.step_sizes
	.p2align	2, 0x0
__const._ZL38rocblas_trsm_small_left_device_sharedBILi64ELi32ELb0E19rocblas_complex_numIfES1_PKS1_PS1_Ev13rocblas_fill_18rocblas_operation_17rocblas_diagonal_iiT3_T4_lilT5_lili.step_sizes:
	.long	32                              ; 0x20
	.long	4                               ; 0x4
	.long	1                               ; 0x1
	.size	__const._ZL38rocblas_trsm_small_left_device_sharedBILi64ELi32ELb0E19rocblas_complex_numIfES1_PKS1_PS1_Ev13rocblas_fill_18rocblas_operation_17rocblas_diagonal_iiT3_T4_lilT5_lili.step_sizes, 12

	.type	__const._ZL30rocblas_trsm_small_left_deviceILi64ELi32ELb0E19rocblas_complex_numIfES1_PKS1_PS1_Ev13rocblas_fill_18rocblas_operation_17rocblas_diagonal_iiT3_T4_lilT5_lili.step_sizes,@object ; @__const._ZL30rocblas_trsm_small_left_deviceILi64ELi32ELb0E19rocblas_complex_numIfES1_PKS1_PS1_Ev13rocblas_fill_18rocblas_operation_17rocblas_diagonal_iiT3_T4_lilT5_lili.step_sizes
	.p2align	2, 0x0
__const._ZL30rocblas_trsm_small_left_deviceILi64ELi32ELb0E19rocblas_complex_numIfES1_PKS1_PS1_Ev13rocblas_fill_18rocblas_operation_17rocblas_diagonal_iiT3_T4_lilT5_lili.step_sizes:
	.long	32                              ; 0x20
	.long	4                               ; 0x4
	.long	1                               ; 0x1
	.size	__const._ZL30rocblas_trsm_small_left_deviceILi64ELi32ELb0E19rocblas_complex_numIfES1_PKS1_PS1_Ev13rocblas_fill_18rocblas_operation_17rocblas_diagonal_iiT3_T4_lilT5_lili.step_sizes, 12

	.type	__const._ZL38rocblas_trsm_small_left_device_sharedBILi64ELi32ELb1E19rocblas_complex_numIfES1_PKS1_PS1_Ev13rocblas_fill_18rocblas_operation_17rocblas_diagonal_iiT3_T4_lilT5_lili.step_sizes,@object ; @__const._ZL38rocblas_trsm_small_left_device_sharedBILi64ELi32ELb1E19rocblas_complex_numIfES1_PKS1_PS1_Ev13rocblas_fill_18rocblas_operation_17rocblas_diagonal_iiT3_T4_lilT5_lili.step_sizes
	.p2align	2, 0x0
__const._ZL38rocblas_trsm_small_left_device_sharedBILi64ELi32ELb1E19rocblas_complex_numIfES1_PKS1_PS1_Ev13rocblas_fill_18rocblas_operation_17rocblas_diagonal_iiT3_T4_lilT5_lili.step_sizes:
	.long	32                              ; 0x20
	.long	4                               ; 0x4
	.long	1                               ; 0x1
	.size	__const._ZL38rocblas_trsm_small_left_device_sharedBILi64ELi32ELb1E19rocblas_complex_numIfES1_PKS1_PS1_Ev13rocblas_fill_18rocblas_operation_17rocblas_diagonal_iiT3_T4_lilT5_lili.step_sizes, 12

	.type	__const._ZL30rocblas_trsm_small_left_deviceILi64ELi32ELb1E19rocblas_complex_numIfES1_PKS1_PS1_Ev13rocblas_fill_18rocblas_operation_17rocblas_diagonal_iiT3_T4_lilT5_lili.step_sizes,@object ; @__const._ZL30rocblas_trsm_small_left_deviceILi64ELi32ELb1E19rocblas_complex_numIfES1_PKS1_PS1_Ev13rocblas_fill_18rocblas_operation_17rocblas_diagonal_iiT3_T4_lilT5_lili.step_sizes
	.p2align	2, 0x0
__const._ZL30rocblas_trsm_small_left_deviceILi64ELi32ELb1E19rocblas_complex_numIfES1_PKS1_PS1_Ev13rocblas_fill_18rocblas_operation_17rocblas_diagonal_iiT3_T4_lilT5_lili.step_sizes:
	.long	32                              ; 0x20
	.long	4                               ; 0x4
	.long	1                               ; 0x1
	.size	__const._ZL30rocblas_trsm_small_left_deviceILi64ELi32ELb1E19rocblas_complex_numIfES1_PKS1_PS1_Ev13rocblas_fill_18rocblas_operation_17rocblas_diagonal_iiT3_T4_lilT5_lili.step_sizes, 12

	.type	__const._ZL38rocblas_trsm_small_left_device_sharedBILi4ELi4ELb0E19rocblas_complex_numIdES1_PKS1_PS1_Ev13rocblas_fill_18rocblas_operation_17rocblas_diagonal_iiT3_T4_lilT5_lili.step_sizes,@object ; @__const._ZL38rocblas_trsm_small_left_device_sharedBILi4ELi4ELb0E19rocblas_complex_numIdES1_PKS1_PS1_Ev13rocblas_fill_18rocblas_operation_17rocblas_diagonal_iiT3_T4_lilT5_lili.step_sizes
	.p2align	2, 0x0
__const._ZL38rocblas_trsm_small_left_device_sharedBILi4ELi4ELb0E19rocblas_complex_numIdES1_PKS1_PS1_Ev13rocblas_fill_18rocblas_operation_17rocblas_diagonal_iiT3_T4_lilT5_lili.step_sizes:
	.long	4                               ; 0x4
	.long	1                               ; 0x1
	;; [unrolled: 1-line block ×3, first 2 shown]
	.size	__const._ZL38rocblas_trsm_small_left_device_sharedBILi4ELi4ELb0E19rocblas_complex_numIdES1_PKS1_PS1_Ev13rocblas_fill_18rocblas_operation_17rocblas_diagonal_iiT3_T4_lilT5_lili.step_sizes, 12

	.type	__const._ZL30rocblas_trsm_small_left_deviceILi4ELi4ELb0E19rocblas_complex_numIdES1_PKS1_PS1_Ev13rocblas_fill_18rocblas_operation_17rocblas_diagonal_iiT3_T4_lilT5_lili.step_sizes,@object ; @__const._ZL30rocblas_trsm_small_left_deviceILi4ELi4ELb0E19rocblas_complex_numIdES1_PKS1_PS1_Ev13rocblas_fill_18rocblas_operation_17rocblas_diagonal_iiT3_T4_lilT5_lili.step_sizes
	.p2align	2, 0x0
__const._ZL30rocblas_trsm_small_left_deviceILi4ELi4ELb0E19rocblas_complex_numIdES1_PKS1_PS1_Ev13rocblas_fill_18rocblas_operation_17rocblas_diagonal_iiT3_T4_lilT5_lili.step_sizes:
	.long	4                               ; 0x4
	.long	1                               ; 0x1
	;; [unrolled: 1-line block ×3, first 2 shown]
	.size	__const._ZL30rocblas_trsm_small_left_deviceILi4ELi4ELb0E19rocblas_complex_numIdES1_PKS1_PS1_Ev13rocblas_fill_18rocblas_operation_17rocblas_diagonal_iiT3_T4_lilT5_lili.step_sizes, 12

	.type	__const._ZL38rocblas_trsm_small_left_device_sharedBILi4ELi4ELb1E19rocblas_complex_numIdES1_PKS1_PS1_Ev13rocblas_fill_18rocblas_operation_17rocblas_diagonal_iiT3_T4_lilT5_lili.step_sizes,@object ; @__const._ZL38rocblas_trsm_small_left_device_sharedBILi4ELi4ELb1E19rocblas_complex_numIdES1_PKS1_PS1_Ev13rocblas_fill_18rocblas_operation_17rocblas_diagonal_iiT3_T4_lilT5_lili.step_sizes
	.p2align	2, 0x0
__const._ZL38rocblas_trsm_small_left_device_sharedBILi4ELi4ELb1E19rocblas_complex_numIdES1_PKS1_PS1_Ev13rocblas_fill_18rocblas_operation_17rocblas_diagonal_iiT3_T4_lilT5_lili.step_sizes:
	.long	4                               ; 0x4
	.long	1                               ; 0x1
	;; [unrolled: 1-line block ×3, first 2 shown]
	.size	__const._ZL38rocblas_trsm_small_left_device_sharedBILi4ELi4ELb1E19rocblas_complex_numIdES1_PKS1_PS1_Ev13rocblas_fill_18rocblas_operation_17rocblas_diagonal_iiT3_T4_lilT5_lili.step_sizes, 12

	.type	__const._ZL30rocblas_trsm_small_left_deviceILi4ELi4ELb1E19rocblas_complex_numIdES1_PKS1_PS1_Ev13rocblas_fill_18rocblas_operation_17rocblas_diagonal_iiT3_T4_lilT5_lili.step_sizes,@object ; @__const._ZL30rocblas_trsm_small_left_deviceILi4ELi4ELb1E19rocblas_complex_numIdES1_PKS1_PS1_Ev13rocblas_fill_18rocblas_operation_17rocblas_diagonal_iiT3_T4_lilT5_lili.step_sizes
	.p2align	2, 0x0
__const._ZL30rocblas_trsm_small_left_deviceILi4ELi4ELb1E19rocblas_complex_numIdES1_PKS1_PS1_Ev13rocblas_fill_18rocblas_operation_17rocblas_diagonal_iiT3_T4_lilT5_lili.step_sizes:
	.long	4                               ; 0x4
	.long	1                               ; 0x1
	;; [unrolled: 1-line block ×3, first 2 shown]
	.size	__const._ZL30rocblas_trsm_small_left_deviceILi4ELi4ELb1E19rocblas_complex_numIdES1_PKS1_PS1_Ev13rocblas_fill_18rocblas_operation_17rocblas_diagonal_iiT3_T4_lilT5_lili.step_sizes, 12

	.type	__const._ZL38rocblas_trsm_small_left_device_sharedBILi8ELi8ELb0E19rocblas_complex_numIdES1_PKS1_PS1_Ev13rocblas_fill_18rocblas_operation_17rocblas_diagonal_iiT3_T4_lilT5_lili.step_sizes,@object ; @__const._ZL38rocblas_trsm_small_left_device_sharedBILi8ELi8ELb0E19rocblas_complex_numIdES1_PKS1_PS1_Ev13rocblas_fill_18rocblas_operation_17rocblas_diagonal_iiT3_T4_lilT5_lili.step_sizes
	.p2align	2, 0x0
__const._ZL38rocblas_trsm_small_left_device_sharedBILi8ELi8ELb0E19rocblas_complex_numIdES1_PKS1_PS1_Ev13rocblas_fill_18rocblas_operation_17rocblas_diagonal_iiT3_T4_lilT5_lili.step_sizes:
	.long	8                               ; 0x8
	.long	4                               ; 0x4
	;; [unrolled: 1-line block ×3, first 2 shown]
	.size	__const._ZL38rocblas_trsm_small_left_device_sharedBILi8ELi8ELb0E19rocblas_complex_numIdES1_PKS1_PS1_Ev13rocblas_fill_18rocblas_operation_17rocblas_diagonal_iiT3_T4_lilT5_lili.step_sizes, 12

	.type	__const._ZL30rocblas_trsm_small_left_deviceILi8ELi8ELb0E19rocblas_complex_numIdES1_PKS1_PS1_Ev13rocblas_fill_18rocblas_operation_17rocblas_diagonal_iiT3_T4_lilT5_lili.step_sizes,@object ; @__const._ZL30rocblas_trsm_small_left_deviceILi8ELi8ELb0E19rocblas_complex_numIdES1_PKS1_PS1_Ev13rocblas_fill_18rocblas_operation_17rocblas_diagonal_iiT3_T4_lilT5_lili.step_sizes
	.p2align	2, 0x0
__const._ZL30rocblas_trsm_small_left_deviceILi8ELi8ELb0E19rocblas_complex_numIdES1_PKS1_PS1_Ev13rocblas_fill_18rocblas_operation_17rocblas_diagonal_iiT3_T4_lilT5_lili.step_sizes:
	.long	8                               ; 0x8
	.long	4                               ; 0x4
	;; [unrolled: 1-line block ×3, first 2 shown]
	.size	__const._ZL30rocblas_trsm_small_left_deviceILi8ELi8ELb0E19rocblas_complex_numIdES1_PKS1_PS1_Ev13rocblas_fill_18rocblas_operation_17rocblas_diagonal_iiT3_T4_lilT5_lili.step_sizes, 12

	.type	__const._ZL38rocblas_trsm_small_left_device_sharedBILi8ELi8ELb1E19rocblas_complex_numIdES1_PKS1_PS1_Ev13rocblas_fill_18rocblas_operation_17rocblas_diagonal_iiT3_T4_lilT5_lili.step_sizes,@object ; @__const._ZL38rocblas_trsm_small_left_device_sharedBILi8ELi8ELb1E19rocblas_complex_numIdES1_PKS1_PS1_Ev13rocblas_fill_18rocblas_operation_17rocblas_diagonal_iiT3_T4_lilT5_lili.step_sizes
	.p2align	2, 0x0
__const._ZL38rocblas_trsm_small_left_device_sharedBILi8ELi8ELb1E19rocblas_complex_numIdES1_PKS1_PS1_Ev13rocblas_fill_18rocblas_operation_17rocblas_diagonal_iiT3_T4_lilT5_lili.step_sizes:
	.long	8                               ; 0x8
	.long	4                               ; 0x4
	;; [unrolled: 1-line block ×3, first 2 shown]
	.size	__const._ZL38rocblas_trsm_small_left_device_sharedBILi8ELi8ELb1E19rocblas_complex_numIdES1_PKS1_PS1_Ev13rocblas_fill_18rocblas_operation_17rocblas_diagonal_iiT3_T4_lilT5_lili.step_sizes, 12

	.type	__const._ZL30rocblas_trsm_small_left_deviceILi8ELi8ELb1E19rocblas_complex_numIdES1_PKS1_PS1_Ev13rocblas_fill_18rocblas_operation_17rocblas_diagonal_iiT3_T4_lilT5_lili.step_sizes,@object ; @__const._ZL30rocblas_trsm_small_left_deviceILi8ELi8ELb1E19rocblas_complex_numIdES1_PKS1_PS1_Ev13rocblas_fill_18rocblas_operation_17rocblas_diagonal_iiT3_T4_lilT5_lili.step_sizes
	.p2align	2, 0x0
__const._ZL30rocblas_trsm_small_left_deviceILi8ELi8ELb1E19rocblas_complex_numIdES1_PKS1_PS1_Ev13rocblas_fill_18rocblas_operation_17rocblas_diagonal_iiT3_T4_lilT5_lili.step_sizes:
	.long	8                               ; 0x8
	.long	4                               ; 0x4
	;; [unrolled: 1-line block ×3, first 2 shown]
	.size	__const._ZL30rocblas_trsm_small_left_deviceILi8ELi8ELb1E19rocblas_complex_numIdES1_PKS1_PS1_Ev13rocblas_fill_18rocblas_operation_17rocblas_diagonal_iiT3_T4_lilT5_lili.step_sizes, 12

	.type	__const._ZL38rocblas_trsm_small_left_device_sharedBILi12ELi12ELb0E19rocblas_complex_numIdES1_PKS1_PS1_Ev13rocblas_fill_18rocblas_operation_17rocblas_diagonal_iiT3_T4_lilT5_lili.step_sizes,@object ; @__const._ZL38rocblas_trsm_small_left_device_sharedBILi12ELi12ELb0E19rocblas_complex_numIdES1_PKS1_PS1_Ev13rocblas_fill_18rocblas_operation_17rocblas_diagonal_iiT3_T4_lilT5_lili.step_sizes
	.p2align	2, 0x0
__const._ZL38rocblas_trsm_small_left_device_sharedBILi12ELi12ELb0E19rocblas_complex_numIdES1_PKS1_PS1_Ev13rocblas_fill_18rocblas_operation_17rocblas_diagonal_iiT3_T4_lilT5_lili.step_sizes:
	.long	12                              ; 0xc
	.long	8                               ; 0x8
	.long	1                               ; 0x1
	.size	__const._ZL38rocblas_trsm_small_left_device_sharedBILi12ELi12ELb0E19rocblas_complex_numIdES1_PKS1_PS1_Ev13rocblas_fill_18rocblas_operation_17rocblas_diagonal_iiT3_T4_lilT5_lili.step_sizes, 12

	.type	__const._ZL30rocblas_trsm_small_left_deviceILi12ELi12ELb0E19rocblas_complex_numIdES1_PKS1_PS1_Ev13rocblas_fill_18rocblas_operation_17rocblas_diagonal_iiT3_T4_lilT5_lili.step_sizes,@object ; @__const._ZL30rocblas_trsm_small_left_deviceILi12ELi12ELb0E19rocblas_complex_numIdES1_PKS1_PS1_Ev13rocblas_fill_18rocblas_operation_17rocblas_diagonal_iiT3_T4_lilT5_lili.step_sizes
	.p2align	2, 0x0
__const._ZL30rocblas_trsm_small_left_deviceILi12ELi12ELb0E19rocblas_complex_numIdES1_PKS1_PS1_Ev13rocblas_fill_18rocblas_operation_17rocblas_diagonal_iiT3_T4_lilT5_lili.step_sizes:
	.long	12                              ; 0xc
	.long	8                               ; 0x8
	.long	1                               ; 0x1
	.size	__const._ZL30rocblas_trsm_small_left_deviceILi12ELi12ELb0E19rocblas_complex_numIdES1_PKS1_PS1_Ev13rocblas_fill_18rocblas_operation_17rocblas_diagonal_iiT3_T4_lilT5_lili.step_sizes, 12

	.type	__const._ZL38rocblas_trsm_small_left_device_sharedBILi12ELi12ELb1E19rocblas_complex_numIdES1_PKS1_PS1_Ev13rocblas_fill_18rocblas_operation_17rocblas_diagonal_iiT3_T4_lilT5_lili.step_sizes,@object ; @__const._ZL38rocblas_trsm_small_left_device_sharedBILi12ELi12ELb1E19rocblas_complex_numIdES1_PKS1_PS1_Ev13rocblas_fill_18rocblas_operation_17rocblas_diagonal_iiT3_T4_lilT5_lili.step_sizes
	.p2align	2, 0x0
__const._ZL38rocblas_trsm_small_left_device_sharedBILi12ELi12ELb1E19rocblas_complex_numIdES1_PKS1_PS1_Ev13rocblas_fill_18rocblas_operation_17rocblas_diagonal_iiT3_T4_lilT5_lili.step_sizes:
	.long	12                              ; 0xc
	.long	8                               ; 0x8
	.long	1                               ; 0x1
	.size	__const._ZL38rocblas_trsm_small_left_device_sharedBILi12ELi12ELb1E19rocblas_complex_numIdES1_PKS1_PS1_Ev13rocblas_fill_18rocblas_operation_17rocblas_diagonal_iiT3_T4_lilT5_lili.step_sizes, 12

	.type	__const._ZL30rocblas_trsm_small_left_deviceILi12ELi12ELb1E19rocblas_complex_numIdES1_PKS1_PS1_Ev13rocblas_fill_18rocblas_operation_17rocblas_diagonal_iiT3_T4_lilT5_lili.step_sizes,@object ; @__const._ZL30rocblas_trsm_small_left_deviceILi12ELi12ELb1E19rocblas_complex_numIdES1_PKS1_PS1_Ev13rocblas_fill_18rocblas_operation_17rocblas_diagonal_iiT3_T4_lilT5_lili.step_sizes
	.p2align	2, 0x0
__const._ZL30rocblas_trsm_small_left_deviceILi12ELi12ELb1E19rocblas_complex_numIdES1_PKS1_PS1_Ev13rocblas_fill_18rocblas_operation_17rocblas_diagonal_iiT3_T4_lilT5_lili.step_sizes:
	.long	12                              ; 0xc
	.long	8                               ; 0x8
	.long	1                               ; 0x1
	.size	__const._ZL30rocblas_trsm_small_left_deviceILi12ELi12ELb1E19rocblas_complex_numIdES1_PKS1_PS1_Ev13rocblas_fill_18rocblas_operation_17rocblas_diagonal_iiT3_T4_lilT5_lili.step_sizes, 12

	.type	__const._ZL38rocblas_trsm_small_left_device_sharedBILi16ELi16ELb0E19rocblas_complex_numIdES1_PKS1_PS1_Ev13rocblas_fill_18rocblas_operation_17rocblas_diagonal_iiT3_T4_lilT5_lili.step_sizes,@object ; @__const._ZL38rocblas_trsm_small_left_device_sharedBILi16ELi16ELb0E19rocblas_complex_numIdES1_PKS1_PS1_Ev13rocblas_fill_18rocblas_operation_17rocblas_diagonal_iiT3_T4_lilT5_lili.step_sizes
	.p2align	2, 0x0
__const._ZL38rocblas_trsm_small_left_device_sharedBILi16ELi16ELb0E19rocblas_complex_numIdES1_PKS1_PS1_Ev13rocblas_fill_18rocblas_operation_17rocblas_diagonal_iiT3_T4_lilT5_lili.step_sizes:
	.long	16                              ; 0x10
	.long	12                              ; 0xc
	.long	1                               ; 0x1
	.size	__const._ZL38rocblas_trsm_small_left_device_sharedBILi16ELi16ELb0E19rocblas_complex_numIdES1_PKS1_PS1_Ev13rocblas_fill_18rocblas_operation_17rocblas_diagonal_iiT3_T4_lilT5_lili.step_sizes, 12

	.type	__const._ZL30rocblas_trsm_small_left_deviceILi16ELi16ELb0E19rocblas_complex_numIdES1_PKS1_PS1_Ev13rocblas_fill_18rocblas_operation_17rocblas_diagonal_iiT3_T4_lilT5_lili.step_sizes,@object ; @__const._ZL30rocblas_trsm_small_left_deviceILi16ELi16ELb0E19rocblas_complex_numIdES1_PKS1_PS1_Ev13rocblas_fill_18rocblas_operation_17rocblas_diagonal_iiT3_T4_lilT5_lili.step_sizes
	.p2align	2, 0x0
__const._ZL30rocblas_trsm_small_left_deviceILi16ELi16ELb0E19rocblas_complex_numIdES1_PKS1_PS1_Ev13rocblas_fill_18rocblas_operation_17rocblas_diagonal_iiT3_T4_lilT5_lili.step_sizes:
	.long	16                              ; 0x10
	.long	12                              ; 0xc
	.long	1                               ; 0x1
	.size	__const._ZL30rocblas_trsm_small_left_deviceILi16ELi16ELb0E19rocblas_complex_numIdES1_PKS1_PS1_Ev13rocblas_fill_18rocblas_operation_17rocblas_diagonal_iiT3_T4_lilT5_lili.step_sizes, 12

	.type	__const._ZL38rocblas_trsm_small_left_device_sharedBILi16ELi16ELb1E19rocblas_complex_numIdES1_PKS1_PS1_Ev13rocblas_fill_18rocblas_operation_17rocblas_diagonal_iiT3_T4_lilT5_lili.step_sizes,@object ; @__const._ZL38rocblas_trsm_small_left_device_sharedBILi16ELi16ELb1E19rocblas_complex_numIdES1_PKS1_PS1_Ev13rocblas_fill_18rocblas_operation_17rocblas_diagonal_iiT3_T4_lilT5_lili.step_sizes
	.p2align	2, 0x0
__const._ZL38rocblas_trsm_small_left_device_sharedBILi16ELi16ELb1E19rocblas_complex_numIdES1_PKS1_PS1_Ev13rocblas_fill_18rocblas_operation_17rocblas_diagonal_iiT3_T4_lilT5_lili.step_sizes:
	.long	16                              ; 0x10
	.long	12                              ; 0xc
	.long	1                               ; 0x1
	.size	__const._ZL38rocblas_trsm_small_left_device_sharedBILi16ELi16ELb1E19rocblas_complex_numIdES1_PKS1_PS1_Ev13rocblas_fill_18rocblas_operation_17rocblas_diagonal_iiT3_T4_lilT5_lili.step_sizes, 12

	.type	__const._ZL30rocblas_trsm_small_left_deviceILi16ELi16ELb1E19rocblas_complex_numIdES1_PKS1_PS1_Ev13rocblas_fill_18rocblas_operation_17rocblas_diagonal_iiT3_T4_lilT5_lili.step_sizes,@object ; @__const._ZL30rocblas_trsm_small_left_deviceILi16ELi16ELb1E19rocblas_complex_numIdES1_PKS1_PS1_Ev13rocblas_fill_18rocblas_operation_17rocblas_diagonal_iiT3_T4_lilT5_lili.step_sizes
	.p2align	2, 0x0
__const._ZL30rocblas_trsm_small_left_deviceILi16ELi16ELb1E19rocblas_complex_numIdES1_PKS1_PS1_Ev13rocblas_fill_18rocblas_operation_17rocblas_diagonal_iiT3_T4_lilT5_lili.step_sizes:
	.long	16                              ; 0x10
	.long	12                              ; 0xc
	.long	1                               ; 0x1
	.size	__const._ZL30rocblas_trsm_small_left_deviceILi16ELi16ELb1E19rocblas_complex_numIdES1_PKS1_PS1_Ev13rocblas_fill_18rocblas_operation_17rocblas_diagonal_iiT3_T4_lilT5_lili.step_sizes, 12

	.type	__const._ZL38rocblas_trsm_small_left_device_sharedBILi20ELi20ELb0E19rocblas_complex_numIdES1_PKS1_PS1_Ev13rocblas_fill_18rocblas_operation_17rocblas_diagonal_iiT3_T4_lilT5_lili.step_sizes,@object ; @__const._ZL38rocblas_trsm_small_left_device_sharedBILi20ELi20ELb0E19rocblas_complex_numIdES1_PKS1_PS1_Ev13rocblas_fill_18rocblas_operation_17rocblas_diagonal_iiT3_T4_lilT5_lili.step_sizes
	.p2align	2, 0x0
__const._ZL38rocblas_trsm_small_left_device_sharedBILi20ELi20ELb0E19rocblas_complex_numIdES1_PKS1_PS1_Ev13rocblas_fill_18rocblas_operation_17rocblas_diagonal_iiT3_T4_lilT5_lili.step_sizes:
	.long	20                              ; 0x14
	.long	16                              ; 0x10
	.long	1                               ; 0x1
	.size	__const._ZL38rocblas_trsm_small_left_device_sharedBILi20ELi20ELb0E19rocblas_complex_numIdES1_PKS1_PS1_Ev13rocblas_fill_18rocblas_operation_17rocblas_diagonal_iiT3_T4_lilT5_lili.step_sizes, 12

	.type	__const._ZL30rocblas_trsm_small_left_deviceILi20ELi20ELb0E19rocblas_complex_numIdES1_PKS1_PS1_Ev13rocblas_fill_18rocblas_operation_17rocblas_diagonal_iiT3_T4_lilT5_lili.step_sizes,@object ; @__const._ZL30rocblas_trsm_small_left_deviceILi20ELi20ELb0E19rocblas_complex_numIdES1_PKS1_PS1_Ev13rocblas_fill_18rocblas_operation_17rocblas_diagonal_iiT3_T4_lilT5_lili.step_sizes
	.p2align	2, 0x0
__const._ZL30rocblas_trsm_small_left_deviceILi20ELi20ELb0E19rocblas_complex_numIdES1_PKS1_PS1_Ev13rocblas_fill_18rocblas_operation_17rocblas_diagonal_iiT3_T4_lilT5_lili.step_sizes:
	.long	20                              ; 0x14
	.long	16                              ; 0x10
	.long	1                               ; 0x1
	.size	__const._ZL30rocblas_trsm_small_left_deviceILi20ELi20ELb0E19rocblas_complex_numIdES1_PKS1_PS1_Ev13rocblas_fill_18rocblas_operation_17rocblas_diagonal_iiT3_T4_lilT5_lili.step_sizes, 12

	.type	__const._ZL38rocblas_trsm_small_left_device_sharedBILi20ELi20ELb1E19rocblas_complex_numIdES1_PKS1_PS1_Ev13rocblas_fill_18rocblas_operation_17rocblas_diagonal_iiT3_T4_lilT5_lili.step_sizes,@object ; @__const._ZL38rocblas_trsm_small_left_device_sharedBILi20ELi20ELb1E19rocblas_complex_numIdES1_PKS1_PS1_Ev13rocblas_fill_18rocblas_operation_17rocblas_diagonal_iiT3_T4_lilT5_lili.step_sizes
	.p2align	2, 0x0
__const._ZL38rocblas_trsm_small_left_device_sharedBILi20ELi20ELb1E19rocblas_complex_numIdES1_PKS1_PS1_Ev13rocblas_fill_18rocblas_operation_17rocblas_diagonal_iiT3_T4_lilT5_lili.step_sizes:
	.long	20                              ; 0x14
	.long	16                              ; 0x10
	.long	1                               ; 0x1
	.size	__const._ZL38rocblas_trsm_small_left_device_sharedBILi20ELi20ELb1E19rocblas_complex_numIdES1_PKS1_PS1_Ev13rocblas_fill_18rocblas_operation_17rocblas_diagonal_iiT3_T4_lilT5_lili.step_sizes, 12

	.type	__const._ZL30rocblas_trsm_small_left_deviceILi20ELi20ELb1E19rocblas_complex_numIdES1_PKS1_PS1_Ev13rocblas_fill_18rocblas_operation_17rocblas_diagonal_iiT3_T4_lilT5_lili.step_sizes,@object ; @__const._ZL30rocblas_trsm_small_left_deviceILi20ELi20ELb1E19rocblas_complex_numIdES1_PKS1_PS1_Ev13rocblas_fill_18rocblas_operation_17rocblas_diagonal_iiT3_T4_lilT5_lili.step_sizes
	.p2align	2, 0x0
__const._ZL30rocblas_trsm_small_left_deviceILi20ELi20ELb1E19rocblas_complex_numIdES1_PKS1_PS1_Ev13rocblas_fill_18rocblas_operation_17rocblas_diagonal_iiT3_T4_lilT5_lili.step_sizes:
	.long	20                              ; 0x14
	.long	16                              ; 0x10
	.long	1                               ; 0x1
	.size	__const._ZL30rocblas_trsm_small_left_deviceILi20ELi20ELb1E19rocblas_complex_numIdES1_PKS1_PS1_Ev13rocblas_fill_18rocblas_operation_17rocblas_diagonal_iiT3_T4_lilT5_lili.step_sizes, 12

	.type	__const._ZL38rocblas_trsm_small_left_device_sharedBILi24ELi24ELb0E19rocblas_complex_numIdES1_PKS1_PS1_Ev13rocblas_fill_18rocblas_operation_17rocblas_diagonal_iiT3_T4_lilT5_lili.step_sizes,@object ; @__const._ZL38rocblas_trsm_small_left_device_sharedBILi24ELi24ELb0E19rocblas_complex_numIdES1_PKS1_PS1_Ev13rocblas_fill_18rocblas_operation_17rocblas_diagonal_iiT3_T4_lilT5_lili.step_sizes
	.p2align	2, 0x0
__const._ZL38rocblas_trsm_small_left_device_sharedBILi24ELi24ELb0E19rocblas_complex_numIdES1_PKS1_PS1_Ev13rocblas_fill_18rocblas_operation_17rocblas_diagonal_iiT3_T4_lilT5_lili.step_sizes:
	.long	24                              ; 0x18
	.long	20                              ; 0x14
	.long	1                               ; 0x1
	.size	__const._ZL38rocblas_trsm_small_left_device_sharedBILi24ELi24ELb0E19rocblas_complex_numIdES1_PKS1_PS1_Ev13rocblas_fill_18rocblas_operation_17rocblas_diagonal_iiT3_T4_lilT5_lili.step_sizes, 12

	.type	__const._ZL30rocblas_trsm_small_left_deviceILi24ELi24ELb0E19rocblas_complex_numIdES1_PKS1_PS1_Ev13rocblas_fill_18rocblas_operation_17rocblas_diagonal_iiT3_T4_lilT5_lili.step_sizes,@object ; @__const._ZL30rocblas_trsm_small_left_deviceILi24ELi24ELb0E19rocblas_complex_numIdES1_PKS1_PS1_Ev13rocblas_fill_18rocblas_operation_17rocblas_diagonal_iiT3_T4_lilT5_lili.step_sizes
	.p2align	2, 0x0
__const._ZL30rocblas_trsm_small_left_deviceILi24ELi24ELb0E19rocblas_complex_numIdES1_PKS1_PS1_Ev13rocblas_fill_18rocblas_operation_17rocblas_diagonal_iiT3_T4_lilT5_lili.step_sizes:
	.long	24                              ; 0x18
	.long	20                              ; 0x14
	.long	1                               ; 0x1
	.size	__const._ZL30rocblas_trsm_small_left_deviceILi24ELi24ELb0E19rocblas_complex_numIdES1_PKS1_PS1_Ev13rocblas_fill_18rocblas_operation_17rocblas_diagonal_iiT3_T4_lilT5_lili.step_sizes, 12

	.type	__const._ZL38rocblas_trsm_small_left_device_sharedBILi24ELi24ELb1E19rocblas_complex_numIdES1_PKS1_PS1_Ev13rocblas_fill_18rocblas_operation_17rocblas_diagonal_iiT3_T4_lilT5_lili.step_sizes,@object ; @__const._ZL38rocblas_trsm_small_left_device_sharedBILi24ELi24ELb1E19rocblas_complex_numIdES1_PKS1_PS1_Ev13rocblas_fill_18rocblas_operation_17rocblas_diagonal_iiT3_T4_lilT5_lili.step_sizes
	.p2align	2, 0x0
__const._ZL38rocblas_trsm_small_left_device_sharedBILi24ELi24ELb1E19rocblas_complex_numIdES1_PKS1_PS1_Ev13rocblas_fill_18rocblas_operation_17rocblas_diagonal_iiT3_T4_lilT5_lili.step_sizes:
	.long	24                              ; 0x18
	.long	20                              ; 0x14
	.long	1                               ; 0x1
	.size	__const._ZL38rocblas_trsm_small_left_device_sharedBILi24ELi24ELb1E19rocblas_complex_numIdES1_PKS1_PS1_Ev13rocblas_fill_18rocblas_operation_17rocblas_diagonal_iiT3_T4_lilT5_lili.step_sizes, 12

	.type	__const._ZL30rocblas_trsm_small_left_deviceILi24ELi24ELb1E19rocblas_complex_numIdES1_PKS1_PS1_Ev13rocblas_fill_18rocblas_operation_17rocblas_diagonal_iiT3_T4_lilT5_lili.step_sizes,@object ; @__const._ZL30rocblas_trsm_small_left_deviceILi24ELi24ELb1E19rocblas_complex_numIdES1_PKS1_PS1_Ev13rocblas_fill_18rocblas_operation_17rocblas_diagonal_iiT3_T4_lilT5_lili.step_sizes
	.p2align	2, 0x0
__const._ZL30rocblas_trsm_small_left_deviceILi24ELi24ELb1E19rocblas_complex_numIdES1_PKS1_PS1_Ev13rocblas_fill_18rocblas_operation_17rocblas_diagonal_iiT3_T4_lilT5_lili.step_sizes:
	.long	24                              ; 0x18
	.long	20                              ; 0x14
	.long	1                               ; 0x1
	.size	__const._ZL30rocblas_trsm_small_left_deviceILi24ELi24ELb1E19rocblas_complex_numIdES1_PKS1_PS1_Ev13rocblas_fill_18rocblas_operation_17rocblas_diagonal_iiT3_T4_lilT5_lili.step_sizes, 12

	.type	__const._ZL38rocblas_trsm_small_left_device_sharedBILi28ELi28ELb0E19rocblas_complex_numIdES1_PKS1_PS1_Ev13rocblas_fill_18rocblas_operation_17rocblas_diagonal_iiT3_T4_lilT5_lili.step_sizes,@object ; @__const._ZL38rocblas_trsm_small_left_device_sharedBILi28ELi28ELb0E19rocblas_complex_numIdES1_PKS1_PS1_Ev13rocblas_fill_18rocblas_operation_17rocblas_diagonal_iiT3_T4_lilT5_lili.step_sizes
	.p2align	2, 0x0
__const._ZL38rocblas_trsm_small_left_device_sharedBILi28ELi28ELb0E19rocblas_complex_numIdES1_PKS1_PS1_Ev13rocblas_fill_18rocblas_operation_17rocblas_diagonal_iiT3_T4_lilT5_lili.step_sizes:
	.long	28                              ; 0x1c
	.long	24                              ; 0x18
	.long	1                               ; 0x1
	.size	__const._ZL38rocblas_trsm_small_left_device_sharedBILi28ELi28ELb0E19rocblas_complex_numIdES1_PKS1_PS1_Ev13rocblas_fill_18rocblas_operation_17rocblas_diagonal_iiT3_T4_lilT5_lili.step_sizes, 12

	.type	__const._ZL30rocblas_trsm_small_left_deviceILi28ELi28ELb0E19rocblas_complex_numIdES1_PKS1_PS1_Ev13rocblas_fill_18rocblas_operation_17rocblas_diagonal_iiT3_T4_lilT5_lili.step_sizes,@object ; @__const._ZL30rocblas_trsm_small_left_deviceILi28ELi28ELb0E19rocblas_complex_numIdES1_PKS1_PS1_Ev13rocblas_fill_18rocblas_operation_17rocblas_diagonal_iiT3_T4_lilT5_lili.step_sizes
	.p2align	2, 0x0
__const._ZL30rocblas_trsm_small_left_deviceILi28ELi28ELb0E19rocblas_complex_numIdES1_PKS1_PS1_Ev13rocblas_fill_18rocblas_operation_17rocblas_diagonal_iiT3_T4_lilT5_lili.step_sizes:
	.long	28                              ; 0x1c
	.long	24                              ; 0x18
	.long	1                               ; 0x1
	.size	__const._ZL30rocblas_trsm_small_left_deviceILi28ELi28ELb0E19rocblas_complex_numIdES1_PKS1_PS1_Ev13rocblas_fill_18rocblas_operation_17rocblas_diagonal_iiT3_T4_lilT5_lili.step_sizes, 12

	.type	__const._ZL38rocblas_trsm_small_left_device_sharedBILi28ELi28ELb1E19rocblas_complex_numIdES1_PKS1_PS1_Ev13rocblas_fill_18rocblas_operation_17rocblas_diagonal_iiT3_T4_lilT5_lili.step_sizes,@object ; @__const._ZL38rocblas_trsm_small_left_device_sharedBILi28ELi28ELb1E19rocblas_complex_numIdES1_PKS1_PS1_Ev13rocblas_fill_18rocblas_operation_17rocblas_diagonal_iiT3_T4_lilT5_lili.step_sizes
	.p2align	2, 0x0
__const._ZL38rocblas_trsm_small_left_device_sharedBILi28ELi28ELb1E19rocblas_complex_numIdES1_PKS1_PS1_Ev13rocblas_fill_18rocblas_operation_17rocblas_diagonal_iiT3_T4_lilT5_lili.step_sizes:
	.long	28                              ; 0x1c
	.long	24                              ; 0x18
	.long	1                               ; 0x1
	.size	__const._ZL38rocblas_trsm_small_left_device_sharedBILi28ELi28ELb1E19rocblas_complex_numIdES1_PKS1_PS1_Ev13rocblas_fill_18rocblas_operation_17rocblas_diagonal_iiT3_T4_lilT5_lili.step_sizes, 12

	.type	__const._ZL30rocblas_trsm_small_left_deviceILi28ELi28ELb1E19rocblas_complex_numIdES1_PKS1_PS1_Ev13rocblas_fill_18rocblas_operation_17rocblas_diagonal_iiT3_T4_lilT5_lili.step_sizes,@object ; @__const._ZL30rocblas_trsm_small_left_deviceILi28ELi28ELb1E19rocblas_complex_numIdES1_PKS1_PS1_Ev13rocblas_fill_18rocblas_operation_17rocblas_diagonal_iiT3_T4_lilT5_lili.step_sizes
	.p2align	2, 0x0
__const._ZL30rocblas_trsm_small_left_deviceILi28ELi28ELb1E19rocblas_complex_numIdES1_PKS1_PS1_Ev13rocblas_fill_18rocblas_operation_17rocblas_diagonal_iiT3_T4_lilT5_lili.step_sizes:
	.long	28                              ; 0x1c
	.long	24                              ; 0x18
	.long	1                               ; 0x1
	.size	__const._ZL30rocblas_trsm_small_left_deviceILi28ELi28ELb1E19rocblas_complex_numIdES1_PKS1_PS1_Ev13rocblas_fill_18rocblas_operation_17rocblas_diagonal_iiT3_T4_lilT5_lili.step_sizes, 12

	.type	__const._ZL38rocblas_trsm_small_left_device_sharedBILi32ELi32ELb0E19rocblas_complex_numIdES1_PKS1_PS1_Ev13rocblas_fill_18rocblas_operation_17rocblas_diagonal_iiT3_T4_lilT5_lili.step_sizes,@object ; @__const._ZL38rocblas_trsm_small_left_device_sharedBILi32ELi32ELb0E19rocblas_complex_numIdES1_PKS1_PS1_Ev13rocblas_fill_18rocblas_operation_17rocblas_diagonal_iiT3_T4_lilT5_lili.step_sizes
	.p2align	2, 0x0
__const._ZL38rocblas_trsm_small_left_device_sharedBILi32ELi32ELb0E19rocblas_complex_numIdES1_PKS1_PS1_Ev13rocblas_fill_18rocblas_operation_17rocblas_diagonal_iiT3_T4_lilT5_lili.step_sizes:
	.long	32                              ; 0x20
	.long	28                              ; 0x1c
	.long	1                               ; 0x1
	.size	__const._ZL38rocblas_trsm_small_left_device_sharedBILi32ELi32ELb0E19rocblas_complex_numIdES1_PKS1_PS1_Ev13rocblas_fill_18rocblas_operation_17rocblas_diagonal_iiT3_T4_lilT5_lili.step_sizes, 12

	.type	__const._ZL30rocblas_trsm_small_left_deviceILi32ELi32ELb0E19rocblas_complex_numIdES1_PKS1_PS1_Ev13rocblas_fill_18rocblas_operation_17rocblas_diagonal_iiT3_T4_lilT5_lili.step_sizes,@object ; @__const._ZL30rocblas_trsm_small_left_deviceILi32ELi32ELb0E19rocblas_complex_numIdES1_PKS1_PS1_Ev13rocblas_fill_18rocblas_operation_17rocblas_diagonal_iiT3_T4_lilT5_lili.step_sizes
	.p2align	2, 0x0
__const._ZL30rocblas_trsm_small_left_deviceILi32ELi32ELb0E19rocblas_complex_numIdES1_PKS1_PS1_Ev13rocblas_fill_18rocblas_operation_17rocblas_diagonal_iiT3_T4_lilT5_lili.step_sizes:
	.long	32                              ; 0x20
	.long	28                              ; 0x1c
	.long	1                               ; 0x1
	.size	__const._ZL30rocblas_trsm_small_left_deviceILi32ELi32ELb0E19rocblas_complex_numIdES1_PKS1_PS1_Ev13rocblas_fill_18rocblas_operation_17rocblas_diagonal_iiT3_T4_lilT5_lili.step_sizes, 12

	.type	__const._ZL38rocblas_trsm_small_left_device_sharedBILi32ELi32ELb1E19rocblas_complex_numIdES1_PKS1_PS1_Ev13rocblas_fill_18rocblas_operation_17rocblas_diagonal_iiT3_T4_lilT5_lili.step_sizes,@object ; @__const._ZL38rocblas_trsm_small_left_device_sharedBILi32ELi32ELb1E19rocblas_complex_numIdES1_PKS1_PS1_Ev13rocblas_fill_18rocblas_operation_17rocblas_diagonal_iiT3_T4_lilT5_lili.step_sizes
	.p2align	2, 0x0
__const._ZL38rocblas_trsm_small_left_device_sharedBILi32ELi32ELb1E19rocblas_complex_numIdES1_PKS1_PS1_Ev13rocblas_fill_18rocblas_operation_17rocblas_diagonal_iiT3_T4_lilT5_lili.step_sizes:
	.long	32                              ; 0x20
	.long	28                              ; 0x1c
	.long	1                               ; 0x1
	.size	__const._ZL38rocblas_trsm_small_left_device_sharedBILi32ELi32ELb1E19rocblas_complex_numIdES1_PKS1_PS1_Ev13rocblas_fill_18rocblas_operation_17rocblas_diagonal_iiT3_T4_lilT5_lili.step_sizes, 12

	.type	__const._ZL30rocblas_trsm_small_left_deviceILi32ELi32ELb1E19rocblas_complex_numIdES1_PKS1_PS1_Ev13rocblas_fill_18rocblas_operation_17rocblas_diagonal_iiT3_T4_lilT5_lili.step_sizes,@object ; @__const._ZL30rocblas_trsm_small_left_deviceILi32ELi32ELb1E19rocblas_complex_numIdES1_PKS1_PS1_Ev13rocblas_fill_18rocblas_operation_17rocblas_diagonal_iiT3_T4_lilT5_lili.step_sizes
	.p2align	2, 0x0
__const._ZL30rocblas_trsm_small_left_deviceILi32ELi32ELb1E19rocblas_complex_numIdES1_PKS1_PS1_Ev13rocblas_fill_18rocblas_operation_17rocblas_diagonal_iiT3_T4_lilT5_lili.step_sizes:
	.long	32                              ; 0x20
	.long	28                              ; 0x1c
	.long	1                               ; 0x1
	.size	__const._ZL30rocblas_trsm_small_left_deviceILi32ELi32ELb1E19rocblas_complex_numIdES1_PKS1_PS1_Ev13rocblas_fill_18rocblas_operation_17rocblas_diagonal_iiT3_T4_lilT5_lili.step_sizes, 12

	.type	__hip_cuid_e7797d41a9a0d63d,@object ; @__hip_cuid_e7797d41a9a0d63d
	.section	.bss,"aw",@nobits
	.globl	__hip_cuid_e7797d41a9a0d63d
__hip_cuid_e7797d41a9a0d63d:
	.byte	0                               ; 0x0
	.size	__hip_cuid_e7797d41a9a0d63d, 1

	.ident	"AMD clang version 22.0.0git (https://github.com/RadeonOpenCompute/llvm-project roc-7.2.4 26084 f58b06dce1f9c15707c5f808fd002e18c2accf7e)"
	.section	".note.GNU-stack","",@progbits
	.addrsig
	.addrsig_sym __hip_cuid_e7797d41a9a0d63d
	.amdgpu_metadata
---
amdhsa.kernels:
  - .args:
      - .offset:         0
        .size:           8
        .value_kind:     by_value
      - .offset:         8
        .size:           8
        .value_kind:     by_value
      - .offset:         16
        .size:           4
        .value_kind:     by_value
      - .address_space:  global
        .offset:         24
        .size:           8
        .value_kind:     global_buffer
      - .offset:         32
        .size:           8
        .value_kind:     by_value
      - .offset:         40
        .size:           8
        .value_kind:     by_value
      - .offset:         48
        .size:           4
        .value_kind:     by_value
      - .offset:         56
        .size:           8
        .value_kind:     by_value
      - .offset:         64
        .size:           4
        .value_kind:     by_value
    .group_segment_fixed_size: 0
    .kernarg_segment_align: 8
    .kernarg_segment_size: 68
    .language:       OpenCL C
    .language_version:
      - 2
      - 0
    .max_flat_workgroup_size: 1024
    .name:           _ZL23rocblas_set_matrix_trsmILi128ELi8EfPfEvlliT2_llT1_li
    .private_segment_fixed_size: 0
    .sgpr_count:     16
    .sgpr_spill_count: 0
    .symbol:         _ZL23rocblas_set_matrix_trsmILi128ELi8EfPfEvlliT2_llT1_li.kd
    .uniform_work_group_size: 1
    .uses_dynamic_stack: false
    .vgpr_count:     6
    .vgpr_spill_count: 0
    .wavefront_size: 64
  - .args:
      - .offset:         0
        .size:           4
        .value_kind:     by_value
      - .offset:         4
        .size:           4
        .value_kind:     by_value
      - .offset:         8
        .size:           4
        .value_kind:     by_value
      - .offset:         12
        .size:           4
        .value_kind:     by_value
      - .offset:         16
        .size:           4
        .value_kind:     by_value
      - .offset:         20
        .size:           4
        .value_kind:     by_value
      - .address_space:  global
        .offset:         24
        .size:           8
        .value_kind:     global_buffer
      - .offset:         32
        .size:           8
        .value_kind:     by_value
      - .offset:         40
        .size:           4
        .value_kind:     by_value
      - .offset:         48
        .size:           8
        .value_kind:     by_value
      - .address_space:  global
        .offset:         56
        .size:           8
        .value_kind:     global_buffer
      - .offset:         64
        .size:           8
        .value_kind:     by_value
      - .offset:         72
        .size:           4
        .value_kind:     by_value
      - .offset:         80
        .size:           8
        .value_kind:     by_value
      - .offset:         88
        .size:           4
        .value_kind:     by_value
      - .offset:         96
        .size:           4
        .value_kind:     hidden_block_count_x
      - .offset:         100
        .size:           4
        .value_kind:     hidden_block_count_y
      - .offset:         104
        .size:           4
        .value_kind:     hidden_block_count_z
      - .offset:         108
        .size:           2
        .value_kind:     hidden_group_size_x
      - .offset:         110
        .size:           2
        .value_kind:     hidden_group_size_y
      - .offset:         112
        .size:           2
        .value_kind:     hidden_group_size_z
      - .offset:         114
        .size:           2
        .value_kind:     hidden_remainder_x
      - .offset:         116
        .size:           2
        .value_kind:     hidden_remainder_y
      - .offset:         118
        .size:           2
        .value_kind:     hidden_remainder_z
      - .offset:         136
        .size:           8
        .value_kind:     hidden_global_offset_x
      - .offset:         144
        .size:           8
        .value_kind:     hidden_global_offset_y
      - .offset:         152
        .size:           8
        .value_kind:     hidden_global_offset_z
      - .offset:         160
        .size:           2
        .value_kind:     hidden_grid_dims
    .group_segment_fixed_size: 128
    .kernarg_segment_align: 8
    .kernarg_segment_size: 352
    .language:       OpenCL C
    .language_version:
      - 2
      - 0
    .max_flat_workgroup_size: 4
    .name:           _ZL38rocblas_trsm_small_left_device_sharedBILi4ELi4ELb0EffPKfPfEv13rocblas_fill_18rocblas_operation_17rocblas_diagonal_iiT3_T4_lilT5_lili
    .private_segment_fixed_size: 0
    .sgpr_count:     28
    .sgpr_spill_count: 0
    .symbol:         _ZL38rocblas_trsm_small_left_device_sharedBILi4ELi4ELb0EffPKfPfEv13rocblas_fill_18rocblas_operation_17rocblas_diagonal_iiT3_T4_lilT5_lili.kd
    .uniform_work_group_size: 1
    .uses_dynamic_stack: false
    .vgpr_count:     16
    .vgpr_spill_count: 0
    .wavefront_size: 64
  - .args:
      - .offset:         0
        .size:           4
        .value_kind:     by_value
      - .offset:         4
        .size:           4
        .value_kind:     by_value
      - .offset:         8
        .size:           4
        .value_kind:     by_value
      - .offset:         12
        .size:           4
        .value_kind:     by_value
      - .offset:         16
        .size:           4
        .value_kind:     by_value
      - .offset:         20
        .size:           4
        .value_kind:     by_value
      - .address_space:  global
        .offset:         24
        .size:           8
        .value_kind:     global_buffer
      - .offset:         32
        .size:           8
        .value_kind:     by_value
      - .offset:         40
        .size:           4
        .value_kind:     by_value
      - .offset:         48
        .size:           8
        .value_kind:     by_value
      - .address_space:  global
        .offset:         56
        .size:           8
        .value_kind:     global_buffer
      - .offset:         64
        .size:           8
        .value_kind:     by_value
      - .offset:         72
        .size:           4
        .value_kind:     by_value
      - .offset:         80
        .size:           8
        .value_kind:     by_value
      - .offset:         88
        .size:           4
        .value_kind:     by_value
      - .offset:         96
        .size:           4
        .value_kind:     hidden_block_count_x
      - .offset:         100
        .size:           4
        .value_kind:     hidden_block_count_y
      - .offset:         104
        .size:           4
        .value_kind:     hidden_block_count_z
      - .offset:         108
        .size:           2
        .value_kind:     hidden_group_size_x
      - .offset:         110
        .size:           2
        .value_kind:     hidden_group_size_y
      - .offset:         112
        .size:           2
        .value_kind:     hidden_group_size_z
      - .offset:         114
        .size:           2
        .value_kind:     hidden_remainder_x
      - .offset:         116
        .size:           2
        .value_kind:     hidden_remainder_y
      - .offset:         118
        .size:           2
        .value_kind:     hidden_remainder_z
      - .offset:         136
        .size:           8
        .value_kind:     hidden_global_offset_x
      - .offset:         144
        .size:           8
        .value_kind:     hidden_global_offset_y
      - .offset:         152
        .size:           8
        .value_kind:     hidden_global_offset_z
      - .offset:         160
        .size:           2
        .value_kind:     hidden_grid_dims
    .group_segment_fixed_size: 64
    .kernarg_segment_align: 8
    .kernarg_segment_size: 352
    .language:       OpenCL C
    .language_version:
      - 2
      - 0
    .max_flat_workgroup_size: 4
    .name:           _ZL30rocblas_trsm_small_left_deviceILi4ELi4ELb0EffPKfPfEv13rocblas_fill_18rocblas_operation_17rocblas_diagonal_iiT3_T4_lilT5_lili
    .private_segment_fixed_size: 0
    .sgpr_count:     28
    .sgpr_spill_count: 0
    .symbol:         _ZL30rocblas_trsm_small_left_deviceILi4ELi4ELb0EffPKfPfEv13rocblas_fill_18rocblas_operation_17rocblas_diagonal_iiT3_T4_lilT5_lili.kd
    .uniform_work_group_size: 1
    .uses_dynamic_stack: false
    .vgpr_count:     15
    .vgpr_spill_count: 0
    .wavefront_size: 64
  - .args:
      - .offset:         0
        .size:           4
        .value_kind:     by_value
      - .offset:         4
        .size:           4
        .value_kind:     by_value
      - .offset:         8
        .size:           4
        .value_kind:     by_value
      - .offset:         12
        .size:           4
        .value_kind:     by_value
      - .offset:         16
        .size:           4
        .value_kind:     by_value
      - .offset:         20
        .size:           4
        .value_kind:     by_value
      - .address_space:  global
        .offset:         24
        .size:           8
        .value_kind:     global_buffer
      - .offset:         32
        .size:           8
        .value_kind:     by_value
      - .offset:         40
        .size:           4
        .value_kind:     by_value
      - .offset:         48
        .size:           8
        .value_kind:     by_value
      - .address_space:  global
        .offset:         56
        .size:           8
        .value_kind:     global_buffer
      - .offset:         64
        .size:           8
        .value_kind:     by_value
      - .offset:         72
        .size:           4
        .value_kind:     by_value
      - .offset:         80
        .size:           8
        .value_kind:     by_value
      - .offset:         88
        .size:           4
        .value_kind:     by_value
      - .offset:         96
        .size:           4
        .value_kind:     hidden_block_count_x
      - .offset:         100
        .size:           4
        .value_kind:     hidden_block_count_y
      - .offset:         104
        .size:           4
        .value_kind:     hidden_block_count_z
      - .offset:         108
        .size:           2
        .value_kind:     hidden_group_size_x
      - .offset:         110
        .size:           2
        .value_kind:     hidden_group_size_y
      - .offset:         112
        .size:           2
        .value_kind:     hidden_group_size_z
      - .offset:         114
        .size:           2
        .value_kind:     hidden_remainder_x
      - .offset:         116
        .size:           2
        .value_kind:     hidden_remainder_y
      - .offset:         118
        .size:           2
        .value_kind:     hidden_remainder_z
      - .offset:         136
        .size:           8
        .value_kind:     hidden_global_offset_x
      - .offset:         144
        .size:           8
        .value_kind:     hidden_global_offset_y
      - .offset:         152
        .size:           8
        .value_kind:     hidden_global_offset_z
      - .offset:         160
        .size:           2
        .value_kind:     hidden_grid_dims
    .group_segment_fixed_size: 128
    .kernarg_segment_align: 8
    .kernarg_segment_size: 352
    .language:       OpenCL C
    .language_version:
      - 2
      - 0
    .max_flat_workgroup_size: 4
    .name:           _ZL38rocblas_trsm_small_left_device_sharedBILi4ELi4ELb1EffPKfPfEv13rocblas_fill_18rocblas_operation_17rocblas_diagonal_iiT3_T4_lilT5_lili
    .private_segment_fixed_size: 0
    .sgpr_count:     28
    .sgpr_spill_count: 0
    .symbol:         _ZL38rocblas_trsm_small_left_device_sharedBILi4ELi4ELb1EffPKfPfEv13rocblas_fill_18rocblas_operation_17rocblas_diagonal_iiT3_T4_lilT5_lili.kd
    .uniform_work_group_size: 1
    .uses_dynamic_stack: false
    .vgpr_count:     16
    .vgpr_spill_count: 0
    .wavefront_size: 64
  - .args:
      - .offset:         0
        .size:           4
        .value_kind:     by_value
      - .offset:         4
        .size:           4
        .value_kind:     by_value
      - .offset:         8
        .size:           4
        .value_kind:     by_value
      - .offset:         12
        .size:           4
        .value_kind:     by_value
      - .offset:         16
        .size:           4
        .value_kind:     by_value
      - .offset:         20
        .size:           4
        .value_kind:     by_value
      - .address_space:  global
        .offset:         24
        .size:           8
        .value_kind:     global_buffer
      - .offset:         32
        .size:           8
        .value_kind:     by_value
      - .offset:         40
        .size:           4
        .value_kind:     by_value
      - .offset:         48
        .size:           8
        .value_kind:     by_value
      - .address_space:  global
        .offset:         56
        .size:           8
        .value_kind:     global_buffer
      - .offset:         64
        .size:           8
        .value_kind:     by_value
      - .offset:         72
        .size:           4
        .value_kind:     by_value
      - .offset:         80
        .size:           8
        .value_kind:     by_value
      - .offset:         88
        .size:           4
        .value_kind:     by_value
      - .offset:         96
        .size:           4
        .value_kind:     hidden_block_count_x
      - .offset:         100
        .size:           4
        .value_kind:     hidden_block_count_y
      - .offset:         104
        .size:           4
        .value_kind:     hidden_block_count_z
      - .offset:         108
        .size:           2
        .value_kind:     hidden_group_size_x
      - .offset:         110
        .size:           2
        .value_kind:     hidden_group_size_y
      - .offset:         112
        .size:           2
        .value_kind:     hidden_group_size_z
      - .offset:         114
        .size:           2
        .value_kind:     hidden_remainder_x
      - .offset:         116
        .size:           2
        .value_kind:     hidden_remainder_y
      - .offset:         118
        .size:           2
        .value_kind:     hidden_remainder_z
      - .offset:         136
        .size:           8
        .value_kind:     hidden_global_offset_x
      - .offset:         144
        .size:           8
        .value_kind:     hidden_global_offset_y
      - .offset:         152
        .size:           8
        .value_kind:     hidden_global_offset_z
      - .offset:         160
        .size:           2
        .value_kind:     hidden_grid_dims
    .group_segment_fixed_size: 64
    .kernarg_segment_align: 8
    .kernarg_segment_size: 352
    .language:       OpenCL C
    .language_version:
      - 2
      - 0
    .max_flat_workgroup_size: 4
    .name:           _ZL30rocblas_trsm_small_left_deviceILi4ELi4ELb1EffPKfPfEv13rocblas_fill_18rocblas_operation_17rocblas_diagonal_iiT3_T4_lilT5_lili
    .private_segment_fixed_size: 0
    .sgpr_count:     28
    .sgpr_spill_count: 0
    .symbol:         _ZL30rocblas_trsm_small_left_deviceILi4ELi4ELb1EffPKfPfEv13rocblas_fill_18rocblas_operation_17rocblas_diagonal_iiT3_T4_lilT5_lili.kd
    .uniform_work_group_size: 1
    .uses_dynamic_stack: false
    .vgpr_count:     16
    .vgpr_spill_count: 0
    .wavefront_size: 64
  - .args:
      - .offset:         0
        .size:           4
        .value_kind:     by_value
      - .offset:         4
        .size:           4
        .value_kind:     by_value
      - .offset:         8
        .size:           4
        .value_kind:     by_value
      - .offset:         12
        .size:           4
        .value_kind:     by_value
      - .offset:         16
        .size:           4
        .value_kind:     by_value
      - .offset:         20
        .size:           4
        .value_kind:     by_value
      - .address_space:  global
        .offset:         24
        .size:           8
        .value_kind:     global_buffer
      - .offset:         32
        .size:           8
        .value_kind:     by_value
      - .offset:         40
        .size:           4
        .value_kind:     by_value
      - .offset:         48
        .size:           8
        .value_kind:     by_value
      - .address_space:  global
        .offset:         56
        .size:           8
        .value_kind:     global_buffer
      - .offset:         64
        .size:           8
        .value_kind:     by_value
      - .offset:         72
        .size:           4
        .value_kind:     by_value
      - .offset:         80
        .size:           8
        .value_kind:     by_value
      - .offset:         88
        .size:           4
        .value_kind:     by_value
      - .offset:         96
        .size:           4
        .value_kind:     hidden_block_count_x
      - .offset:         100
        .size:           4
        .value_kind:     hidden_block_count_y
      - .offset:         104
        .size:           4
        .value_kind:     hidden_block_count_z
      - .offset:         108
        .size:           2
        .value_kind:     hidden_group_size_x
      - .offset:         110
        .size:           2
        .value_kind:     hidden_group_size_y
      - .offset:         112
        .size:           2
        .value_kind:     hidden_group_size_z
      - .offset:         114
        .size:           2
        .value_kind:     hidden_remainder_x
      - .offset:         116
        .size:           2
        .value_kind:     hidden_remainder_y
      - .offset:         118
        .size:           2
        .value_kind:     hidden_remainder_z
      - .offset:         136
        .size:           8
        .value_kind:     hidden_global_offset_x
      - .offset:         144
        .size:           8
        .value_kind:     hidden_global_offset_y
      - .offset:         152
        .size:           8
        .value_kind:     hidden_global_offset_z
      - .offset:         160
        .size:           2
        .value_kind:     hidden_grid_dims
    .group_segment_fixed_size: 128
    .kernarg_segment_align: 8
    .kernarg_segment_size: 352
    .language:       OpenCL C
    .language_version:
      - 2
      - 0
    .max_flat_workgroup_size: 4
    .name:           _ZL31rocblas_trsm_small_right_deviceIffPKfPfLi4EEv13rocblas_fill_18rocblas_operation_17rocblas_diagonal_iiT0_T1_lilT2_lili
    .private_segment_fixed_size: 0
    .sgpr_count:     30
    .sgpr_spill_count: 0
    .symbol:         _ZL31rocblas_trsm_small_right_deviceIffPKfPfLi4EEv13rocblas_fill_18rocblas_operation_17rocblas_diagonal_iiT0_T1_lilT2_lili.kd
    .uniform_work_group_size: 1
    .uses_dynamic_stack: false
    .vgpr_count:     21
    .vgpr_spill_count: 0
    .wavefront_size: 64
  - .args:
      - .offset:         0
        .size:           4
        .value_kind:     by_value
      - .offset:         4
        .size:           4
        .value_kind:     by_value
      - .offset:         8
        .size:           4
        .value_kind:     by_value
      - .offset:         12
        .size:           4
        .value_kind:     by_value
      - .offset:         16
        .size:           4
        .value_kind:     by_value
      - .offset:         20
        .size:           4
        .value_kind:     by_value
      - .address_space:  global
        .offset:         24
        .size:           8
        .value_kind:     global_buffer
      - .offset:         32
        .size:           8
        .value_kind:     by_value
      - .offset:         40
        .size:           4
        .value_kind:     by_value
      - .offset:         48
        .size:           8
        .value_kind:     by_value
      - .address_space:  global
        .offset:         56
        .size:           8
        .value_kind:     global_buffer
      - .offset:         64
        .size:           8
        .value_kind:     by_value
      - .offset:         72
        .size:           4
        .value_kind:     by_value
      - .offset:         80
        .size:           8
        .value_kind:     by_value
      - .offset:         88
        .size:           4
        .value_kind:     by_value
      - .offset:         96
        .size:           4
        .value_kind:     hidden_block_count_x
      - .offset:         100
        .size:           4
        .value_kind:     hidden_block_count_y
      - .offset:         104
        .size:           4
        .value_kind:     hidden_block_count_z
      - .offset:         108
        .size:           2
        .value_kind:     hidden_group_size_x
      - .offset:         110
        .size:           2
        .value_kind:     hidden_group_size_y
      - .offset:         112
        .size:           2
        .value_kind:     hidden_group_size_z
      - .offset:         114
        .size:           2
        .value_kind:     hidden_remainder_x
      - .offset:         116
        .size:           2
        .value_kind:     hidden_remainder_y
      - .offset:         118
        .size:           2
        .value_kind:     hidden_remainder_z
      - .offset:         136
        .size:           8
        .value_kind:     hidden_global_offset_x
      - .offset:         144
        .size:           8
        .value_kind:     hidden_global_offset_y
      - .offset:         152
        .size:           8
        .value_kind:     hidden_global_offset_z
      - .offset:         160
        .size:           2
        .value_kind:     hidden_grid_dims
    .group_segment_fixed_size: 512
    .kernarg_segment_align: 8
    .kernarg_segment_size: 352
    .language:       OpenCL C
    .language_version:
      - 2
      - 0
    .max_flat_workgroup_size: 8
    .name:           _ZL38rocblas_trsm_small_left_device_sharedBILi8ELi8ELb0EffPKfPfEv13rocblas_fill_18rocblas_operation_17rocblas_diagonal_iiT3_T4_lilT5_lili
    .private_segment_fixed_size: 0
    .sgpr_count:     28
    .sgpr_spill_count: 0
    .symbol:         _ZL38rocblas_trsm_small_left_device_sharedBILi8ELi8ELb0EffPKfPfEv13rocblas_fill_18rocblas_operation_17rocblas_diagonal_iiT3_T4_lilT5_lili.kd
    .uniform_work_group_size: 1
    .uses_dynamic_stack: false
    .vgpr_count:     29
    .vgpr_spill_count: 0
    .wavefront_size: 64
  - .args:
      - .offset:         0
        .size:           4
        .value_kind:     by_value
      - .offset:         4
        .size:           4
        .value_kind:     by_value
      - .offset:         8
        .size:           4
        .value_kind:     by_value
      - .offset:         12
        .size:           4
        .value_kind:     by_value
      - .offset:         16
        .size:           4
        .value_kind:     by_value
      - .offset:         20
        .size:           4
        .value_kind:     by_value
      - .address_space:  global
        .offset:         24
        .size:           8
        .value_kind:     global_buffer
      - .offset:         32
        .size:           8
        .value_kind:     by_value
      - .offset:         40
        .size:           4
        .value_kind:     by_value
      - .offset:         48
        .size:           8
        .value_kind:     by_value
      - .address_space:  global
        .offset:         56
        .size:           8
        .value_kind:     global_buffer
      - .offset:         64
        .size:           8
        .value_kind:     by_value
      - .offset:         72
        .size:           4
        .value_kind:     by_value
      - .offset:         80
        .size:           8
        .value_kind:     by_value
      - .offset:         88
        .size:           4
        .value_kind:     by_value
      - .offset:         96
        .size:           4
        .value_kind:     hidden_block_count_x
      - .offset:         100
        .size:           4
        .value_kind:     hidden_block_count_y
      - .offset:         104
        .size:           4
        .value_kind:     hidden_block_count_z
      - .offset:         108
        .size:           2
        .value_kind:     hidden_group_size_x
      - .offset:         110
        .size:           2
        .value_kind:     hidden_group_size_y
      - .offset:         112
        .size:           2
        .value_kind:     hidden_group_size_z
      - .offset:         114
        .size:           2
        .value_kind:     hidden_remainder_x
      - .offset:         116
        .size:           2
        .value_kind:     hidden_remainder_y
      - .offset:         118
        .size:           2
        .value_kind:     hidden_remainder_z
      - .offset:         136
        .size:           8
        .value_kind:     hidden_global_offset_x
      - .offset:         144
        .size:           8
        .value_kind:     hidden_global_offset_y
      - .offset:         152
        .size:           8
        .value_kind:     hidden_global_offset_z
      - .offset:         160
        .size:           2
        .value_kind:     hidden_grid_dims
    .group_segment_fixed_size: 256
    .kernarg_segment_align: 8
    .kernarg_segment_size: 352
    .language:       OpenCL C
    .language_version:
      - 2
      - 0
    .max_flat_workgroup_size: 8
    .name:           _ZL30rocblas_trsm_small_left_deviceILi8ELi8ELb0EffPKfPfEv13rocblas_fill_18rocblas_operation_17rocblas_diagonal_iiT3_T4_lilT5_lili
    .private_segment_fixed_size: 0
    .sgpr_count:     28
    .sgpr_spill_count: 0
    .symbol:         _ZL30rocblas_trsm_small_left_deviceILi8ELi8ELb0EffPKfPfEv13rocblas_fill_18rocblas_operation_17rocblas_diagonal_iiT3_T4_lilT5_lili.kd
    .uniform_work_group_size: 1
    .uses_dynamic_stack: false
    .vgpr_count:     35
    .vgpr_spill_count: 0
    .wavefront_size: 64
  - .args:
      - .offset:         0
        .size:           4
        .value_kind:     by_value
      - .offset:         4
        .size:           4
        .value_kind:     by_value
      - .offset:         8
        .size:           4
        .value_kind:     by_value
      - .offset:         12
        .size:           4
        .value_kind:     by_value
      - .offset:         16
        .size:           4
        .value_kind:     by_value
      - .offset:         20
        .size:           4
        .value_kind:     by_value
      - .address_space:  global
        .offset:         24
        .size:           8
        .value_kind:     global_buffer
      - .offset:         32
        .size:           8
        .value_kind:     by_value
      - .offset:         40
        .size:           4
        .value_kind:     by_value
      - .offset:         48
        .size:           8
        .value_kind:     by_value
      - .address_space:  global
        .offset:         56
        .size:           8
        .value_kind:     global_buffer
      - .offset:         64
        .size:           8
        .value_kind:     by_value
      - .offset:         72
        .size:           4
        .value_kind:     by_value
      - .offset:         80
        .size:           8
        .value_kind:     by_value
      - .offset:         88
        .size:           4
        .value_kind:     by_value
      - .offset:         96
        .size:           4
        .value_kind:     hidden_block_count_x
      - .offset:         100
        .size:           4
        .value_kind:     hidden_block_count_y
      - .offset:         104
        .size:           4
        .value_kind:     hidden_block_count_z
      - .offset:         108
        .size:           2
        .value_kind:     hidden_group_size_x
      - .offset:         110
        .size:           2
        .value_kind:     hidden_group_size_y
      - .offset:         112
        .size:           2
        .value_kind:     hidden_group_size_z
      - .offset:         114
        .size:           2
        .value_kind:     hidden_remainder_x
      - .offset:         116
        .size:           2
        .value_kind:     hidden_remainder_y
      - .offset:         118
        .size:           2
        .value_kind:     hidden_remainder_z
      - .offset:         136
        .size:           8
        .value_kind:     hidden_global_offset_x
      - .offset:         144
        .size:           8
        .value_kind:     hidden_global_offset_y
      - .offset:         152
        .size:           8
        .value_kind:     hidden_global_offset_z
      - .offset:         160
        .size:           2
        .value_kind:     hidden_grid_dims
    .group_segment_fixed_size: 512
    .kernarg_segment_align: 8
    .kernarg_segment_size: 352
    .language:       OpenCL C
    .language_version:
      - 2
      - 0
    .max_flat_workgroup_size: 8
    .name:           _ZL38rocblas_trsm_small_left_device_sharedBILi8ELi8ELb1EffPKfPfEv13rocblas_fill_18rocblas_operation_17rocblas_diagonal_iiT3_T4_lilT5_lili
    .private_segment_fixed_size: 0
    .sgpr_count:     28
    .sgpr_spill_count: 0
    .symbol:         _ZL38rocblas_trsm_small_left_device_sharedBILi8ELi8ELb1EffPKfPfEv13rocblas_fill_18rocblas_operation_17rocblas_diagonal_iiT3_T4_lilT5_lili.kd
    .uniform_work_group_size: 1
    .uses_dynamic_stack: false
    .vgpr_count:     24
    .vgpr_spill_count: 0
    .wavefront_size: 64
  - .args:
      - .offset:         0
        .size:           4
        .value_kind:     by_value
      - .offset:         4
        .size:           4
        .value_kind:     by_value
      - .offset:         8
        .size:           4
        .value_kind:     by_value
      - .offset:         12
        .size:           4
        .value_kind:     by_value
      - .offset:         16
        .size:           4
        .value_kind:     by_value
      - .offset:         20
        .size:           4
        .value_kind:     by_value
      - .address_space:  global
        .offset:         24
        .size:           8
        .value_kind:     global_buffer
      - .offset:         32
        .size:           8
        .value_kind:     by_value
      - .offset:         40
        .size:           4
        .value_kind:     by_value
      - .offset:         48
        .size:           8
        .value_kind:     by_value
      - .address_space:  global
        .offset:         56
        .size:           8
        .value_kind:     global_buffer
      - .offset:         64
        .size:           8
        .value_kind:     by_value
      - .offset:         72
        .size:           4
        .value_kind:     by_value
      - .offset:         80
        .size:           8
        .value_kind:     by_value
      - .offset:         88
        .size:           4
        .value_kind:     by_value
      - .offset:         96
        .size:           4
        .value_kind:     hidden_block_count_x
      - .offset:         100
        .size:           4
        .value_kind:     hidden_block_count_y
      - .offset:         104
        .size:           4
        .value_kind:     hidden_block_count_z
      - .offset:         108
        .size:           2
        .value_kind:     hidden_group_size_x
      - .offset:         110
        .size:           2
        .value_kind:     hidden_group_size_y
      - .offset:         112
        .size:           2
        .value_kind:     hidden_group_size_z
      - .offset:         114
        .size:           2
        .value_kind:     hidden_remainder_x
      - .offset:         116
        .size:           2
        .value_kind:     hidden_remainder_y
      - .offset:         118
        .size:           2
        .value_kind:     hidden_remainder_z
      - .offset:         136
        .size:           8
        .value_kind:     hidden_global_offset_x
      - .offset:         144
        .size:           8
        .value_kind:     hidden_global_offset_y
      - .offset:         152
        .size:           8
        .value_kind:     hidden_global_offset_z
      - .offset:         160
        .size:           2
        .value_kind:     hidden_grid_dims
    .group_segment_fixed_size: 256
    .kernarg_segment_align: 8
    .kernarg_segment_size: 352
    .language:       OpenCL C
    .language_version:
      - 2
      - 0
    .max_flat_workgroup_size: 8
    .name:           _ZL30rocblas_trsm_small_left_deviceILi8ELi8ELb1EffPKfPfEv13rocblas_fill_18rocblas_operation_17rocblas_diagonal_iiT3_T4_lilT5_lili
    .private_segment_fixed_size: 0
    .sgpr_count:     28
    .sgpr_spill_count: 0
    .symbol:         _ZL30rocblas_trsm_small_left_deviceILi8ELi8ELb1EffPKfPfEv13rocblas_fill_18rocblas_operation_17rocblas_diagonal_iiT3_T4_lilT5_lili.kd
    .uniform_work_group_size: 1
    .uses_dynamic_stack: false
    .vgpr_count:     24
    .vgpr_spill_count: 0
    .wavefront_size: 64
  - .args:
      - .offset:         0
        .size:           4
        .value_kind:     by_value
      - .offset:         4
        .size:           4
        .value_kind:     by_value
      - .offset:         8
        .size:           4
        .value_kind:     by_value
      - .offset:         12
        .size:           4
        .value_kind:     by_value
      - .offset:         16
        .size:           4
        .value_kind:     by_value
      - .offset:         20
        .size:           4
        .value_kind:     by_value
      - .address_space:  global
        .offset:         24
        .size:           8
        .value_kind:     global_buffer
      - .offset:         32
        .size:           8
        .value_kind:     by_value
      - .offset:         40
        .size:           4
        .value_kind:     by_value
      - .offset:         48
        .size:           8
        .value_kind:     by_value
      - .address_space:  global
        .offset:         56
        .size:           8
        .value_kind:     global_buffer
      - .offset:         64
        .size:           8
        .value_kind:     by_value
      - .offset:         72
        .size:           4
        .value_kind:     by_value
      - .offset:         80
        .size:           8
        .value_kind:     by_value
      - .offset:         88
        .size:           4
        .value_kind:     by_value
      - .offset:         96
        .size:           4
        .value_kind:     hidden_block_count_x
      - .offset:         100
        .size:           4
        .value_kind:     hidden_block_count_y
      - .offset:         104
        .size:           4
        .value_kind:     hidden_block_count_z
      - .offset:         108
        .size:           2
        .value_kind:     hidden_group_size_x
      - .offset:         110
        .size:           2
        .value_kind:     hidden_group_size_y
      - .offset:         112
        .size:           2
        .value_kind:     hidden_group_size_z
      - .offset:         114
        .size:           2
        .value_kind:     hidden_remainder_x
      - .offset:         116
        .size:           2
        .value_kind:     hidden_remainder_y
      - .offset:         118
        .size:           2
        .value_kind:     hidden_remainder_z
      - .offset:         136
        .size:           8
        .value_kind:     hidden_global_offset_x
      - .offset:         144
        .size:           8
        .value_kind:     hidden_global_offset_y
      - .offset:         152
        .size:           8
        .value_kind:     hidden_global_offset_z
      - .offset:         160
        .size:           2
        .value_kind:     hidden_grid_dims
    .group_segment_fixed_size: 512
    .kernarg_segment_align: 8
    .kernarg_segment_size: 352
    .language:       OpenCL C
    .language_version:
      - 2
      - 0
    .max_flat_workgroup_size: 8
    .name:           _ZL31rocblas_trsm_small_right_deviceIffPKfPfLi8EEv13rocblas_fill_18rocblas_operation_17rocblas_diagonal_iiT0_T1_lilT2_lili
    .private_segment_fixed_size: 0
    .sgpr_count:     30
    .sgpr_spill_count: 0
    .symbol:         _ZL31rocblas_trsm_small_right_deviceIffPKfPfLi8EEv13rocblas_fill_18rocblas_operation_17rocblas_diagonal_iiT0_T1_lilT2_lili.kd
    .uniform_work_group_size: 1
    .uses_dynamic_stack: false
    .vgpr_count:     23
    .vgpr_spill_count: 0
    .wavefront_size: 64
  - .args:
      - .offset:         0
        .size:           4
        .value_kind:     by_value
      - .offset:         4
        .size:           4
        .value_kind:     by_value
      - .offset:         8
        .size:           4
        .value_kind:     by_value
      - .offset:         12
        .size:           4
        .value_kind:     by_value
      - .offset:         16
        .size:           4
        .value_kind:     by_value
      - .offset:         20
        .size:           4
        .value_kind:     by_value
      - .address_space:  global
        .offset:         24
        .size:           8
        .value_kind:     global_buffer
      - .offset:         32
        .size:           8
        .value_kind:     by_value
      - .offset:         40
        .size:           4
        .value_kind:     by_value
      - .offset:         48
        .size:           8
        .value_kind:     by_value
      - .address_space:  global
        .offset:         56
        .size:           8
        .value_kind:     global_buffer
      - .offset:         64
        .size:           8
        .value_kind:     by_value
      - .offset:         72
        .size:           4
        .value_kind:     by_value
      - .offset:         80
        .size:           8
        .value_kind:     by_value
      - .offset:         88
        .size:           4
        .value_kind:     by_value
      - .offset:         96
        .size:           4
        .value_kind:     hidden_block_count_x
      - .offset:         100
        .size:           4
        .value_kind:     hidden_block_count_y
      - .offset:         104
        .size:           4
        .value_kind:     hidden_block_count_z
      - .offset:         108
        .size:           2
        .value_kind:     hidden_group_size_x
      - .offset:         110
        .size:           2
        .value_kind:     hidden_group_size_y
      - .offset:         112
        .size:           2
        .value_kind:     hidden_group_size_z
      - .offset:         114
        .size:           2
        .value_kind:     hidden_remainder_x
      - .offset:         116
        .size:           2
        .value_kind:     hidden_remainder_y
      - .offset:         118
        .size:           2
        .value_kind:     hidden_remainder_z
      - .offset:         136
        .size:           8
        .value_kind:     hidden_global_offset_x
      - .offset:         144
        .size:           8
        .value_kind:     hidden_global_offset_y
      - .offset:         152
        .size:           8
        .value_kind:     hidden_global_offset_z
      - .offset:         160
        .size:           2
        .value_kind:     hidden_grid_dims
    .group_segment_fixed_size: 1152
    .kernarg_segment_align: 8
    .kernarg_segment_size: 352
    .language:       OpenCL C
    .language_version:
      - 2
      - 0
    .max_flat_workgroup_size: 12
    .name:           _ZL38rocblas_trsm_small_left_device_sharedBILi12ELi12ELb0EffPKfPfEv13rocblas_fill_18rocblas_operation_17rocblas_diagonal_iiT3_T4_lilT5_lili
    .private_segment_fixed_size: 0
    .sgpr_count:     28
    .sgpr_spill_count: 0
    .symbol:         _ZL38rocblas_trsm_small_left_device_sharedBILi12ELi12ELb0EffPKfPfEv13rocblas_fill_18rocblas_operation_17rocblas_diagonal_iiT3_T4_lilT5_lili.kd
    .uniform_work_group_size: 1
    .uses_dynamic_stack: false
    .vgpr_count:     32
    .vgpr_spill_count: 0
    .wavefront_size: 64
  - .args:
      - .offset:         0
        .size:           4
        .value_kind:     by_value
      - .offset:         4
        .size:           4
        .value_kind:     by_value
      - .offset:         8
        .size:           4
        .value_kind:     by_value
      - .offset:         12
        .size:           4
        .value_kind:     by_value
      - .offset:         16
        .size:           4
        .value_kind:     by_value
      - .offset:         20
        .size:           4
        .value_kind:     by_value
      - .address_space:  global
        .offset:         24
        .size:           8
        .value_kind:     global_buffer
      - .offset:         32
        .size:           8
        .value_kind:     by_value
      - .offset:         40
        .size:           4
        .value_kind:     by_value
      - .offset:         48
        .size:           8
        .value_kind:     by_value
      - .address_space:  global
        .offset:         56
        .size:           8
        .value_kind:     global_buffer
      - .offset:         64
        .size:           8
        .value_kind:     by_value
      - .offset:         72
        .size:           4
        .value_kind:     by_value
      - .offset:         80
        .size:           8
        .value_kind:     by_value
      - .offset:         88
        .size:           4
        .value_kind:     by_value
      - .offset:         96
        .size:           4
        .value_kind:     hidden_block_count_x
      - .offset:         100
        .size:           4
        .value_kind:     hidden_block_count_y
      - .offset:         104
        .size:           4
        .value_kind:     hidden_block_count_z
      - .offset:         108
        .size:           2
        .value_kind:     hidden_group_size_x
      - .offset:         110
        .size:           2
        .value_kind:     hidden_group_size_y
      - .offset:         112
        .size:           2
        .value_kind:     hidden_group_size_z
      - .offset:         114
        .size:           2
        .value_kind:     hidden_remainder_x
      - .offset:         116
        .size:           2
        .value_kind:     hidden_remainder_y
      - .offset:         118
        .size:           2
        .value_kind:     hidden_remainder_z
      - .offset:         136
        .size:           8
        .value_kind:     hidden_global_offset_x
      - .offset:         144
        .size:           8
        .value_kind:     hidden_global_offset_y
      - .offset:         152
        .size:           8
        .value_kind:     hidden_global_offset_z
      - .offset:         160
        .size:           2
        .value_kind:     hidden_grid_dims
    .group_segment_fixed_size: 576
    .kernarg_segment_align: 8
    .kernarg_segment_size: 352
    .language:       OpenCL C
    .language_version:
      - 2
      - 0
    .max_flat_workgroup_size: 12
    .name:           _ZL30rocblas_trsm_small_left_deviceILi12ELi12ELb0EffPKfPfEv13rocblas_fill_18rocblas_operation_17rocblas_diagonal_iiT3_T4_lilT5_lili
    .private_segment_fixed_size: 0
    .sgpr_count:     28
    .sgpr_spill_count: 0
    .symbol:         _ZL30rocblas_trsm_small_left_deviceILi12ELi12ELb0EffPKfPfEv13rocblas_fill_18rocblas_operation_17rocblas_diagonal_iiT3_T4_lilT5_lili.kd
    .uniform_work_group_size: 1
    .uses_dynamic_stack: false
    .vgpr_count:     29
    .vgpr_spill_count: 0
    .wavefront_size: 64
  - .args:
      - .offset:         0
        .size:           4
        .value_kind:     by_value
      - .offset:         4
        .size:           4
        .value_kind:     by_value
      - .offset:         8
        .size:           4
        .value_kind:     by_value
      - .offset:         12
        .size:           4
        .value_kind:     by_value
      - .offset:         16
        .size:           4
        .value_kind:     by_value
      - .offset:         20
        .size:           4
        .value_kind:     by_value
      - .address_space:  global
        .offset:         24
        .size:           8
        .value_kind:     global_buffer
      - .offset:         32
        .size:           8
        .value_kind:     by_value
      - .offset:         40
        .size:           4
        .value_kind:     by_value
      - .offset:         48
        .size:           8
        .value_kind:     by_value
      - .address_space:  global
        .offset:         56
        .size:           8
        .value_kind:     global_buffer
      - .offset:         64
        .size:           8
        .value_kind:     by_value
      - .offset:         72
        .size:           4
        .value_kind:     by_value
      - .offset:         80
        .size:           8
        .value_kind:     by_value
      - .offset:         88
        .size:           4
        .value_kind:     by_value
      - .offset:         96
        .size:           4
        .value_kind:     hidden_block_count_x
      - .offset:         100
        .size:           4
        .value_kind:     hidden_block_count_y
      - .offset:         104
        .size:           4
        .value_kind:     hidden_block_count_z
      - .offset:         108
        .size:           2
        .value_kind:     hidden_group_size_x
      - .offset:         110
        .size:           2
        .value_kind:     hidden_group_size_y
      - .offset:         112
        .size:           2
        .value_kind:     hidden_group_size_z
      - .offset:         114
        .size:           2
        .value_kind:     hidden_remainder_x
      - .offset:         116
        .size:           2
        .value_kind:     hidden_remainder_y
      - .offset:         118
        .size:           2
        .value_kind:     hidden_remainder_z
      - .offset:         136
        .size:           8
        .value_kind:     hidden_global_offset_x
      - .offset:         144
        .size:           8
        .value_kind:     hidden_global_offset_y
      - .offset:         152
        .size:           8
        .value_kind:     hidden_global_offset_z
      - .offset:         160
        .size:           2
        .value_kind:     hidden_grid_dims
    .group_segment_fixed_size: 1152
    .kernarg_segment_align: 8
    .kernarg_segment_size: 352
    .language:       OpenCL C
    .language_version:
      - 2
      - 0
    .max_flat_workgroup_size: 12
    .name:           _ZL38rocblas_trsm_small_left_device_sharedBILi12ELi12ELb1EffPKfPfEv13rocblas_fill_18rocblas_operation_17rocblas_diagonal_iiT3_T4_lilT5_lili
    .private_segment_fixed_size: 0
    .sgpr_count:     28
    .sgpr_spill_count: 0
    .symbol:         _ZL38rocblas_trsm_small_left_device_sharedBILi12ELi12ELb1EffPKfPfEv13rocblas_fill_18rocblas_operation_17rocblas_diagonal_iiT3_T4_lilT5_lili.kd
    .uniform_work_group_size: 1
    .uses_dynamic_stack: false
    .vgpr_count:     26
    .vgpr_spill_count: 0
    .wavefront_size: 64
  - .args:
      - .offset:         0
        .size:           4
        .value_kind:     by_value
      - .offset:         4
        .size:           4
        .value_kind:     by_value
      - .offset:         8
        .size:           4
        .value_kind:     by_value
      - .offset:         12
        .size:           4
        .value_kind:     by_value
      - .offset:         16
        .size:           4
        .value_kind:     by_value
      - .offset:         20
        .size:           4
        .value_kind:     by_value
      - .address_space:  global
        .offset:         24
        .size:           8
        .value_kind:     global_buffer
      - .offset:         32
        .size:           8
        .value_kind:     by_value
      - .offset:         40
        .size:           4
        .value_kind:     by_value
      - .offset:         48
        .size:           8
        .value_kind:     by_value
      - .address_space:  global
        .offset:         56
        .size:           8
        .value_kind:     global_buffer
      - .offset:         64
        .size:           8
        .value_kind:     by_value
      - .offset:         72
        .size:           4
        .value_kind:     by_value
      - .offset:         80
        .size:           8
        .value_kind:     by_value
      - .offset:         88
        .size:           4
        .value_kind:     by_value
      - .offset:         96
        .size:           4
        .value_kind:     hidden_block_count_x
      - .offset:         100
        .size:           4
        .value_kind:     hidden_block_count_y
      - .offset:         104
        .size:           4
        .value_kind:     hidden_block_count_z
      - .offset:         108
        .size:           2
        .value_kind:     hidden_group_size_x
      - .offset:         110
        .size:           2
        .value_kind:     hidden_group_size_y
      - .offset:         112
        .size:           2
        .value_kind:     hidden_group_size_z
      - .offset:         114
        .size:           2
        .value_kind:     hidden_remainder_x
      - .offset:         116
        .size:           2
        .value_kind:     hidden_remainder_y
      - .offset:         118
        .size:           2
        .value_kind:     hidden_remainder_z
      - .offset:         136
        .size:           8
        .value_kind:     hidden_global_offset_x
      - .offset:         144
        .size:           8
        .value_kind:     hidden_global_offset_y
      - .offset:         152
        .size:           8
        .value_kind:     hidden_global_offset_z
      - .offset:         160
        .size:           2
        .value_kind:     hidden_grid_dims
    .group_segment_fixed_size: 576
    .kernarg_segment_align: 8
    .kernarg_segment_size: 352
    .language:       OpenCL C
    .language_version:
      - 2
      - 0
    .max_flat_workgroup_size: 12
    .name:           _ZL30rocblas_trsm_small_left_deviceILi12ELi12ELb1EffPKfPfEv13rocblas_fill_18rocblas_operation_17rocblas_diagonal_iiT3_T4_lilT5_lili
    .private_segment_fixed_size: 0
    .sgpr_count:     28
    .sgpr_spill_count: 0
    .symbol:         _ZL30rocblas_trsm_small_left_deviceILi12ELi12ELb1EffPKfPfEv13rocblas_fill_18rocblas_operation_17rocblas_diagonal_iiT3_T4_lilT5_lili.kd
    .uniform_work_group_size: 1
    .uses_dynamic_stack: false
    .vgpr_count:     30
    .vgpr_spill_count: 0
    .wavefront_size: 64
  - .args:
      - .offset:         0
        .size:           4
        .value_kind:     by_value
      - .offset:         4
        .size:           4
        .value_kind:     by_value
      - .offset:         8
        .size:           4
        .value_kind:     by_value
      - .offset:         12
        .size:           4
        .value_kind:     by_value
      - .offset:         16
        .size:           4
        .value_kind:     by_value
      - .offset:         20
        .size:           4
        .value_kind:     by_value
      - .address_space:  global
        .offset:         24
        .size:           8
        .value_kind:     global_buffer
      - .offset:         32
        .size:           8
        .value_kind:     by_value
      - .offset:         40
        .size:           4
        .value_kind:     by_value
      - .offset:         48
        .size:           8
        .value_kind:     by_value
      - .address_space:  global
        .offset:         56
        .size:           8
        .value_kind:     global_buffer
      - .offset:         64
        .size:           8
        .value_kind:     by_value
      - .offset:         72
        .size:           4
        .value_kind:     by_value
      - .offset:         80
        .size:           8
        .value_kind:     by_value
      - .offset:         88
        .size:           4
        .value_kind:     by_value
      - .offset:         96
        .size:           4
        .value_kind:     hidden_block_count_x
      - .offset:         100
        .size:           4
        .value_kind:     hidden_block_count_y
      - .offset:         104
        .size:           4
        .value_kind:     hidden_block_count_z
      - .offset:         108
        .size:           2
        .value_kind:     hidden_group_size_x
      - .offset:         110
        .size:           2
        .value_kind:     hidden_group_size_y
      - .offset:         112
        .size:           2
        .value_kind:     hidden_group_size_z
      - .offset:         114
        .size:           2
        .value_kind:     hidden_remainder_x
      - .offset:         116
        .size:           2
        .value_kind:     hidden_remainder_y
      - .offset:         118
        .size:           2
        .value_kind:     hidden_remainder_z
      - .offset:         136
        .size:           8
        .value_kind:     hidden_global_offset_x
      - .offset:         144
        .size:           8
        .value_kind:     hidden_global_offset_y
      - .offset:         152
        .size:           8
        .value_kind:     hidden_global_offset_z
      - .offset:         160
        .size:           2
        .value_kind:     hidden_grid_dims
    .group_segment_fixed_size: 1152
    .kernarg_segment_align: 8
    .kernarg_segment_size: 352
    .language:       OpenCL C
    .language_version:
      - 2
      - 0
    .max_flat_workgroup_size: 12
    .name:           _ZL31rocblas_trsm_small_right_deviceIffPKfPfLi12EEv13rocblas_fill_18rocblas_operation_17rocblas_diagonal_iiT0_T1_lilT2_lili
    .private_segment_fixed_size: 0
    .sgpr_count:     30
    .sgpr_spill_count: 0
    .symbol:         _ZL31rocblas_trsm_small_right_deviceIffPKfPfLi12EEv13rocblas_fill_18rocblas_operation_17rocblas_diagonal_iiT0_T1_lilT2_lili.kd
    .uniform_work_group_size: 1
    .uses_dynamic_stack: false
    .vgpr_count:     23
    .vgpr_spill_count: 0
    .wavefront_size: 64
  - .args:
      - .offset:         0
        .size:           4
        .value_kind:     by_value
      - .offset:         4
        .size:           4
        .value_kind:     by_value
      - .offset:         8
        .size:           4
        .value_kind:     by_value
      - .offset:         12
        .size:           4
        .value_kind:     by_value
      - .offset:         16
        .size:           4
        .value_kind:     by_value
      - .offset:         20
        .size:           4
        .value_kind:     by_value
      - .address_space:  global
        .offset:         24
        .size:           8
        .value_kind:     global_buffer
      - .offset:         32
        .size:           8
        .value_kind:     by_value
      - .offset:         40
        .size:           4
        .value_kind:     by_value
      - .offset:         48
        .size:           8
        .value_kind:     by_value
      - .address_space:  global
        .offset:         56
        .size:           8
        .value_kind:     global_buffer
      - .offset:         64
        .size:           8
        .value_kind:     by_value
      - .offset:         72
        .size:           4
        .value_kind:     by_value
      - .offset:         80
        .size:           8
        .value_kind:     by_value
      - .offset:         88
        .size:           4
        .value_kind:     by_value
      - .offset:         96
        .size:           4
        .value_kind:     hidden_block_count_x
      - .offset:         100
        .size:           4
        .value_kind:     hidden_block_count_y
      - .offset:         104
        .size:           4
        .value_kind:     hidden_block_count_z
      - .offset:         108
        .size:           2
        .value_kind:     hidden_group_size_x
      - .offset:         110
        .size:           2
        .value_kind:     hidden_group_size_y
      - .offset:         112
        .size:           2
        .value_kind:     hidden_group_size_z
      - .offset:         114
        .size:           2
        .value_kind:     hidden_remainder_x
      - .offset:         116
        .size:           2
        .value_kind:     hidden_remainder_y
      - .offset:         118
        .size:           2
        .value_kind:     hidden_remainder_z
      - .offset:         136
        .size:           8
        .value_kind:     hidden_global_offset_x
      - .offset:         144
        .size:           8
        .value_kind:     hidden_global_offset_y
      - .offset:         152
        .size:           8
        .value_kind:     hidden_global_offset_z
      - .offset:         160
        .size:           2
        .value_kind:     hidden_grid_dims
    .group_segment_fixed_size: 2048
    .kernarg_segment_align: 8
    .kernarg_segment_size: 352
    .language:       OpenCL C
    .language_version:
      - 2
      - 0
    .max_flat_workgroup_size: 16
    .name:           _ZL38rocblas_trsm_small_left_device_sharedBILi16ELi16ELb0EffPKfPfEv13rocblas_fill_18rocblas_operation_17rocblas_diagonal_iiT3_T4_lilT5_lili
    .private_segment_fixed_size: 0
    .sgpr_count:     28
    .sgpr_spill_count: 0
    .symbol:         _ZL38rocblas_trsm_small_left_device_sharedBILi16ELi16ELb0EffPKfPfEv13rocblas_fill_18rocblas_operation_17rocblas_diagonal_iiT3_T4_lilT5_lili.kd
    .uniform_work_group_size: 1
    .uses_dynamic_stack: false
    .vgpr_count:     49
    .vgpr_spill_count: 0
    .wavefront_size: 64
  - .args:
      - .offset:         0
        .size:           4
        .value_kind:     by_value
      - .offset:         4
        .size:           4
        .value_kind:     by_value
      - .offset:         8
        .size:           4
        .value_kind:     by_value
      - .offset:         12
        .size:           4
        .value_kind:     by_value
      - .offset:         16
        .size:           4
        .value_kind:     by_value
      - .offset:         20
        .size:           4
        .value_kind:     by_value
      - .address_space:  global
        .offset:         24
        .size:           8
        .value_kind:     global_buffer
      - .offset:         32
        .size:           8
        .value_kind:     by_value
      - .offset:         40
        .size:           4
        .value_kind:     by_value
      - .offset:         48
        .size:           8
        .value_kind:     by_value
      - .address_space:  global
        .offset:         56
        .size:           8
        .value_kind:     global_buffer
      - .offset:         64
        .size:           8
        .value_kind:     by_value
      - .offset:         72
        .size:           4
        .value_kind:     by_value
      - .offset:         80
        .size:           8
        .value_kind:     by_value
      - .offset:         88
        .size:           4
        .value_kind:     by_value
      - .offset:         96
        .size:           4
        .value_kind:     hidden_block_count_x
      - .offset:         100
        .size:           4
        .value_kind:     hidden_block_count_y
      - .offset:         104
        .size:           4
        .value_kind:     hidden_block_count_z
      - .offset:         108
        .size:           2
        .value_kind:     hidden_group_size_x
      - .offset:         110
        .size:           2
        .value_kind:     hidden_group_size_y
      - .offset:         112
        .size:           2
        .value_kind:     hidden_group_size_z
      - .offset:         114
        .size:           2
        .value_kind:     hidden_remainder_x
      - .offset:         116
        .size:           2
        .value_kind:     hidden_remainder_y
      - .offset:         118
        .size:           2
        .value_kind:     hidden_remainder_z
      - .offset:         136
        .size:           8
        .value_kind:     hidden_global_offset_x
      - .offset:         144
        .size:           8
        .value_kind:     hidden_global_offset_y
      - .offset:         152
        .size:           8
        .value_kind:     hidden_global_offset_z
      - .offset:         160
        .size:           2
        .value_kind:     hidden_grid_dims
    .group_segment_fixed_size: 1024
    .kernarg_segment_align: 8
    .kernarg_segment_size: 352
    .language:       OpenCL C
    .language_version:
      - 2
      - 0
    .max_flat_workgroup_size: 16
    .name:           _ZL30rocblas_trsm_small_left_deviceILi16ELi16ELb0EffPKfPfEv13rocblas_fill_18rocblas_operation_17rocblas_diagonal_iiT3_T4_lilT5_lili
    .private_segment_fixed_size: 0
    .sgpr_count:     28
    .sgpr_spill_count: 0
    .symbol:         _ZL30rocblas_trsm_small_left_deviceILi16ELi16ELb0EffPKfPfEv13rocblas_fill_18rocblas_operation_17rocblas_diagonal_iiT3_T4_lilT5_lili.kd
    .uniform_work_group_size: 1
    .uses_dynamic_stack: false
    .vgpr_count:     39
    .vgpr_spill_count: 0
    .wavefront_size: 64
  - .args:
      - .offset:         0
        .size:           4
        .value_kind:     by_value
      - .offset:         4
        .size:           4
        .value_kind:     by_value
      - .offset:         8
        .size:           4
        .value_kind:     by_value
      - .offset:         12
        .size:           4
        .value_kind:     by_value
      - .offset:         16
        .size:           4
        .value_kind:     by_value
      - .offset:         20
        .size:           4
        .value_kind:     by_value
      - .address_space:  global
        .offset:         24
        .size:           8
        .value_kind:     global_buffer
      - .offset:         32
        .size:           8
        .value_kind:     by_value
      - .offset:         40
        .size:           4
        .value_kind:     by_value
      - .offset:         48
        .size:           8
        .value_kind:     by_value
      - .address_space:  global
        .offset:         56
        .size:           8
        .value_kind:     global_buffer
      - .offset:         64
        .size:           8
        .value_kind:     by_value
      - .offset:         72
        .size:           4
        .value_kind:     by_value
      - .offset:         80
        .size:           8
        .value_kind:     by_value
      - .offset:         88
        .size:           4
        .value_kind:     by_value
      - .offset:         96
        .size:           4
        .value_kind:     hidden_block_count_x
      - .offset:         100
        .size:           4
        .value_kind:     hidden_block_count_y
      - .offset:         104
        .size:           4
        .value_kind:     hidden_block_count_z
      - .offset:         108
        .size:           2
        .value_kind:     hidden_group_size_x
      - .offset:         110
        .size:           2
        .value_kind:     hidden_group_size_y
      - .offset:         112
        .size:           2
        .value_kind:     hidden_group_size_z
      - .offset:         114
        .size:           2
        .value_kind:     hidden_remainder_x
      - .offset:         116
        .size:           2
        .value_kind:     hidden_remainder_y
      - .offset:         118
        .size:           2
        .value_kind:     hidden_remainder_z
      - .offset:         136
        .size:           8
        .value_kind:     hidden_global_offset_x
      - .offset:         144
        .size:           8
        .value_kind:     hidden_global_offset_y
      - .offset:         152
        .size:           8
        .value_kind:     hidden_global_offset_z
      - .offset:         160
        .size:           2
        .value_kind:     hidden_grid_dims
    .group_segment_fixed_size: 2048
    .kernarg_segment_align: 8
    .kernarg_segment_size: 352
    .language:       OpenCL C
    .language_version:
      - 2
      - 0
    .max_flat_workgroup_size: 16
    .name:           _ZL38rocblas_trsm_small_left_device_sharedBILi16ELi16ELb1EffPKfPfEv13rocblas_fill_18rocblas_operation_17rocblas_diagonal_iiT3_T4_lilT5_lili
    .private_segment_fixed_size: 0
    .sgpr_count:     28
    .sgpr_spill_count: 0
    .symbol:         _ZL38rocblas_trsm_small_left_device_sharedBILi16ELi16ELb1EffPKfPfEv13rocblas_fill_18rocblas_operation_17rocblas_diagonal_iiT3_T4_lilT5_lili.kd
    .uniform_work_group_size: 1
    .uses_dynamic_stack: false
    .vgpr_count:     35
    .vgpr_spill_count: 0
    .wavefront_size: 64
  - .args:
      - .offset:         0
        .size:           4
        .value_kind:     by_value
      - .offset:         4
        .size:           4
        .value_kind:     by_value
      - .offset:         8
        .size:           4
        .value_kind:     by_value
      - .offset:         12
        .size:           4
        .value_kind:     by_value
      - .offset:         16
        .size:           4
        .value_kind:     by_value
      - .offset:         20
        .size:           4
        .value_kind:     by_value
      - .address_space:  global
        .offset:         24
        .size:           8
        .value_kind:     global_buffer
      - .offset:         32
        .size:           8
        .value_kind:     by_value
      - .offset:         40
        .size:           4
        .value_kind:     by_value
      - .offset:         48
        .size:           8
        .value_kind:     by_value
      - .address_space:  global
        .offset:         56
        .size:           8
        .value_kind:     global_buffer
      - .offset:         64
        .size:           8
        .value_kind:     by_value
      - .offset:         72
        .size:           4
        .value_kind:     by_value
      - .offset:         80
        .size:           8
        .value_kind:     by_value
      - .offset:         88
        .size:           4
        .value_kind:     by_value
      - .offset:         96
        .size:           4
        .value_kind:     hidden_block_count_x
      - .offset:         100
        .size:           4
        .value_kind:     hidden_block_count_y
      - .offset:         104
        .size:           4
        .value_kind:     hidden_block_count_z
      - .offset:         108
        .size:           2
        .value_kind:     hidden_group_size_x
      - .offset:         110
        .size:           2
        .value_kind:     hidden_group_size_y
      - .offset:         112
        .size:           2
        .value_kind:     hidden_group_size_z
      - .offset:         114
        .size:           2
        .value_kind:     hidden_remainder_x
      - .offset:         116
        .size:           2
        .value_kind:     hidden_remainder_y
      - .offset:         118
        .size:           2
        .value_kind:     hidden_remainder_z
      - .offset:         136
        .size:           8
        .value_kind:     hidden_global_offset_x
      - .offset:         144
        .size:           8
        .value_kind:     hidden_global_offset_y
      - .offset:         152
        .size:           8
        .value_kind:     hidden_global_offset_z
      - .offset:         160
        .size:           2
        .value_kind:     hidden_grid_dims
    .group_segment_fixed_size: 1024
    .kernarg_segment_align: 8
    .kernarg_segment_size: 352
    .language:       OpenCL C
    .language_version:
      - 2
      - 0
    .max_flat_workgroup_size: 16
    .name:           _ZL30rocblas_trsm_small_left_deviceILi16ELi16ELb1EffPKfPfEv13rocblas_fill_18rocblas_operation_17rocblas_diagonal_iiT3_T4_lilT5_lili
    .private_segment_fixed_size: 0
    .sgpr_count:     28
    .sgpr_spill_count: 0
    .symbol:         _ZL30rocblas_trsm_small_left_deviceILi16ELi16ELb1EffPKfPfEv13rocblas_fill_18rocblas_operation_17rocblas_diagonal_iiT3_T4_lilT5_lili.kd
    .uniform_work_group_size: 1
    .uses_dynamic_stack: false
    .vgpr_count:     35
    .vgpr_spill_count: 0
    .wavefront_size: 64
  - .args:
      - .offset:         0
        .size:           4
        .value_kind:     by_value
      - .offset:         4
        .size:           4
        .value_kind:     by_value
      - .offset:         8
        .size:           4
        .value_kind:     by_value
      - .offset:         12
        .size:           4
        .value_kind:     by_value
      - .offset:         16
        .size:           4
        .value_kind:     by_value
      - .offset:         20
        .size:           4
        .value_kind:     by_value
      - .address_space:  global
        .offset:         24
        .size:           8
        .value_kind:     global_buffer
      - .offset:         32
        .size:           8
        .value_kind:     by_value
      - .offset:         40
        .size:           4
        .value_kind:     by_value
      - .offset:         48
        .size:           8
        .value_kind:     by_value
      - .address_space:  global
        .offset:         56
        .size:           8
        .value_kind:     global_buffer
      - .offset:         64
        .size:           8
        .value_kind:     by_value
      - .offset:         72
        .size:           4
        .value_kind:     by_value
      - .offset:         80
        .size:           8
        .value_kind:     by_value
      - .offset:         88
        .size:           4
        .value_kind:     by_value
      - .offset:         96
        .size:           4
        .value_kind:     hidden_block_count_x
      - .offset:         100
        .size:           4
        .value_kind:     hidden_block_count_y
      - .offset:         104
        .size:           4
        .value_kind:     hidden_block_count_z
      - .offset:         108
        .size:           2
        .value_kind:     hidden_group_size_x
      - .offset:         110
        .size:           2
        .value_kind:     hidden_group_size_y
      - .offset:         112
        .size:           2
        .value_kind:     hidden_group_size_z
      - .offset:         114
        .size:           2
        .value_kind:     hidden_remainder_x
      - .offset:         116
        .size:           2
        .value_kind:     hidden_remainder_y
      - .offset:         118
        .size:           2
        .value_kind:     hidden_remainder_z
      - .offset:         136
        .size:           8
        .value_kind:     hidden_global_offset_x
      - .offset:         144
        .size:           8
        .value_kind:     hidden_global_offset_y
      - .offset:         152
        .size:           8
        .value_kind:     hidden_global_offset_z
      - .offset:         160
        .size:           2
        .value_kind:     hidden_grid_dims
    .group_segment_fixed_size: 2048
    .kernarg_segment_align: 8
    .kernarg_segment_size: 352
    .language:       OpenCL C
    .language_version:
      - 2
      - 0
    .max_flat_workgroup_size: 16
    .name:           _ZL31rocblas_trsm_small_right_deviceIffPKfPfLi16EEv13rocblas_fill_18rocblas_operation_17rocblas_diagonal_iiT0_T1_lilT2_lili
    .private_segment_fixed_size: 0
    .sgpr_count:     30
    .sgpr_spill_count: 0
    .symbol:         _ZL31rocblas_trsm_small_right_deviceIffPKfPfLi16EEv13rocblas_fill_18rocblas_operation_17rocblas_diagonal_iiT0_T1_lilT2_lili.kd
    .uniform_work_group_size: 1
    .uses_dynamic_stack: false
    .vgpr_count:     23
    .vgpr_spill_count: 0
    .wavefront_size: 64
  - .args:
      - .offset:         0
        .size:           4
        .value_kind:     by_value
      - .offset:         4
        .size:           4
        .value_kind:     by_value
      - .offset:         8
        .size:           4
        .value_kind:     by_value
      - .offset:         12
        .size:           4
        .value_kind:     by_value
      - .offset:         16
        .size:           4
        .value_kind:     by_value
      - .offset:         20
        .size:           4
        .value_kind:     by_value
      - .address_space:  global
        .offset:         24
        .size:           8
        .value_kind:     global_buffer
      - .offset:         32
        .size:           8
        .value_kind:     by_value
      - .offset:         40
        .size:           4
        .value_kind:     by_value
      - .offset:         48
        .size:           8
        .value_kind:     by_value
      - .address_space:  global
        .offset:         56
        .size:           8
        .value_kind:     global_buffer
      - .offset:         64
        .size:           8
        .value_kind:     by_value
      - .offset:         72
        .size:           4
        .value_kind:     by_value
      - .offset:         80
        .size:           8
        .value_kind:     by_value
      - .offset:         88
        .size:           4
        .value_kind:     by_value
      - .offset:         96
        .size:           4
        .value_kind:     hidden_block_count_x
      - .offset:         100
        .size:           4
        .value_kind:     hidden_block_count_y
      - .offset:         104
        .size:           4
        .value_kind:     hidden_block_count_z
      - .offset:         108
        .size:           2
        .value_kind:     hidden_group_size_x
      - .offset:         110
        .size:           2
        .value_kind:     hidden_group_size_y
      - .offset:         112
        .size:           2
        .value_kind:     hidden_group_size_z
      - .offset:         114
        .size:           2
        .value_kind:     hidden_remainder_x
      - .offset:         116
        .size:           2
        .value_kind:     hidden_remainder_y
      - .offset:         118
        .size:           2
        .value_kind:     hidden_remainder_z
      - .offset:         136
        .size:           8
        .value_kind:     hidden_global_offset_x
      - .offset:         144
        .size:           8
        .value_kind:     hidden_global_offset_y
      - .offset:         152
        .size:           8
        .value_kind:     hidden_global_offset_z
      - .offset:         160
        .size:           2
        .value_kind:     hidden_grid_dims
    .group_segment_fixed_size: 3200
    .kernarg_segment_align: 8
    .kernarg_segment_size: 352
    .language:       OpenCL C
    .language_version:
      - 2
      - 0
    .max_flat_workgroup_size: 20
    .name:           _ZL38rocblas_trsm_small_left_device_sharedBILi20ELi20ELb0EffPKfPfEv13rocblas_fill_18rocblas_operation_17rocblas_diagonal_iiT3_T4_lilT5_lili
    .private_segment_fixed_size: 0
    .sgpr_count:     30
    .sgpr_spill_count: 0
    .symbol:         _ZL38rocblas_trsm_small_left_device_sharedBILi20ELi20ELb0EffPKfPfEv13rocblas_fill_18rocblas_operation_17rocblas_diagonal_iiT3_T4_lilT5_lili.kd
    .uniform_work_group_size: 1
    .uses_dynamic_stack: false
    .vgpr_count:     55
    .vgpr_spill_count: 0
    .wavefront_size: 64
  - .args:
      - .offset:         0
        .size:           4
        .value_kind:     by_value
      - .offset:         4
        .size:           4
        .value_kind:     by_value
      - .offset:         8
        .size:           4
        .value_kind:     by_value
      - .offset:         12
        .size:           4
        .value_kind:     by_value
      - .offset:         16
        .size:           4
        .value_kind:     by_value
      - .offset:         20
        .size:           4
        .value_kind:     by_value
      - .address_space:  global
        .offset:         24
        .size:           8
        .value_kind:     global_buffer
      - .offset:         32
        .size:           8
        .value_kind:     by_value
      - .offset:         40
        .size:           4
        .value_kind:     by_value
      - .offset:         48
        .size:           8
        .value_kind:     by_value
      - .address_space:  global
        .offset:         56
        .size:           8
        .value_kind:     global_buffer
      - .offset:         64
        .size:           8
        .value_kind:     by_value
      - .offset:         72
        .size:           4
        .value_kind:     by_value
      - .offset:         80
        .size:           8
        .value_kind:     by_value
      - .offset:         88
        .size:           4
        .value_kind:     by_value
      - .offset:         96
        .size:           4
        .value_kind:     hidden_block_count_x
      - .offset:         100
        .size:           4
        .value_kind:     hidden_block_count_y
      - .offset:         104
        .size:           4
        .value_kind:     hidden_block_count_z
      - .offset:         108
        .size:           2
        .value_kind:     hidden_group_size_x
      - .offset:         110
        .size:           2
        .value_kind:     hidden_group_size_y
      - .offset:         112
        .size:           2
        .value_kind:     hidden_group_size_z
      - .offset:         114
        .size:           2
        .value_kind:     hidden_remainder_x
      - .offset:         116
        .size:           2
        .value_kind:     hidden_remainder_y
      - .offset:         118
        .size:           2
        .value_kind:     hidden_remainder_z
      - .offset:         136
        .size:           8
        .value_kind:     hidden_global_offset_x
      - .offset:         144
        .size:           8
        .value_kind:     hidden_global_offset_y
      - .offset:         152
        .size:           8
        .value_kind:     hidden_global_offset_z
      - .offset:         160
        .size:           2
        .value_kind:     hidden_grid_dims
    .group_segment_fixed_size: 1600
    .kernarg_segment_align: 8
    .kernarg_segment_size: 352
    .language:       OpenCL C
    .language_version:
      - 2
      - 0
    .max_flat_workgroup_size: 20
    .name:           _ZL30rocblas_trsm_small_left_deviceILi20ELi20ELb0EffPKfPfEv13rocblas_fill_18rocblas_operation_17rocblas_diagonal_iiT3_T4_lilT5_lili
    .private_segment_fixed_size: 0
    .sgpr_count:     28
    .sgpr_spill_count: 0
    .symbol:         _ZL30rocblas_trsm_small_left_deviceILi20ELi20ELb0EffPKfPfEv13rocblas_fill_18rocblas_operation_17rocblas_diagonal_iiT3_T4_lilT5_lili.kd
    .uniform_work_group_size: 1
    .uses_dynamic_stack: false
    .vgpr_count:     50
    .vgpr_spill_count: 0
    .wavefront_size: 64
  - .args:
      - .offset:         0
        .size:           4
        .value_kind:     by_value
      - .offset:         4
        .size:           4
        .value_kind:     by_value
      - .offset:         8
        .size:           4
        .value_kind:     by_value
      - .offset:         12
        .size:           4
        .value_kind:     by_value
      - .offset:         16
        .size:           4
        .value_kind:     by_value
      - .offset:         20
        .size:           4
        .value_kind:     by_value
      - .address_space:  global
        .offset:         24
        .size:           8
        .value_kind:     global_buffer
      - .offset:         32
        .size:           8
        .value_kind:     by_value
      - .offset:         40
        .size:           4
        .value_kind:     by_value
      - .offset:         48
        .size:           8
        .value_kind:     by_value
      - .address_space:  global
        .offset:         56
        .size:           8
        .value_kind:     global_buffer
      - .offset:         64
        .size:           8
        .value_kind:     by_value
      - .offset:         72
        .size:           4
        .value_kind:     by_value
      - .offset:         80
        .size:           8
        .value_kind:     by_value
      - .offset:         88
        .size:           4
        .value_kind:     by_value
      - .offset:         96
        .size:           4
        .value_kind:     hidden_block_count_x
      - .offset:         100
        .size:           4
        .value_kind:     hidden_block_count_y
      - .offset:         104
        .size:           4
        .value_kind:     hidden_block_count_z
      - .offset:         108
        .size:           2
        .value_kind:     hidden_group_size_x
      - .offset:         110
        .size:           2
        .value_kind:     hidden_group_size_y
      - .offset:         112
        .size:           2
        .value_kind:     hidden_group_size_z
      - .offset:         114
        .size:           2
        .value_kind:     hidden_remainder_x
      - .offset:         116
        .size:           2
        .value_kind:     hidden_remainder_y
      - .offset:         118
        .size:           2
        .value_kind:     hidden_remainder_z
      - .offset:         136
        .size:           8
        .value_kind:     hidden_global_offset_x
      - .offset:         144
        .size:           8
        .value_kind:     hidden_global_offset_y
      - .offset:         152
        .size:           8
        .value_kind:     hidden_global_offset_z
      - .offset:         160
        .size:           2
        .value_kind:     hidden_grid_dims
    .group_segment_fixed_size: 3200
    .kernarg_segment_align: 8
    .kernarg_segment_size: 352
    .language:       OpenCL C
    .language_version:
      - 2
      - 0
    .max_flat_workgroup_size: 20
    .name:           _ZL38rocblas_trsm_small_left_device_sharedBILi20ELi20ELb1EffPKfPfEv13rocblas_fill_18rocblas_operation_17rocblas_diagonal_iiT3_T4_lilT5_lili
    .private_segment_fixed_size: 0
    .sgpr_count:     28
    .sgpr_spill_count: 0
    .symbol:         _ZL38rocblas_trsm_small_left_device_sharedBILi20ELi20ELb1EffPKfPfEv13rocblas_fill_18rocblas_operation_17rocblas_diagonal_iiT3_T4_lilT5_lili.kd
    .uniform_work_group_size: 1
    .uses_dynamic_stack: false
    .vgpr_count:     58
    .vgpr_spill_count: 0
    .wavefront_size: 64
  - .args:
      - .offset:         0
        .size:           4
        .value_kind:     by_value
      - .offset:         4
        .size:           4
        .value_kind:     by_value
      - .offset:         8
        .size:           4
        .value_kind:     by_value
      - .offset:         12
        .size:           4
        .value_kind:     by_value
      - .offset:         16
        .size:           4
        .value_kind:     by_value
      - .offset:         20
        .size:           4
        .value_kind:     by_value
      - .address_space:  global
        .offset:         24
        .size:           8
        .value_kind:     global_buffer
      - .offset:         32
        .size:           8
        .value_kind:     by_value
      - .offset:         40
        .size:           4
        .value_kind:     by_value
      - .offset:         48
        .size:           8
        .value_kind:     by_value
      - .address_space:  global
        .offset:         56
        .size:           8
        .value_kind:     global_buffer
      - .offset:         64
        .size:           8
        .value_kind:     by_value
      - .offset:         72
        .size:           4
        .value_kind:     by_value
      - .offset:         80
        .size:           8
        .value_kind:     by_value
      - .offset:         88
        .size:           4
        .value_kind:     by_value
      - .offset:         96
        .size:           4
        .value_kind:     hidden_block_count_x
      - .offset:         100
        .size:           4
        .value_kind:     hidden_block_count_y
      - .offset:         104
        .size:           4
        .value_kind:     hidden_block_count_z
      - .offset:         108
        .size:           2
        .value_kind:     hidden_group_size_x
      - .offset:         110
        .size:           2
        .value_kind:     hidden_group_size_y
      - .offset:         112
        .size:           2
        .value_kind:     hidden_group_size_z
      - .offset:         114
        .size:           2
        .value_kind:     hidden_remainder_x
      - .offset:         116
        .size:           2
        .value_kind:     hidden_remainder_y
      - .offset:         118
        .size:           2
        .value_kind:     hidden_remainder_z
      - .offset:         136
        .size:           8
        .value_kind:     hidden_global_offset_x
      - .offset:         144
        .size:           8
        .value_kind:     hidden_global_offset_y
      - .offset:         152
        .size:           8
        .value_kind:     hidden_global_offset_z
      - .offset:         160
        .size:           2
        .value_kind:     hidden_grid_dims
    .group_segment_fixed_size: 1600
    .kernarg_segment_align: 8
    .kernarg_segment_size: 352
    .language:       OpenCL C
    .language_version:
      - 2
      - 0
    .max_flat_workgroup_size: 20
    .name:           _ZL30rocblas_trsm_small_left_deviceILi20ELi20ELb1EffPKfPfEv13rocblas_fill_18rocblas_operation_17rocblas_diagonal_iiT3_T4_lilT5_lili
    .private_segment_fixed_size: 0
    .sgpr_count:     28
    .sgpr_spill_count: 0
    .symbol:         _ZL30rocblas_trsm_small_left_deviceILi20ELi20ELb1EffPKfPfEv13rocblas_fill_18rocblas_operation_17rocblas_diagonal_iiT3_T4_lilT5_lili.kd
    .uniform_work_group_size: 1
    .uses_dynamic_stack: false
    .vgpr_count:     49
    .vgpr_spill_count: 0
    .wavefront_size: 64
  - .args:
      - .offset:         0
        .size:           4
        .value_kind:     by_value
      - .offset:         4
        .size:           4
        .value_kind:     by_value
      - .offset:         8
        .size:           4
        .value_kind:     by_value
      - .offset:         12
        .size:           4
        .value_kind:     by_value
      - .offset:         16
        .size:           4
        .value_kind:     by_value
      - .offset:         20
        .size:           4
        .value_kind:     by_value
      - .address_space:  global
        .offset:         24
        .size:           8
        .value_kind:     global_buffer
      - .offset:         32
        .size:           8
        .value_kind:     by_value
      - .offset:         40
        .size:           4
        .value_kind:     by_value
      - .offset:         48
        .size:           8
        .value_kind:     by_value
      - .address_space:  global
        .offset:         56
        .size:           8
        .value_kind:     global_buffer
      - .offset:         64
        .size:           8
        .value_kind:     by_value
      - .offset:         72
        .size:           4
        .value_kind:     by_value
      - .offset:         80
        .size:           8
        .value_kind:     by_value
      - .offset:         88
        .size:           4
        .value_kind:     by_value
      - .offset:         96
        .size:           4
        .value_kind:     hidden_block_count_x
      - .offset:         100
        .size:           4
        .value_kind:     hidden_block_count_y
      - .offset:         104
        .size:           4
        .value_kind:     hidden_block_count_z
      - .offset:         108
        .size:           2
        .value_kind:     hidden_group_size_x
      - .offset:         110
        .size:           2
        .value_kind:     hidden_group_size_y
      - .offset:         112
        .size:           2
        .value_kind:     hidden_group_size_z
      - .offset:         114
        .size:           2
        .value_kind:     hidden_remainder_x
      - .offset:         116
        .size:           2
        .value_kind:     hidden_remainder_y
      - .offset:         118
        .size:           2
        .value_kind:     hidden_remainder_z
      - .offset:         136
        .size:           8
        .value_kind:     hidden_global_offset_x
      - .offset:         144
        .size:           8
        .value_kind:     hidden_global_offset_y
      - .offset:         152
        .size:           8
        .value_kind:     hidden_global_offset_z
      - .offset:         160
        .size:           2
        .value_kind:     hidden_grid_dims
    .group_segment_fixed_size: 3200
    .kernarg_segment_align: 8
    .kernarg_segment_size: 352
    .language:       OpenCL C
    .language_version:
      - 2
      - 0
    .max_flat_workgroup_size: 20
    .name:           _ZL31rocblas_trsm_small_right_deviceIffPKfPfLi20EEv13rocblas_fill_18rocblas_operation_17rocblas_diagonal_iiT0_T1_lilT2_lili
    .private_segment_fixed_size: 0
    .sgpr_count:     30
    .sgpr_spill_count: 0
    .symbol:         _ZL31rocblas_trsm_small_right_deviceIffPKfPfLi20EEv13rocblas_fill_18rocblas_operation_17rocblas_diagonal_iiT0_T1_lilT2_lili.kd
    .uniform_work_group_size: 1
    .uses_dynamic_stack: false
    .vgpr_count:     23
    .vgpr_spill_count: 0
    .wavefront_size: 64
  - .args:
      - .offset:         0
        .size:           4
        .value_kind:     by_value
      - .offset:         4
        .size:           4
        .value_kind:     by_value
      - .offset:         8
        .size:           4
        .value_kind:     by_value
      - .offset:         12
        .size:           4
        .value_kind:     by_value
      - .offset:         16
        .size:           4
        .value_kind:     by_value
      - .offset:         20
        .size:           4
        .value_kind:     by_value
      - .address_space:  global
        .offset:         24
        .size:           8
        .value_kind:     global_buffer
      - .offset:         32
        .size:           8
        .value_kind:     by_value
      - .offset:         40
        .size:           4
        .value_kind:     by_value
      - .offset:         48
        .size:           8
        .value_kind:     by_value
      - .address_space:  global
        .offset:         56
        .size:           8
        .value_kind:     global_buffer
      - .offset:         64
        .size:           8
        .value_kind:     by_value
      - .offset:         72
        .size:           4
        .value_kind:     by_value
      - .offset:         80
        .size:           8
        .value_kind:     by_value
      - .offset:         88
        .size:           4
        .value_kind:     by_value
      - .offset:         96
        .size:           4
        .value_kind:     hidden_block_count_x
      - .offset:         100
        .size:           4
        .value_kind:     hidden_block_count_y
      - .offset:         104
        .size:           4
        .value_kind:     hidden_block_count_z
      - .offset:         108
        .size:           2
        .value_kind:     hidden_group_size_x
      - .offset:         110
        .size:           2
        .value_kind:     hidden_group_size_y
      - .offset:         112
        .size:           2
        .value_kind:     hidden_group_size_z
      - .offset:         114
        .size:           2
        .value_kind:     hidden_remainder_x
      - .offset:         116
        .size:           2
        .value_kind:     hidden_remainder_y
      - .offset:         118
        .size:           2
        .value_kind:     hidden_remainder_z
      - .offset:         136
        .size:           8
        .value_kind:     hidden_global_offset_x
      - .offset:         144
        .size:           8
        .value_kind:     hidden_global_offset_y
      - .offset:         152
        .size:           8
        .value_kind:     hidden_global_offset_z
      - .offset:         160
        .size:           2
        .value_kind:     hidden_grid_dims
    .group_segment_fixed_size: 4608
    .kernarg_segment_align: 8
    .kernarg_segment_size: 352
    .language:       OpenCL C
    .language_version:
      - 2
      - 0
    .max_flat_workgroup_size: 24
    .name:           _ZL38rocblas_trsm_small_left_device_sharedBILi24ELi24ELb0EffPKfPfEv13rocblas_fill_18rocblas_operation_17rocblas_diagonal_iiT3_T4_lilT5_lili
    .private_segment_fixed_size: 0
    .sgpr_count:     34
    .sgpr_spill_count: 0
    .symbol:         _ZL38rocblas_trsm_small_left_device_sharedBILi24ELi24ELb0EffPKfPfEv13rocblas_fill_18rocblas_operation_17rocblas_diagonal_iiT3_T4_lilT5_lili.kd
    .uniform_work_group_size: 1
    .uses_dynamic_stack: false
    .vgpr_count:     77
    .vgpr_spill_count: 0
    .wavefront_size: 64
  - .args:
      - .offset:         0
        .size:           4
        .value_kind:     by_value
      - .offset:         4
        .size:           4
        .value_kind:     by_value
      - .offset:         8
        .size:           4
        .value_kind:     by_value
      - .offset:         12
        .size:           4
        .value_kind:     by_value
      - .offset:         16
        .size:           4
        .value_kind:     by_value
      - .offset:         20
        .size:           4
        .value_kind:     by_value
      - .address_space:  global
        .offset:         24
        .size:           8
        .value_kind:     global_buffer
      - .offset:         32
        .size:           8
        .value_kind:     by_value
      - .offset:         40
        .size:           4
        .value_kind:     by_value
      - .offset:         48
        .size:           8
        .value_kind:     by_value
      - .address_space:  global
        .offset:         56
        .size:           8
        .value_kind:     global_buffer
      - .offset:         64
        .size:           8
        .value_kind:     by_value
      - .offset:         72
        .size:           4
        .value_kind:     by_value
      - .offset:         80
        .size:           8
        .value_kind:     by_value
      - .offset:         88
        .size:           4
        .value_kind:     by_value
      - .offset:         96
        .size:           4
        .value_kind:     hidden_block_count_x
      - .offset:         100
        .size:           4
        .value_kind:     hidden_block_count_y
      - .offset:         104
        .size:           4
        .value_kind:     hidden_block_count_z
      - .offset:         108
        .size:           2
        .value_kind:     hidden_group_size_x
      - .offset:         110
        .size:           2
        .value_kind:     hidden_group_size_y
      - .offset:         112
        .size:           2
        .value_kind:     hidden_group_size_z
      - .offset:         114
        .size:           2
        .value_kind:     hidden_remainder_x
      - .offset:         116
        .size:           2
        .value_kind:     hidden_remainder_y
      - .offset:         118
        .size:           2
        .value_kind:     hidden_remainder_z
      - .offset:         136
        .size:           8
        .value_kind:     hidden_global_offset_x
      - .offset:         144
        .size:           8
        .value_kind:     hidden_global_offset_y
      - .offset:         152
        .size:           8
        .value_kind:     hidden_global_offset_z
      - .offset:         160
        .size:           2
        .value_kind:     hidden_grid_dims
    .group_segment_fixed_size: 2304
    .kernarg_segment_align: 8
    .kernarg_segment_size: 352
    .language:       OpenCL C
    .language_version:
      - 2
      - 0
    .max_flat_workgroup_size: 24
    .name:           _ZL30rocblas_trsm_small_left_deviceILi24ELi24ELb0EffPKfPfEv13rocblas_fill_18rocblas_operation_17rocblas_diagonal_iiT3_T4_lilT5_lili
    .private_segment_fixed_size: 0
    .sgpr_count:     32
    .sgpr_spill_count: 0
    .symbol:         _ZL30rocblas_trsm_small_left_deviceILi24ELi24ELb0EffPKfPfEv13rocblas_fill_18rocblas_operation_17rocblas_diagonal_iiT3_T4_lilT5_lili.kd
    .uniform_work_group_size: 1
    .uses_dynamic_stack: false
    .vgpr_count:     61
    .vgpr_spill_count: 0
    .wavefront_size: 64
  - .args:
      - .offset:         0
        .size:           4
        .value_kind:     by_value
      - .offset:         4
        .size:           4
        .value_kind:     by_value
      - .offset:         8
        .size:           4
        .value_kind:     by_value
      - .offset:         12
        .size:           4
        .value_kind:     by_value
      - .offset:         16
        .size:           4
        .value_kind:     by_value
      - .offset:         20
        .size:           4
        .value_kind:     by_value
      - .address_space:  global
        .offset:         24
        .size:           8
        .value_kind:     global_buffer
      - .offset:         32
        .size:           8
        .value_kind:     by_value
      - .offset:         40
        .size:           4
        .value_kind:     by_value
      - .offset:         48
        .size:           8
        .value_kind:     by_value
      - .address_space:  global
        .offset:         56
        .size:           8
        .value_kind:     global_buffer
      - .offset:         64
        .size:           8
        .value_kind:     by_value
      - .offset:         72
        .size:           4
        .value_kind:     by_value
      - .offset:         80
        .size:           8
        .value_kind:     by_value
      - .offset:         88
        .size:           4
        .value_kind:     by_value
      - .offset:         96
        .size:           4
        .value_kind:     hidden_block_count_x
      - .offset:         100
        .size:           4
        .value_kind:     hidden_block_count_y
      - .offset:         104
        .size:           4
        .value_kind:     hidden_block_count_z
      - .offset:         108
        .size:           2
        .value_kind:     hidden_group_size_x
      - .offset:         110
        .size:           2
        .value_kind:     hidden_group_size_y
      - .offset:         112
        .size:           2
        .value_kind:     hidden_group_size_z
      - .offset:         114
        .size:           2
        .value_kind:     hidden_remainder_x
      - .offset:         116
        .size:           2
        .value_kind:     hidden_remainder_y
      - .offset:         118
        .size:           2
        .value_kind:     hidden_remainder_z
      - .offset:         136
        .size:           8
        .value_kind:     hidden_global_offset_x
      - .offset:         144
        .size:           8
        .value_kind:     hidden_global_offset_y
      - .offset:         152
        .size:           8
        .value_kind:     hidden_global_offset_z
      - .offset:         160
        .size:           2
        .value_kind:     hidden_grid_dims
    .group_segment_fixed_size: 4608
    .kernarg_segment_align: 8
    .kernarg_segment_size: 352
    .language:       OpenCL C
    .language_version:
      - 2
      - 0
    .max_flat_workgroup_size: 24
    .name:           _ZL38rocblas_trsm_small_left_device_sharedBILi24ELi24ELb1EffPKfPfEv13rocblas_fill_18rocblas_operation_17rocblas_diagonal_iiT3_T4_lilT5_lili
    .private_segment_fixed_size: 0
    .sgpr_count:     28
    .sgpr_spill_count: 0
    .symbol:         _ZL38rocblas_trsm_small_left_device_sharedBILi24ELi24ELb1EffPKfPfEv13rocblas_fill_18rocblas_operation_17rocblas_diagonal_iiT3_T4_lilT5_lili.kd
    .uniform_work_group_size: 1
    .uses_dynamic_stack: false
    .vgpr_count:     72
    .vgpr_spill_count: 0
    .wavefront_size: 64
  - .args:
      - .offset:         0
        .size:           4
        .value_kind:     by_value
      - .offset:         4
        .size:           4
        .value_kind:     by_value
      - .offset:         8
        .size:           4
        .value_kind:     by_value
      - .offset:         12
        .size:           4
        .value_kind:     by_value
      - .offset:         16
        .size:           4
        .value_kind:     by_value
      - .offset:         20
        .size:           4
        .value_kind:     by_value
      - .address_space:  global
        .offset:         24
        .size:           8
        .value_kind:     global_buffer
      - .offset:         32
        .size:           8
        .value_kind:     by_value
      - .offset:         40
        .size:           4
        .value_kind:     by_value
      - .offset:         48
        .size:           8
        .value_kind:     by_value
      - .address_space:  global
        .offset:         56
        .size:           8
        .value_kind:     global_buffer
      - .offset:         64
        .size:           8
        .value_kind:     by_value
      - .offset:         72
        .size:           4
        .value_kind:     by_value
      - .offset:         80
        .size:           8
        .value_kind:     by_value
      - .offset:         88
        .size:           4
        .value_kind:     by_value
      - .offset:         96
        .size:           4
        .value_kind:     hidden_block_count_x
      - .offset:         100
        .size:           4
        .value_kind:     hidden_block_count_y
      - .offset:         104
        .size:           4
        .value_kind:     hidden_block_count_z
      - .offset:         108
        .size:           2
        .value_kind:     hidden_group_size_x
      - .offset:         110
        .size:           2
        .value_kind:     hidden_group_size_y
      - .offset:         112
        .size:           2
        .value_kind:     hidden_group_size_z
      - .offset:         114
        .size:           2
        .value_kind:     hidden_remainder_x
      - .offset:         116
        .size:           2
        .value_kind:     hidden_remainder_y
      - .offset:         118
        .size:           2
        .value_kind:     hidden_remainder_z
      - .offset:         136
        .size:           8
        .value_kind:     hidden_global_offset_x
      - .offset:         144
        .size:           8
        .value_kind:     hidden_global_offset_y
      - .offset:         152
        .size:           8
        .value_kind:     hidden_global_offset_z
      - .offset:         160
        .size:           2
        .value_kind:     hidden_grid_dims
    .group_segment_fixed_size: 2304
    .kernarg_segment_align: 8
    .kernarg_segment_size: 352
    .language:       OpenCL C
    .language_version:
      - 2
      - 0
    .max_flat_workgroup_size: 24
    .name:           _ZL30rocblas_trsm_small_left_deviceILi24ELi24ELb1EffPKfPfEv13rocblas_fill_18rocblas_operation_17rocblas_diagonal_iiT3_T4_lilT5_lili
    .private_segment_fixed_size: 0
    .sgpr_count:     28
    .sgpr_spill_count: 0
    .symbol:         _ZL30rocblas_trsm_small_left_deviceILi24ELi24ELb1EffPKfPfEv13rocblas_fill_18rocblas_operation_17rocblas_diagonal_iiT3_T4_lilT5_lili.kd
    .uniform_work_group_size: 1
    .uses_dynamic_stack: false
    .vgpr_count:     63
    .vgpr_spill_count: 0
    .wavefront_size: 64
  - .args:
      - .offset:         0
        .size:           4
        .value_kind:     by_value
      - .offset:         4
        .size:           4
        .value_kind:     by_value
      - .offset:         8
        .size:           4
        .value_kind:     by_value
      - .offset:         12
        .size:           4
        .value_kind:     by_value
      - .offset:         16
        .size:           4
        .value_kind:     by_value
      - .offset:         20
        .size:           4
        .value_kind:     by_value
      - .address_space:  global
        .offset:         24
        .size:           8
        .value_kind:     global_buffer
      - .offset:         32
        .size:           8
        .value_kind:     by_value
      - .offset:         40
        .size:           4
        .value_kind:     by_value
      - .offset:         48
        .size:           8
        .value_kind:     by_value
      - .address_space:  global
        .offset:         56
        .size:           8
        .value_kind:     global_buffer
      - .offset:         64
        .size:           8
        .value_kind:     by_value
      - .offset:         72
        .size:           4
        .value_kind:     by_value
      - .offset:         80
        .size:           8
        .value_kind:     by_value
      - .offset:         88
        .size:           4
        .value_kind:     by_value
      - .offset:         96
        .size:           4
        .value_kind:     hidden_block_count_x
      - .offset:         100
        .size:           4
        .value_kind:     hidden_block_count_y
      - .offset:         104
        .size:           4
        .value_kind:     hidden_block_count_z
      - .offset:         108
        .size:           2
        .value_kind:     hidden_group_size_x
      - .offset:         110
        .size:           2
        .value_kind:     hidden_group_size_y
      - .offset:         112
        .size:           2
        .value_kind:     hidden_group_size_z
      - .offset:         114
        .size:           2
        .value_kind:     hidden_remainder_x
      - .offset:         116
        .size:           2
        .value_kind:     hidden_remainder_y
      - .offset:         118
        .size:           2
        .value_kind:     hidden_remainder_z
      - .offset:         136
        .size:           8
        .value_kind:     hidden_global_offset_x
      - .offset:         144
        .size:           8
        .value_kind:     hidden_global_offset_y
      - .offset:         152
        .size:           8
        .value_kind:     hidden_global_offset_z
      - .offset:         160
        .size:           2
        .value_kind:     hidden_grid_dims
    .group_segment_fixed_size: 4608
    .kernarg_segment_align: 8
    .kernarg_segment_size: 352
    .language:       OpenCL C
    .language_version:
      - 2
      - 0
    .max_flat_workgroup_size: 24
    .name:           _ZL31rocblas_trsm_small_right_deviceIffPKfPfLi24EEv13rocblas_fill_18rocblas_operation_17rocblas_diagonal_iiT0_T1_lilT2_lili
    .private_segment_fixed_size: 0
    .sgpr_count:     30
    .sgpr_spill_count: 0
    .symbol:         _ZL31rocblas_trsm_small_right_deviceIffPKfPfLi24EEv13rocblas_fill_18rocblas_operation_17rocblas_diagonal_iiT0_T1_lilT2_lili.kd
    .uniform_work_group_size: 1
    .uses_dynamic_stack: false
    .vgpr_count:     23
    .vgpr_spill_count: 0
    .wavefront_size: 64
  - .args:
      - .offset:         0
        .size:           4
        .value_kind:     by_value
      - .offset:         4
        .size:           4
        .value_kind:     by_value
      - .offset:         8
        .size:           4
        .value_kind:     by_value
      - .offset:         12
        .size:           4
        .value_kind:     by_value
      - .offset:         16
        .size:           4
        .value_kind:     by_value
      - .offset:         20
        .size:           4
        .value_kind:     by_value
      - .address_space:  global
        .offset:         24
        .size:           8
        .value_kind:     global_buffer
      - .offset:         32
        .size:           8
        .value_kind:     by_value
      - .offset:         40
        .size:           4
        .value_kind:     by_value
      - .offset:         48
        .size:           8
        .value_kind:     by_value
      - .address_space:  global
        .offset:         56
        .size:           8
        .value_kind:     global_buffer
      - .offset:         64
        .size:           8
        .value_kind:     by_value
      - .offset:         72
        .size:           4
        .value_kind:     by_value
      - .offset:         80
        .size:           8
        .value_kind:     by_value
      - .offset:         88
        .size:           4
        .value_kind:     by_value
      - .offset:         96
        .size:           4
        .value_kind:     hidden_block_count_x
      - .offset:         100
        .size:           4
        .value_kind:     hidden_block_count_y
      - .offset:         104
        .size:           4
        .value_kind:     hidden_block_count_z
      - .offset:         108
        .size:           2
        .value_kind:     hidden_group_size_x
      - .offset:         110
        .size:           2
        .value_kind:     hidden_group_size_y
      - .offset:         112
        .size:           2
        .value_kind:     hidden_group_size_z
      - .offset:         114
        .size:           2
        .value_kind:     hidden_remainder_x
      - .offset:         116
        .size:           2
        .value_kind:     hidden_remainder_y
      - .offset:         118
        .size:           2
        .value_kind:     hidden_remainder_z
      - .offset:         136
        .size:           8
        .value_kind:     hidden_global_offset_x
      - .offset:         144
        .size:           8
        .value_kind:     hidden_global_offset_y
      - .offset:         152
        .size:           8
        .value_kind:     hidden_global_offset_z
      - .offset:         160
        .size:           2
        .value_kind:     hidden_grid_dims
    .group_segment_fixed_size: 6272
    .kernarg_segment_align: 8
    .kernarg_segment_size: 352
    .language:       OpenCL C
    .language_version:
      - 2
      - 0
    .max_flat_workgroup_size: 28
    .name:           _ZL38rocblas_trsm_small_left_device_sharedBILi28ELi28ELb0EffPKfPfEv13rocblas_fill_18rocblas_operation_17rocblas_diagonal_iiT3_T4_lilT5_lili
    .private_segment_fixed_size: 0
    .sgpr_count:     39
    .sgpr_spill_count: 0
    .symbol:         _ZL38rocblas_trsm_small_left_device_sharedBILi28ELi28ELb0EffPKfPfEv13rocblas_fill_18rocblas_operation_17rocblas_diagonal_iiT3_T4_lilT5_lili.kd
    .uniform_work_group_size: 1
    .uses_dynamic_stack: false
    .vgpr_count:     78
    .vgpr_spill_count: 0
    .wavefront_size: 64
  - .args:
      - .offset:         0
        .size:           4
        .value_kind:     by_value
      - .offset:         4
        .size:           4
        .value_kind:     by_value
      - .offset:         8
        .size:           4
        .value_kind:     by_value
      - .offset:         12
        .size:           4
        .value_kind:     by_value
      - .offset:         16
        .size:           4
        .value_kind:     by_value
      - .offset:         20
        .size:           4
        .value_kind:     by_value
      - .address_space:  global
        .offset:         24
        .size:           8
        .value_kind:     global_buffer
      - .offset:         32
        .size:           8
        .value_kind:     by_value
      - .offset:         40
        .size:           4
        .value_kind:     by_value
      - .offset:         48
        .size:           8
        .value_kind:     by_value
      - .address_space:  global
        .offset:         56
        .size:           8
        .value_kind:     global_buffer
      - .offset:         64
        .size:           8
        .value_kind:     by_value
      - .offset:         72
        .size:           4
        .value_kind:     by_value
      - .offset:         80
        .size:           8
        .value_kind:     by_value
      - .offset:         88
        .size:           4
        .value_kind:     by_value
      - .offset:         96
        .size:           4
        .value_kind:     hidden_block_count_x
      - .offset:         100
        .size:           4
        .value_kind:     hidden_block_count_y
      - .offset:         104
        .size:           4
        .value_kind:     hidden_block_count_z
      - .offset:         108
        .size:           2
        .value_kind:     hidden_group_size_x
      - .offset:         110
        .size:           2
        .value_kind:     hidden_group_size_y
      - .offset:         112
        .size:           2
        .value_kind:     hidden_group_size_z
      - .offset:         114
        .size:           2
        .value_kind:     hidden_remainder_x
      - .offset:         116
        .size:           2
        .value_kind:     hidden_remainder_y
      - .offset:         118
        .size:           2
        .value_kind:     hidden_remainder_z
      - .offset:         136
        .size:           8
        .value_kind:     hidden_global_offset_x
      - .offset:         144
        .size:           8
        .value_kind:     hidden_global_offset_y
      - .offset:         152
        .size:           8
        .value_kind:     hidden_global_offset_z
      - .offset:         160
        .size:           2
        .value_kind:     hidden_grid_dims
    .group_segment_fixed_size: 3136
    .kernarg_segment_align: 8
    .kernarg_segment_size: 352
    .language:       OpenCL C
    .language_version:
      - 2
      - 0
    .max_flat_workgroup_size: 28
    .name:           _ZL30rocblas_trsm_small_left_deviceILi28ELi28ELb0EffPKfPfEv13rocblas_fill_18rocblas_operation_17rocblas_diagonal_iiT3_T4_lilT5_lili
    .private_segment_fixed_size: 0
    .sgpr_count:     35
    .sgpr_spill_count: 0
    .symbol:         _ZL30rocblas_trsm_small_left_deviceILi28ELi28ELb0EffPKfPfEv13rocblas_fill_18rocblas_operation_17rocblas_diagonal_iiT3_T4_lilT5_lili.kd
    .uniform_work_group_size: 1
    .uses_dynamic_stack: false
    .vgpr_count:     80
    .vgpr_spill_count: 0
    .wavefront_size: 64
  - .args:
      - .offset:         0
        .size:           4
        .value_kind:     by_value
      - .offset:         4
        .size:           4
        .value_kind:     by_value
      - .offset:         8
        .size:           4
        .value_kind:     by_value
      - .offset:         12
        .size:           4
        .value_kind:     by_value
      - .offset:         16
        .size:           4
        .value_kind:     by_value
      - .offset:         20
        .size:           4
        .value_kind:     by_value
      - .address_space:  global
        .offset:         24
        .size:           8
        .value_kind:     global_buffer
      - .offset:         32
        .size:           8
        .value_kind:     by_value
      - .offset:         40
        .size:           4
        .value_kind:     by_value
      - .offset:         48
        .size:           8
        .value_kind:     by_value
      - .address_space:  global
        .offset:         56
        .size:           8
        .value_kind:     global_buffer
      - .offset:         64
        .size:           8
        .value_kind:     by_value
      - .offset:         72
        .size:           4
        .value_kind:     by_value
      - .offset:         80
        .size:           8
        .value_kind:     by_value
      - .offset:         88
        .size:           4
        .value_kind:     by_value
      - .offset:         96
        .size:           4
        .value_kind:     hidden_block_count_x
      - .offset:         100
        .size:           4
        .value_kind:     hidden_block_count_y
      - .offset:         104
        .size:           4
        .value_kind:     hidden_block_count_z
      - .offset:         108
        .size:           2
        .value_kind:     hidden_group_size_x
      - .offset:         110
        .size:           2
        .value_kind:     hidden_group_size_y
      - .offset:         112
        .size:           2
        .value_kind:     hidden_group_size_z
      - .offset:         114
        .size:           2
        .value_kind:     hidden_remainder_x
      - .offset:         116
        .size:           2
        .value_kind:     hidden_remainder_y
      - .offset:         118
        .size:           2
        .value_kind:     hidden_remainder_z
      - .offset:         136
        .size:           8
        .value_kind:     hidden_global_offset_x
      - .offset:         144
        .size:           8
        .value_kind:     hidden_global_offset_y
      - .offset:         152
        .size:           8
        .value_kind:     hidden_global_offset_z
      - .offset:         160
        .size:           2
        .value_kind:     hidden_grid_dims
    .group_segment_fixed_size: 6272
    .kernarg_segment_align: 8
    .kernarg_segment_size: 352
    .language:       OpenCL C
    .language_version:
      - 2
      - 0
    .max_flat_workgroup_size: 28
    .name:           _ZL38rocblas_trsm_small_left_device_sharedBILi28ELi28ELb1EffPKfPfEv13rocblas_fill_18rocblas_operation_17rocblas_diagonal_iiT3_T4_lilT5_lili
    .private_segment_fixed_size: 0
    .sgpr_count:     28
    .sgpr_spill_count: 0
    .symbol:         _ZL38rocblas_trsm_small_left_device_sharedBILi28ELi28ELb1EffPKfPfEv13rocblas_fill_18rocblas_operation_17rocblas_diagonal_iiT3_T4_lilT5_lili.kd
    .uniform_work_group_size: 1
    .uses_dynamic_stack: false
    .vgpr_count:     93
    .vgpr_spill_count: 0
    .wavefront_size: 64
  - .args:
      - .offset:         0
        .size:           4
        .value_kind:     by_value
      - .offset:         4
        .size:           4
        .value_kind:     by_value
      - .offset:         8
        .size:           4
        .value_kind:     by_value
      - .offset:         12
        .size:           4
        .value_kind:     by_value
      - .offset:         16
        .size:           4
        .value_kind:     by_value
      - .offset:         20
        .size:           4
        .value_kind:     by_value
      - .address_space:  global
        .offset:         24
        .size:           8
        .value_kind:     global_buffer
      - .offset:         32
        .size:           8
        .value_kind:     by_value
      - .offset:         40
        .size:           4
        .value_kind:     by_value
      - .offset:         48
        .size:           8
        .value_kind:     by_value
      - .address_space:  global
        .offset:         56
        .size:           8
        .value_kind:     global_buffer
      - .offset:         64
        .size:           8
        .value_kind:     by_value
      - .offset:         72
        .size:           4
        .value_kind:     by_value
      - .offset:         80
        .size:           8
        .value_kind:     by_value
      - .offset:         88
        .size:           4
        .value_kind:     by_value
      - .offset:         96
        .size:           4
        .value_kind:     hidden_block_count_x
      - .offset:         100
        .size:           4
        .value_kind:     hidden_block_count_y
      - .offset:         104
        .size:           4
        .value_kind:     hidden_block_count_z
      - .offset:         108
        .size:           2
        .value_kind:     hidden_group_size_x
      - .offset:         110
        .size:           2
        .value_kind:     hidden_group_size_y
      - .offset:         112
        .size:           2
        .value_kind:     hidden_group_size_z
      - .offset:         114
        .size:           2
        .value_kind:     hidden_remainder_x
      - .offset:         116
        .size:           2
        .value_kind:     hidden_remainder_y
      - .offset:         118
        .size:           2
        .value_kind:     hidden_remainder_z
      - .offset:         136
        .size:           8
        .value_kind:     hidden_global_offset_x
      - .offset:         144
        .size:           8
        .value_kind:     hidden_global_offset_y
      - .offset:         152
        .size:           8
        .value_kind:     hidden_global_offset_z
      - .offset:         160
        .size:           2
        .value_kind:     hidden_grid_dims
    .group_segment_fixed_size: 3136
    .kernarg_segment_align: 8
    .kernarg_segment_size: 352
    .language:       OpenCL C
    .language_version:
      - 2
      - 0
    .max_flat_workgroup_size: 28
    .name:           _ZL30rocblas_trsm_small_left_deviceILi28ELi28ELb1EffPKfPfEv13rocblas_fill_18rocblas_operation_17rocblas_diagonal_iiT3_T4_lilT5_lili
    .private_segment_fixed_size: 0
    .sgpr_count:     28
    .sgpr_spill_count: 0
    .symbol:         _ZL30rocblas_trsm_small_left_deviceILi28ELi28ELb1EffPKfPfEv13rocblas_fill_18rocblas_operation_17rocblas_diagonal_iiT3_T4_lilT5_lili.kd
    .uniform_work_group_size: 1
    .uses_dynamic_stack: false
    .vgpr_count:     85
    .vgpr_spill_count: 0
    .wavefront_size: 64
  - .args:
      - .offset:         0
        .size:           4
        .value_kind:     by_value
      - .offset:         4
        .size:           4
        .value_kind:     by_value
      - .offset:         8
        .size:           4
        .value_kind:     by_value
      - .offset:         12
        .size:           4
        .value_kind:     by_value
      - .offset:         16
        .size:           4
        .value_kind:     by_value
      - .offset:         20
        .size:           4
        .value_kind:     by_value
      - .address_space:  global
        .offset:         24
        .size:           8
        .value_kind:     global_buffer
      - .offset:         32
        .size:           8
        .value_kind:     by_value
      - .offset:         40
        .size:           4
        .value_kind:     by_value
      - .offset:         48
        .size:           8
        .value_kind:     by_value
      - .address_space:  global
        .offset:         56
        .size:           8
        .value_kind:     global_buffer
      - .offset:         64
        .size:           8
        .value_kind:     by_value
      - .offset:         72
        .size:           4
        .value_kind:     by_value
      - .offset:         80
        .size:           8
        .value_kind:     by_value
      - .offset:         88
        .size:           4
        .value_kind:     by_value
      - .offset:         96
        .size:           4
        .value_kind:     hidden_block_count_x
      - .offset:         100
        .size:           4
        .value_kind:     hidden_block_count_y
      - .offset:         104
        .size:           4
        .value_kind:     hidden_block_count_z
      - .offset:         108
        .size:           2
        .value_kind:     hidden_group_size_x
      - .offset:         110
        .size:           2
        .value_kind:     hidden_group_size_y
      - .offset:         112
        .size:           2
        .value_kind:     hidden_group_size_z
      - .offset:         114
        .size:           2
        .value_kind:     hidden_remainder_x
      - .offset:         116
        .size:           2
        .value_kind:     hidden_remainder_y
      - .offset:         118
        .size:           2
        .value_kind:     hidden_remainder_z
      - .offset:         136
        .size:           8
        .value_kind:     hidden_global_offset_x
      - .offset:         144
        .size:           8
        .value_kind:     hidden_global_offset_y
      - .offset:         152
        .size:           8
        .value_kind:     hidden_global_offset_z
      - .offset:         160
        .size:           2
        .value_kind:     hidden_grid_dims
    .group_segment_fixed_size: 6272
    .kernarg_segment_align: 8
    .kernarg_segment_size: 352
    .language:       OpenCL C
    .language_version:
      - 2
      - 0
    .max_flat_workgroup_size: 28
    .name:           _ZL31rocblas_trsm_small_right_deviceIffPKfPfLi28EEv13rocblas_fill_18rocblas_operation_17rocblas_diagonal_iiT0_T1_lilT2_lili
    .private_segment_fixed_size: 0
    .sgpr_count:     30
    .sgpr_spill_count: 0
    .symbol:         _ZL31rocblas_trsm_small_right_deviceIffPKfPfLi28EEv13rocblas_fill_18rocblas_operation_17rocblas_diagonal_iiT0_T1_lilT2_lili.kd
    .uniform_work_group_size: 1
    .uses_dynamic_stack: false
    .vgpr_count:     23
    .vgpr_spill_count: 0
    .wavefront_size: 64
  - .args:
      - .offset:         0
        .size:           4
        .value_kind:     by_value
      - .offset:         4
        .size:           4
        .value_kind:     by_value
      - .offset:         8
        .size:           4
        .value_kind:     by_value
      - .offset:         12
        .size:           4
        .value_kind:     by_value
      - .offset:         16
        .size:           4
        .value_kind:     by_value
      - .offset:         20
        .size:           4
        .value_kind:     by_value
      - .address_space:  global
        .offset:         24
        .size:           8
        .value_kind:     global_buffer
      - .offset:         32
        .size:           8
        .value_kind:     by_value
      - .offset:         40
        .size:           4
        .value_kind:     by_value
      - .offset:         48
        .size:           8
        .value_kind:     by_value
      - .address_space:  global
        .offset:         56
        .size:           8
        .value_kind:     global_buffer
      - .offset:         64
        .size:           8
        .value_kind:     by_value
      - .offset:         72
        .size:           4
        .value_kind:     by_value
      - .offset:         80
        .size:           8
        .value_kind:     by_value
      - .offset:         88
        .size:           4
        .value_kind:     by_value
      - .offset:         96
        .size:           4
        .value_kind:     hidden_block_count_x
      - .offset:         100
        .size:           4
        .value_kind:     hidden_block_count_y
      - .offset:         104
        .size:           4
        .value_kind:     hidden_block_count_z
      - .offset:         108
        .size:           2
        .value_kind:     hidden_group_size_x
      - .offset:         110
        .size:           2
        .value_kind:     hidden_group_size_y
      - .offset:         112
        .size:           2
        .value_kind:     hidden_group_size_z
      - .offset:         114
        .size:           2
        .value_kind:     hidden_remainder_x
      - .offset:         116
        .size:           2
        .value_kind:     hidden_remainder_y
      - .offset:         118
        .size:           2
        .value_kind:     hidden_remainder_z
      - .offset:         136
        .size:           8
        .value_kind:     hidden_global_offset_x
      - .offset:         144
        .size:           8
        .value_kind:     hidden_global_offset_y
      - .offset:         152
        .size:           8
        .value_kind:     hidden_global_offset_z
      - .offset:         160
        .size:           2
        .value_kind:     hidden_grid_dims
    .group_segment_fixed_size: 8192
    .kernarg_segment_align: 8
    .kernarg_segment_size: 352
    .language:       OpenCL C
    .language_version:
      - 2
      - 0
    .max_flat_workgroup_size: 32
    .name:           _ZL38rocblas_trsm_small_left_device_sharedBILi32ELi32ELb0EffPKfPfEv13rocblas_fill_18rocblas_operation_17rocblas_diagonal_iiT3_T4_lilT5_lili
    .private_segment_fixed_size: 0
    .sgpr_count:     45
    .sgpr_spill_count: 0
    .symbol:         _ZL38rocblas_trsm_small_left_device_sharedBILi32ELi32ELb0EffPKfPfEv13rocblas_fill_18rocblas_operation_17rocblas_diagonal_iiT3_T4_lilT5_lili.kd
    .uniform_work_group_size: 1
    .uses_dynamic_stack: false
    .vgpr_count:     92
    .vgpr_spill_count: 0
    .wavefront_size: 64
  - .args:
      - .offset:         0
        .size:           4
        .value_kind:     by_value
      - .offset:         4
        .size:           4
        .value_kind:     by_value
      - .offset:         8
        .size:           4
        .value_kind:     by_value
      - .offset:         12
        .size:           4
        .value_kind:     by_value
      - .offset:         16
        .size:           4
        .value_kind:     by_value
      - .offset:         20
        .size:           4
        .value_kind:     by_value
      - .address_space:  global
        .offset:         24
        .size:           8
        .value_kind:     global_buffer
      - .offset:         32
        .size:           8
        .value_kind:     by_value
      - .offset:         40
        .size:           4
        .value_kind:     by_value
      - .offset:         48
        .size:           8
        .value_kind:     by_value
      - .address_space:  global
        .offset:         56
        .size:           8
        .value_kind:     global_buffer
      - .offset:         64
        .size:           8
        .value_kind:     by_value
      - .offset:         72
        .size:           4
        .value_kind:     by_value
      - .offset:         80
        .size:           8
        .value_kind:     by_value
      - .offset:         88
        .size:           4
        .value_kind:     by_value
      - .offset:         96
        .size:           4
        .value_kind:     hidden_block_count_x
      - .offset:         100
        .size:           4
        .value_kind:     hidden_block_count_y
      - .offset:         104
        .size:           4
        .value_kind:     hidden_block_count_z
      - .offset:         108
        .size:           2
        .value_kind:     hidden_group_size_x
      - .offset:         110
        .size:           2
        .value_kind:     hidden_group_size_y
      - .offset:         112
        .size:           2
        .value_kind:     hidden_group_size_z
      - .offset:         114
        .size:           2
        .value_kind:     hidden_remainder_x
      - .offset:         116
        .size:           2
        .value_kind:     hidden_remainder_y
      - .offset:         118
        .size:           2
        .value_kind:     hidden_remainder_z
      - .offset:         136
        .size:           8
        .value_kind:     hidden_global_offset_x
      - .offset:         144
        .size:           8
        .value_kind:     hidden_global_offset_y
      - .offset:         152
        .size:           8
        .value_kind:     hidden_global_offset_z
      - .offset:         160
        .size:           2
        .value_kind:     hidden_grid_dims
    .group_segment_fixed_size: 4096
    .kernarg_segment_align: 8
    .kernarg_segment_size: 352
    .language:       OpenCL C
    .language_version:
      - 2
      - 0
    .max_flat_workgroup_size: 32
    .name:           _ZL30rocblas_trsm_small_left_deviceILi32ELi32ELb0EffPKfPfEv13rocblas_fill_18rocblas_operation_17rocblas_diagonal_iiT3_T4_lilT5_lili
    .private_segment_fixed_size: 0
    .sgpr_count:     44
    .sgpr_spill_count: 0
    .symbol:         _ZL30rocblas_trsm_small_left_deviceILi32ELi32ELb0EffPKfPfEv13rocblas_fill_18rocblas_operation_17rocblas_diagonal_iiT3_T4_lilT5_lili.kd
    .uniform_work_group_size: 1
    .uses_dynamic_stack: false
    .vgpr_count:     82
    .vgpr_spill_count: 0
    .wavefront_size: 64
  - .args:
      - .offset:         0
        .size:           4
        .value_kind:     by_value
      - .offset:         4
        .size:           4
        .value_kind:     by_value
      - .offset:         8
        .size:           4
        .value_kind:     by_value
      - .offset:         12
        .size:           4
        .value_kind:     by_value
      - .offset:         16
        .size:           4
        .value_kind:     by_value
      - .offset:         20
        .size:           4
        .value_kind:     by_value
      - .address_space:  global
        .offset:         24
        .size:           8
        .value_kind:     global_buffer
      - .offset:         32
        .size:           8
        .value_kind:     by_value
      - .offset:         40
        .size:           4
        .value_kind:     by_value
      - .offset:         48
        .size:           8
        .value_kind:     by_value
      - .address_space:  global
        .offset:         56
        .size:           8
        .value_kind:     global_buffer
      - .offset:         64
        .size:           8
        .value_kind:     by_value
      - .offset:         72
        .size:           4
        .value_kind:     by_value
      - .offset:         80
        .size:           8
        .value_kind:     by_value
      - .offset:         88
        .size:           4
        .value_kind:     by_value
      - .offset:         96
        .size:           4
        .value_kind:     hidden_block_count_x
      - .offset:         100
        .size:           4
        .value_kind:     hidden_block_count_y
      - .offset:         104
        .size:           4
        .value_kind:     hidden_block_count_z
      - .offset:         108
        .size:           2
        .value_kind:     hidden_group_size_x
      - .offset:         110
        .size:           2
        .value_kind:     hidden_group_size_y
      - .offset:         112
        .size:           2
        .value_kind:     hidden_group_size_z
      - .offset:         114
        .size:           2
        .value_kind:     hidden_remainder_x
      - .offset:         116
        .size:           2
        .value_kind:     hidden_remainder_y
      - .offset:         118
        .size:           2
        .value_kind:     hidden_remainder_z
      - .offset:         136
        .size:           8
        .value_kind:     hidden_global_offset_x
      - .offset:         144
        .size:           8
        .value_kind:     hidden_global_offset_y
      - .offset:         152
        .size:           8
        .value_kind:     hidden_global_offset_z
      - .offset:         160
        .size:           2
        .value_kind:     hidden_grid_dims
    .group_segment_fixed_size: 8192
    .kernarg_segment_align: 8
    .kernarg_segment_size: 352
    .language:       OpenCL C
    .language_version:
      - 2
      - 0
    .max_flat_workgroup_size: 32
    .name:           _ZL38rocblas_trsm_small_left_device_sharedBILi32ELi32ELb1EffPKfPfEv13rocblas_fill_18rocblas_operation_17rocblas_diagonal_iiT3_T4_lilT5_lili
    .private_segment_fixed_size: 0
    .sgpr_count:     28
    .sgpr_spill_count: 0
    .symbol:         _ZL38rocblas_trsm_small_left_device_sharedBILi32ELi32ELb1EffPKfPfEv13rocblas_fill_18rocblas_operation_17rocblas_diagonal_iiT3_T4_lilT5_lili.kd
    .uniform_work_group_size: 1
    .uses_dynamic_stack: false
    .vgpr_count:     107
    .vgpr_spill_count: 0
    .wavefront_size: 64
  - .args:
      - .offset:         0
        .size:           4
        .value_kind:     by_value
      - .offset:         4
        .size:           4
        .value_kind:     by_value
      - .offset:         8
        .size:           4
        .value_kind:     by_value
      - .offset:         12
        .size:           4
        .value_kind:     by_value
      - .offset:         16
        .size:           4
        .value_kind:     by_value
      - .offset:         20
        .size:           4
        .value_kind:     by_value
      - .address_space:  global
        .offset:         24
        .size:           8
        .value_kind:     global_buffer
      - .offset:         32
        .size:           8
        .value_kind:     by_value
      - .offset:         40
        .size:           4
        .value_kind:     by_value
      - .offset:         48
        .size:           8
        .value_kind:     by_value
      - .address_space:  global
        .offset:         56
        .size:           8
        .value_kind:     global_buffer
      - .offset:         64
        .size:           8
        .value_kind:     by_value
      - .offset:         72
        .size:           4
        .value_kind:     by_value
      - .offset:         80
        .size:           8
        .value_kind:     by_value
      - .offset:         88
        .size:           4
        .value_kind:     by_value
      - .offset:         96
        .size:           4
        .value_kind:     hidden_block_count_x
      - .offset:         100
        .size:           4
        .value_kind:     hidden_block_count_y
      - .offset:         104
        .size:           4
        .value_kind:     hidden_block_count_z
      - .offset:         108
        .size:           2
        .value_kind:     hidden_group_size_x
      - .offset:         110
        .size:           2
        .value_kind:     hidden_group_size_y
      - .offset:         112
        .size:           2
        .value_kind:     hidden_group_size_z
      - .offset:         114
        .size:           2
        .value_kind:     hidden_remainder_x
      - .offset:         116
        .size:           2
        .value_kind:     hidden_remainder_y
      - .offset:         118
        .size:           2
        .value_kind:     hidden_remainder_z
      - .offset:         136
        .size:           8
        .value_kind:     hidden_global_offset_x
      - .offset:         144
        .size:           8
        .value_kind:     hidden_global_offset_y
      - .offset:         152
        .size:           8
        .value_kind:     hidden_global_offset_z
      - .offset:         160
        .size:           2
        .value_kind:     hidden_grid_dims
    .group_segment_fixed_size: 4096
    .kernarg_segment_align: 8
    .kernarg_segment_size: 352
    .language:       OpenCL C
    .language_version:
      - 2
      - 0
    .max_flat_workgroup_size: 32
    .name:           _ZL30rocblas_trsm_small_left_deviceILi32ELi32ELb1EffPKfPfEv13rocblas_fill_18rocblas_operation_17rocblas_diagonal_iiT3_T4_lilT5_lili
    .private_segment_fixed_size: 0
    .sgpr_count:     28
    .sgpr_spill_count: 0
    .symbol:         _ZL30rocblas_trsm_small_left_deviceILi32ELi32ELb1EffPKfPfEv13rocblas_fill_18rocblas_operation_17rocblas_diagonal_iiT3_T4_lilT5_lili.kd
    .uniform_work_group_size: 1
    .uses_dynamic_stack: false
    .vgpr_count:     75
    .vgpr_spill_count: 0
    .wavefront_size: 64
  - .args:
      - .offset:         0
        .size:           4
        .value_kind:     by_value
      - .offset:         4
        .size:           4
        .value_kind:     by_value
      - .offset:         8
        .size:           4
        .value_kind:     by_value
      - .offset:         12
        .size:           4
        .value_kind:     by_value
      - .offset:         16
        .size:           4
        .value_kind:     by_value
      - .offset:         20
        .size:           4
        .value_kind:     by_value
      - .address_space:  global
        .offset:         24
        .size:           8
        .value_kind:     global_buffer
      - .offset:         32
        .size:           8
        .value_kind:     by_value
      - .offset:         40
        .size:           4
        .value_kind:     by_value
      - .offset:         48
        .size:           8
        .value_kind:     by_value
      - .address_space:  global
        .offset:         56
        .size:           8
        .value_kind:     global_buffer
      - .offset:         64
        .size:           8
        .value_kind:     by_value
      - .offset:         72
        .size:           4
        .value_kind:     by_value
      - .offset:         80
        .size:           8
        .value_kind:     by_value
      - .offset:         88
        .size:           4
        .value_kind:     by_value
      - .offset:         96
        .size:           4
        .value_kind:     hidden_block_count_x
      - .offset:         100
        .size:           4
        .value_kind:     hidden_block_count_y
      - .offset:         104
        .size:           4
        .value_kind:     hidden_block_count_z
      - .offset:         108
        .size:           2
        .value_kind:     hidden_group_size_x
      - .offset:         110
        .size:           2
        .value_kind:     hidden_group_size_y
      - .offset:         112
        .size:           2
        .value_kind:     hidden_group_size_z
      - .offset:         114
        .size:           2
        .value_kind:     hidden_remainder_x
      - .offset:         116
        .size:           2
        .value_kind:     hidden_remainder_y
      - .offset:         118
        .size:           2
        .value_kind:     hidden_remainder_z
      - .offset:         136
        .size:           8
        .value_kind:     hidden_global_offset_x
      - .offset:         144
        .size:           8
        .value_kind:     hidden_global_offset_y
      - .offset:         152
        .size:           8
        .value_kind:     hidden_global_offset_z
      - .offset:         160
        .size:           2
        .value_kind:     hidden_grid_dims
    .group_segment_fixed_size: 8192
    .kernarg_segment_align: 8
    .kernarg_segment_size: 352
    .language:       OpenCL C
    .language_version:
      - 2
      - 0
    .max_flat_workgroup_size: 32
    .name:           _ZL31rocblas_trsm_small_right_deviceIffPKfPfLi32EEv13rocblas_fill_18rocblas_operation_17rocblas_diagonal_iiT0_T1_lilT2_lili
    .private_segment_fixed_size: 0
    .sgpr_count:     30
    .sgpr_spill_count: 0
    .symbol:         _ZL31rocblas_trsm_small_right_deviceIffPKfPfLi32EEv13rocblas_fill_18rocblas_operation_17rocblas_diagonal_iiT0_T1_lilT2_lili.kd
    .uniform_work_group_size: 1
    .uses_dynamic_stack: false
    .vgpr_count:     23
    .vgpr_spill_count: 0
    .wavefront_size: 64
  - .args:
      - .offset:         0
        .size:           4
        .value_kind:     by_value
      - .offset:         4
        .size:           4
        .value_kind:     by_value
      - .offset:         8
        .size:           4
        .value_kind:     by_value
      - .offset:         12
        .size:           4
        .value_kind:     by_value
      - .offset:         16
        .size:           4
        .value_kind:     by_value
      - .offset:         20
        .size:           4
        .value_kind:     by_value
      - .address_space:  global
        .offset:         24
        .size:           8
        .value_kind:     global_buffer
      - .offset:         32
        .size:           8
        .value_kind:     by_value
      - .offset:         40
        .size:           4
        .value_kind:     by_value
      - .offset:         48
        .size:           8
        .value_kind:     by_value
      - .address_space:  global
        .offset:         56
        .size:           8
        .value_kind:     global_buffer
      - .offset:         64
        .size:           8
        .value_kind:     by_value
      - .offset:         72
        .size:           4
        .value_kind:     by_value
      - .offset:         80
        .size:           8
        .value_kind:     by_value
      - .offset:         88
        .size:           4
        .value_kind:     by_value
      - .offset:         96
        .size:           4
        .value_kind:     hidden_block_count_x
      - .offset:         100
        .size:           4
        .value_kind:     hidden_block_count_y
      - .offset:         104
        .size:           4
        .value_kind:     hidden_block_count_z
      - .offset:         108
        .size:           2
        .value_kind:     hidden_group_size_x
      - .offset:         110
        .size:           2
        .value_kind:     hidden_group_size_y
      - .offset:         112
        .size:           2
        .value_kind:     hidden_group_size_z
      - .offset:         114
        .size:           2
        .value_kind:     hidden_remainder_x
      - .offset:         116
        .size:           2
        .value_kind:     hidden_remainder_y
      - .offset:         118
        .size:           2
        .value_kind:     hidden_remainder_z
      - .offset:         136
        .size:           8
        .value_kind:     hidden_global_offset_x
      - .offset:         144
        .size:           8
        .value_kind:     hidden_global_offset_y
      - .offset:         152
        .size:           8
        .value_kind:     hidden_global_offset_z
      - .offset:         160
        .size:           2
        .value_kind:     hidden_grid_dims
    .group_segment_fixed_size: 32768
    .kernarg_segment_align: 8
    .kernarg_segment_size: 352
    .language:       OpenCL C
    .language_version:
      - 2
      - 0
    .max_flat_workgroup_size: 64
    .name:           _ZL38rocblas_trsm_small_left_device_sharedBILi64ELi32ELb0EffPKfPfEv13rocblas_fill_18rocblas_operation_17rocblas_diagonal_iiT3_T4_lilT5_lili
    .private_segment_fixed_size: 0
    .sgpr_count:     28
    .sgpr_spill_count: 0
    .symbol:         _ZL38rocblas_trsm_small_left_device_sharedBILi64ELi32ELb0EffPKfPfEv13rocblas_fill_18rocblas_operation_17rocblas_diagonal_iiT3_T4_lilT5_lili.kd
    .uniform_work_group_size: 1
    .uses_dynamic_stack: false
    .vgpr_count:     102
    .vgpr_spill_count: 0
    .wavefront_size: 64
  - .args:
      - .offset:         0
        .size:           4
        .value_kind:     by_value
      - .offset:         4
        .size:           4
        .value_kind:     by_value
      - .offset:         8
        .size:           4
        .value_kind:     by_value
      - .offset:         12
        .size:           4
        .value_kind:     by_value
      - .offset:         16
        .size:           4
        .value_kind:     by_value
      - .offset:         20
        .size:           4
        .value_kind:     by_value
      - .address_space:  global
        .offset:         24
        .size:           8
        .value_kind:     global_buffer
      - .offset:         32
        .size:           8
        .value_kind:     by_value
      - .offset:         40
        .size:           4
        .value_kind:     by_value
      - .offset:         48
        .size:           8
        .value_kind:     by_value
      - .address_space:  global
        .offset:         56
        .size:           8
        .value_kind:     global_buffer
      - .offset:         64
        .size:           8
        .value_kind:     by_value
      - .offset:         72
        .size:           4
        .value_kind:     by_value
      - .offset:         80
        .size:           8
        .value_kind:     by_value
      - .offset:         88
        .size:           4
        .value_kind:     by_value
      - .offset:         96
        .size:           4
        .value_kind:     hidden_block_count_x
      - .offset:         100
        .size:           4
        .value_kind:     hidden_block_count_y
      - .offset:         104
        .size:           4
        .value_kind:     hidden_block_count_z
      - .offset:         108
        .size:           2
        .value_kind:     hidden_group_size_x
      - .offset:         110
        .size:           2
        .value_kind:     hidden_group_size_y
      - .offset:         112
        .size:           2
        .value_kind:     hidden_group_size_z
      - .offset:         114
        .size:           2
        .value_kind:     hidden_remainder_x
      - .offset:         116
        .size:           2
        .value_kind:     hidden_remainder_y
      - .offset:         118
        .size:           2
        .value_kind:     hidden_remainder_z
      - .offset:         136
        .size:           8
        .value_kind:     hidden_global_offset_x
      - .offset:         144
        .size:           8
        .value_kind:     hidden_global_offset_y
      - .offset:         152
        .size:           8
        .value_kind:     hidden_global_offset_z
      - .offset:         160
        .size:           2
        .value_kind:     hidden_grid_dims
    .group_segment_fixed_size: 16384
    .kernarg_segment_align: 8
    .kernarg_segment_size: 352
    .language:       OpenCL C
    .language_version:
      - 2
      - 0
    .max_flat_workgroup_size: 64
    .name:           _ZL30rocblas_trsm_small_left_deviceILi64ELi32ELb0EffPKfPfEv13rocblas_fill_18rocblas_operation_17rocblas_diagonal_iiT3_T4_lilT5_lili
    .private_segment_fixed_size: 0
    .sgpr_count:     28
    .sgpr_spill_count: 0
    .symbol:         _ZL30rocblas_trsm_small_left_deviceILi64ELi32ELb0EffPKfPfEv13rocblas_fill_18rocblas_operation_17rocblas_diagonal_iiT3_T4_lilT5_lili.kd
    .uniform_work_group_size: 1
    .uses_dynamic_stack: false
    .vgpr_count:     108
    .vgpr_spill_count: 0
    .wavefront_size: 64
  - .args:
      - .offset:         0
        .size:           4
        .value_kind:     by_value
      - .offset:         4
        .size:           4
        .value_kind:     by_value
      - .offset:         8
        .size:           4
        .value_kind:     by_value
      - .offset:         12
        .size:           4
        .value_kind:     by_value
      - .offset:         16
        .size:           4
        .value_kind:     by_value
      - .offset:         20
        .size:           4
        .value_kind:     by_value
      - .address_space:  global
        .offset:         24
        .size:           8
        .value_kind:     global_buffer
      - .offset:         32
        .size:           8
        .value_kind:     by_value
      - .offset:         40
        .size:           4
        .value_kind:     by_value
      - .offset:         48
        .size:           8
        .value_kind:     by_value
      - .address_space:  global
        .offset:         56
        .size:           8
        .value_kind:     global_buffer
      - .offset:         64
        .size:           8
        .value_kind:     by_value
      - .offset:         72
        .size:           4
        .value_kind:     by_value
      - .offset:         80
        .size:           8
        .value_kind:     by_value
      - .offset:         88
        .size:           4
        .value_kind:     by_value
      - .offset:         96
        .size:           4
        .value_kind:     hidden_block_count_x
      - .offset:         100
        .size:           4
        .value_kind:     hidden_block_count_y
      - .offset:         104
        .size:           4
        .value_kind:     hidden_block_count_z
      - .offset:         108
        .size:           2
        .value_kind:     hidden_group_size_x
      - .offset:         110
        .size:           2
        .value_kind:     hidden_group_size_y
      - .offset:         112
        .size:           2
        .value_kind:     hidden_group_size_z
      - .offset:         114
        .size:           2
        .value_kind:     hidden_remainder_x
      - .offset:         116
        .size:           2
        .value_kind:     hidden_remainder_y
      - .offset:         118
        .size:           2
        .value_kind:     hidden_remainder_z
      - .offset:         136
        .size:           8
        .value_kind:     hidden_global_offset_x
      - .offset:         144
        .size:           8
        .value_kind:     hidden_global_offset_y
      - .offset:         152
        .size:           8
        .value_kind:     hidden_global_offset_z
      - .offset:         160
        .size:           2
        .value_kind:     hidden_grid_dims
    .group_segment_fixed_size: 32768
    .kernarg_segment_align: 8
    .kernarg_segment_size: 352
    .language:       OpenCL C
    .language_version:
      - 2
      - 0
    .max_flat_workgroup_size: 64
    .name:           _ZL38rocblas_trsm_small_left_device_sharedBILi64ELi32ELb1EffPKfPfEv13rocblas_fill_18rocblas_operation_17rocblas_diagonal_iiT3_T4_lilT5_lili
    .private_segment_fixed_size: 0
    .sgpr_count:     28
    .sgpr_spill_count: 0
    .symbol:         _ZL38rocblas_trsm_small_left_device_sharedBILi64ELi32ELb1EffPKfPfEv13rocblas_fill_18rocblas_operation_17rocblas_diagonal_iiT3_T4_lilT5_lili.kd
    .uniform_work_group_size: 1
    .uses_dynamic_stack: false
    .vgpr_count:     70
    .vgpr_spill_count: 0
    .wavefront_size: 64
  - .args:
      - .offset:         0
        .size:           4
        .value_kind:     by_value
      - .offset:         4
        .size:           4
        .value_kind:     by_value
      - .offset:         8
        .size:           4
        .value_kind:     by_value
      - .offset:         12
        .size:           4
        .value_kind:     by_value
      - .offset:         16
        .size:           4
        .value_kind:     by_value
      - .offset:         20
        .size:           4
        .value_kind:     by_value
      - .address_space:  global
        .offset:         24
        .size:           8
        .value_kind:     global_buffer
      - .offset:         32
        .size:           8
        .value_kind:     by_value
      - .offset:         40
        .size:           4
        .value_kind:     by_value
      - .offset:         48
        .size:           8
        .value_kind:     by_value
      - .address_space:  global
        .offset:         56
        .size:           8
        .value_kind:     global_buffer
      - .offset:         64
        .size:           8
        .value_kind:     by_value
      - .offset:         72
        .size:           4
        .value_kind:     by_value
      - .offset:         80
        .size:           8
        .value_kind:     by_value
      - .offset:         88
        .size:           4
        .value_kind:     by_value
      - .offset:         96
        .size:           4
        .value_kind:     hidden_block_count_x
      - .offset:         100
        .size:           4
        .value_kind:     hidden_block_count_y
      - .offset:         104
        .size:           4
        .value_kind:     hidden_block_count_z
      - .offset:         108
        .size:           2
        .value_kind:     hidden_group_size_x
      - .offset:         110
        .size:           2
        .value_kind:     hidden_group_size_y
      - .offset:         112
        .size:           2
        .value_kind:     hidden_group_size_z
      - .offset:         114
        .size:           2
        .value_kind:     hidden_remainder_x
      - .offset:         116
        .size:           2
        .value_kind:     hidden_remainder_y
      - .offset:         118
        .size:           2
        .value_kind:     hidden_remainder_z
      - .offset:         136
        .size:           8
        .value_kind:     hidden_global_offset_x
      - .offset:         144
        .size:           8
        .value_kind:     hidden_global_offset_y
      - .offset:         152
        .size:           8
        .value_kind:     hidden_global_offset_z
      - .offset:         160
        .size:           2
        .value_kind:     hidden_grid_dims
    .group_segment_fixed_size: 16384
    .kernarg_segment_align: 8
    .kernarg_segment_size: 352
    .language:       OpenCL C
    .language_version:
      - 2
      - 0
    .max_flat_workgroup_size: 64
    .name:           _ZL30rocblas_trsm_small_left_deviceILi64ELi32ELb1EffPKfPfEv13rocblas_fill_18rocblas_operation_17rocblas_diagonal_iiT3_T4_lilT5_lili
    .private_segment_fixed_size: 0
    .sgpr_count:     28
    .sgpr_spill_count: 0
    .symbol:         _ZL30rocblas_trsm_small_left_deviceILi64ELi32ELb1EffPKfPfEv13rocblas_fill_18rocblas_operation_17rocblas_diagonal_iiT3_T4_lilT5_lili.kd
    .uniform_work_group_size: 1
    .uses_dynamic_stack: false
    .vgpr_count:     71
    .vgpr_spill_count: 0
    .wavefront_size: 64
  - .args:
      - .offset:         0
        .size:           4
        .value_kind:     by_value
      - .offset:         4
        .size:           4
        .value_kind:     by_value
      - .offset:         8
        .size:           4
        .value_kind:     by_value
      - .offset:         12
        .size:           4
        .value_kind:     by_value
      - .offset:         16
        .size:           4
        .value_kind:     by_value
      - .offset:         20
        .size:           4
        .value_kind:     by_value
      - .address_space:  global
        .offset:         24
        .size:           8
        .value_kind:     global_buffer
      - .offset:         32
        .size:           8
        .value_kind:     by_value
      - .offset:         40
        .size:           4
        .value_kind:     by_value
      - .offset:         48
        .size:           8
        .value_kind:     by_value
      - .address_space:  global
        .offset:         56
        .size:           8
        .value_kind:     global_buffer
      - .offset:         64
        .size:           8
        .value_kind:     by_value
      - .offset:         72
        .size:           4
        .value_kind:     by_value
      - .offset:         80
        .size:           8
        .value_kind:     by_value
      - .offset:         88
        .size:           4
        .value_kind:     by_value
      - .offset:         96
        .size:           4
        .value_kind:     hidden_block_count_x
      - .offset:         100
        .size:           4
        .value_kind:     hidden_block_count_y
      - .offset:         104
        .size:           4
        .value_kind:     hidden_block_count_z
      - .offset:         108
        .size:           2
        .value_kind:     hidden_group_size_x
      - .offset:         110
        .size:           2
        .value_kind:     hidden_group_size_y
      - .offset:         112
        .size:           2
        .value_kind:     hidden_group_size_z
      - .offset:         114
        .size:           2
        .value_kind:     hidden_remainder_x
      - .offset:         116
        .size:           2
        .value_kind:     hidden_remainder_y
      - .offset:         118
        .size:           2
        .value_kind:     hidden_remainder_z
      - .offset:         136
        .size:           8
        .value_kind:     hidden_global_offset_x
      - .offset:         144
        .size:           8
        .value_kind:     hidden_global_offset_y
      - .offset:         152
        .size:           8
        .value_kind:     hidden_global_offset_z
      - .offset:         160
        .size:           2
        .value_kind:     hidden_grid_dims
    .group_segment_fixed_size: 32768
    .kernarg_segment_align: 8
    .kernarg_segment_size: 352
    .language:       OpenCL C
    .language_version:
      - 2
      - 0
    .max_flat_workgroup_size: 64
    .name:           _ZL31rocblas_trsm_small_right_deviceIffPKfPfLi64EEv13rocblas_fill_18rocblas_operation_17rocblas_diagonal_iiT0_T1_lilT2_lili
    .private_segment_fixed_size: 0
    .sgpr_count:     30
    .sgpr_spill_count: 0
    .symbol:         _ZL31rocblas_trsm_small_right_deviceIffPKfPfLi64EEv13rocblas_fill_18rocblas_operation_17rocblas_diagonal_iiT0_T1_lilT2_lili.kd
    .uniform_work_group_size: 1
    .uses_dynamic_stack: false
    .vgpr_count:     23
    .vgpr_spill_count: 0
    .wavefront_size: 64
  - .args:
      - .offset:         0
        .size:           4
        .value_kind:     by_value
      - .offset:         8
        .size:           8
        .value_kind:     by_value
      - .offset:         16
        .size:           8
        .value_kind:     by_value
      - .offset:         24
        .size:           4
        .value_kind:     by_value
      - .address_space:  global
        .offset:         32
        .size:           8
        .value_kind:     global_buffer
      - .offset:         40
        .size:           8
        .value_kind:     by_value
      - .offset:         48
        .size:           8
        .value_kind:     by_value
      - .offset:         56
        .size:           8
        .value_kind:     by_value
      - .address_space:  global
        .offset:         64
        .size:           8
        .value_kind:     global_buffer
      - .offset:         72
        .size:           8
        .value_kind:     by_value
      - .offset:         80
        .size:           8
        .value_kind:     by_value
      - .offset:         88
        .size:           8
        .value_kind:     by_value
      - .offset:         96
        .size:           4
        .value_kind:     by_value
      - .offset:         100
        .size:           1
        .value_kind:     by_value
      - .offset:         104
        .size:           4
        .value_kind:     hidden_block_count_x
      - .offset:         108
        .size:           4
        .value_kind:     hidden_block_count_y
      - .offset:         112
        .size:           4
        .value_kind:     hidden_block_count_z
      - .offset:         116
        .size:           2
        .value_kind:     hidden_group_size_x
      - .offset:         118
        .size:           2
        .value_kind:     hidden_group_size_y
      - .offset:         120
        .size:           2
        .value_kind:     hidden_group_size_z
      - .offset:         122
        .size:           2
        .value_kind:     hidden_remainder_x
      - .offset:         124
        .size:           2
        .value_kind:     hidden_remainder_y
      - .offset:         126
        .size:           2
        .value_kind:     hidden_remainder_z
      - .offset:         144
        .size:           8
        .value_kind:     hidden_global_offset_x
      - .offset:         152
        .size:           8
        .value_kind:     hidden_global_offset_y
      - .offset:         160
        .size:           8
        .value_kind:     hidden_global_offset_z
      - .offset:         168
        .size:           2
        .value_kind:     hidden_grid_dims
      - .offset:         224
        .size:           4
        .value_kind:     hidden_dynamic_lds_size
    .group_segment_fixed_size: 0
    .kernarg_segment_align: 8
    .kernarg_segment_size: 360
    .language:       OpenCL C
    .language_version:
      - 2
      - 0
    .max_flat_workgroup_size: 1024
    .name:           _ZL39rocblas_trsm_block_forward_substitutionIffPKfPfLb0ELb0ELb0EEv18rocblas_operation_llT0_T1_lllT2_lllib
    .private_segment_fixed_size: 0
    .sgpr_count:     44
    .sgpr_spill_count: 0
    .symbol:         _ZL39rocblas_trsm_block_forward_substitutionIffPKfPfLb0ELb0ELb0EEv18rocblas_operation_llT0_T1_lllT2_lllib.kd
    .uniform_work_group_size: 1
    .uses_dynamic_stack: false
    .vgpr_count:     16
    .vgpr_spill_count: 0
    .wavefront_size: 64
  - .args:
      - .offset:         0
        .size:           4
        .value_kind:     by_value
      - .offset:         8
        .size:           8
        .value_kind:     by_value
      - .offset:         16
        .size:           8
        .value_kind:     by_value
      - .offset:         24
        .size:           4
        .value_kind:     by_value
      - .address_space:  global
        .offset:         32
        .size:           8
        .value_kind:     global_buffer
      - .offset:         40
        .size:           8
        .value_kind:     by_value
      - .offset:         48
        .size:           8
        .value_kind:     by_value
      - .offset:         56
        .size:           8
        .value_kind:     by_value
      - .address_space:  global
        .offset:         64
        .size:           8
        .value_kind:     global_buffer
      - .offset:         72
        .size:           8
        .value_kind:     by_value
      - .offset:         80
        .size:           8
        .value_kind:     by_value
      - .offset:         88
        .size:           8
        .value_kind:     by_value
      - .offset:         96
        .size:           4
        .value_kind:     by_value
      - .offset:         100
        .size:           1
        .value_kind:     by_value
      - .offset:         104
        .size:           4
        .value_kind:     hidden_block_count_x
      - .offset:         108
        .size:           4
        .value_kind:     hidden_block_count_y
      - .offset:         112
        .size:           4
        .value_kind:     hidden_block_count_z
      - .offset:         116
        .size:           2
        .value_kind:     hidden_group_size_x
      - .offset:         118
        .size:           2
        .value_kind:     hidden_group_size_y
      - .offset:         120
        .size:           2
        .value_kind:     hidden_group_size_z
      - .offset:         122
        .size:           2
        .value_kind:     hidden_remainder_x
      - .offset:         124
        .size:           2
        .value_kind:     hidden_remainder_y
      - .offset:         126
        .size:           2
        .value_kind:     hidden_remainder_z
      - .offset:         144
        .size:           8
        .value_kind:     hidden_global_offset_x
      - .offset:         152
        .size:           8
        .value_kind:     hidden_global_offset_y
      - .offset:         160
        .size:           8
        .value_kind:     hidden_global_offset_z
      - .offset:         168
        .size:           2
        .value_kind:     hidden_grid_dims
      - .offset:         224
        .size:           4
        .value_kind:     hidden_dynamic_lds_size
    .group_segment_fixed_size: 0
    .kernarg_segment_align: 8
    .kernarg_segment_size: 360
    .language:       OpenCL C
    .language_version:
      - 2
      - 0
    .max_flat_workgroup_size: 1024
    .name:           _ZL40rocblas_trsm_block_backward_substitutionIffPKfPfLb0ELb0ELb0EEv18rocblas_operation_llT0_T1_lllT2_lllib
    .private_segment_fixed_size: 0
    .sgpr_count:     48
    .sgpr_spill_count: 0
    .symbol:         _ZL40rocblas_trsm_block_backward_substitutionIffPKfPfLb0ELb0ELb0EEv18rocblas_operation_llT0_T1_lllT2_lllib.kd
    .uniform_work_group_size: 1
    .uses_dynamic_stack: false
    .vgpr_count:     16
    .vgpr_spill_count: 0
    .wavefront_size: 64
  - .args:
      - .offset:         0
        .size:           4
        .value_kind:     by_value
      - .offset:         8
        .size:           8
        .value_kind:     by_value
      - .offset:         16
        .size:           8
        .value_kind:     by_value
      - .offset:         24
        .size:           4
        .value_kind:     by_value
      - .address_space:  global
        .offset:         32
        .size:           8
        .value_kind:     global_buffer
      - .offset:         40
        .size:           8
        .value_kind:     by_value
      - .offset:         48
        .size:           8
        .value_kind:     by_value
      - .offset:         56
        .size:           8
        .value_kind:     by_value
      - .address_space:  global
        .offset:         64
        .size:           8
        .value_kind:     global_buffer
      - .offset:         72
        .size:           8
        .value_kind:     by_value
      - .offset:         80
        .size:           8
        .value_kind:     by_value
      - .offset:         88
        .size:           8
        .value_kind:     by_value
      - .offset:         96
        .size:           4
        .value_kind:     by_value
      - .offset:         100
        .size:           1
        .value_kind:     by_value
      - .offset:         104
        .size:           4
        .value_kind:     hidden_block_count_x
      - .offset:         108
        .size:           4
        .value_kind:     hidden_block_count_y
      - .offset:         112
        .size:           4
        .value_kind:     hidden_block_count_z
      - .offset:         116
        .size:           2
        .value_kind:     hidden_group_size_x
      - .offset:         118
        .size:           2
        .value_kind:     hidden_group_size_y
      - .offset:         120
        .size:           2
        .value_kind:     hidden_group_size_z
      - .offset:         122
        .size:           2
        .value_kind:     hidden_remainder_x
      - .offset:         124
        .size:           2
        .value_kind:     hidden_remainder_y
      - .offset:         126
        .size:           2
        .value_kind:     hidden_remainder_z
      - .offset:         144
        .size:           8
        .value_kind:     hidden_global_offset_x
      - .offset:         152
        .size:           8
        .value_kind:     hidden_global_offset_y
      - .offset:         160
        .size:           8
        .value_kind:     hidden_global_offset_z
      - .offset:         168
        .size:           2
        .value_kind:     hidden_grid_dims
      - .offset:         224
        .size:           4
        .value_kind:     hidden_dynamic_lds_size
    .group_segment_fixed_size: 0
    .kernarg_segment_align: 8
    .kernarg_segment_size: 360
    .language:       OpenCL C
    .language_version:
      - 2
      - 0
    .max_flat_workgroup_size: 1024
    .name:           _ZL39rocblas_trsm_block_forward_substitutionIffPKfPfLb0ELb0ELb1EEv18rocblas_operation_llT0_T1_lllT2_lllib
    .private_segment_fixed_size: 0
    .sgpr_count:     36
    .sgpr_spill_count: 0
    .symbol:         _ZL39rocblas_trsm_block_forward_substitutionIffPKfPfLb0ELb0ELb1EEv18rocblas_operation_llT0_T1_lllT2_lllib.kd
    .uniform_work_group_size: 1
    .uses_dynamic_stack: false
    .vgpr_count:     11
    .vgpr_spill_count: 0
    .wavefront_size: 64
  - .args:
      - .offset:         0
        .size:           4
        .value_kind:     by_value
      - .offset:         8
        .size:           8
        .value_kind:     by_value
      - .offset:         16
        .size:           8
        .value_kind:     by_value
      - .offset:         24
        .size:           4
        .value_kind:     by_value
      - .address_space:  global
        .offset:         32
        .size:           8
        .value_kind:     global_buffer
      - .offset:         40
        .size:           8
        .value_kind:     by_value
      - .offset:         48
        .size:           8
        .value_kind:     by_value
      - .offset:         56
        .size:           8
        .value_kind:     by_value
      - .address_space:  global
        .offset:         64
        .size:           8
        .value_kind:     global_buffer
      - .offset:         72
        .size:           8
        .value_kind:     by_value
      - .offset:         80
        .size:           8
        .value_kind:     by_value
      - .offset:         88
        .size:           8
        .value_kind:     by_value
      - .offset:         96
        .size:           4
        .value_kind:     by_value
      - .offset:         100
        .size:           1
        .value_kind:     by_value
      - .offset:         104
        .size:           4
        .value_kind:     hidden_block_count_x
      - .offset:         108
        .size:           4
        .value_kind:     hidden_block_count_y
      - .offset:         112
        .size:           4
        .value_kind:     hidden_block_count_z
      - .offset:         116
        .size:           2
        .value_kind:     hidden_group_size_x
      - .offset:         118
        .size:           2
        .value_kind:     hidden_group_size_y
      - .offset:         120
        .size:           2
        .value_kind:     hidden_group_size_z
      - .offset:         122
        .size:           2
        .value_kind:     hidden_remainder_x
      - .offset:         124
        .size:           2
        .value_kind:     hidden_remainder_y
      - .offset:         126
        .size:           2
        .value_kind:     hidden_remainder_z
      - .offset:         144
        .size:           8
        .value_kind:     hidden_global_offset_x
      - .offset:         152
        .size:           8
        .value_kind:     hidden_global_offset_y
      - .offset:         160
        .size:           8
        .value_kind:     hidden_global_offset_z
      - .offset:         168
        .size:           2
        .value_kind:     hidden_grid_dims
      - .offset:         224
        .size:           4
        .value_kind:     hidden_dynamic_lds_size
    .group_segment_fixed_size: 0
    .kernarg_segment_align: 8
    .kernarg_segment_size: 360
    .language:       OpenCL C
    .language_version:
      - 2
      - 0
    .max_flat_workgroup_size: 1024
    .name:           _ZL40rocblas_trsm_block_backward_substitutionIffPKfPfLb0ELb0ELb1EEv18rocblas_operation_llT0_T1_lllT2_lllib
    .private_segment_fixed_size: 0
    .sgpr_count:     36
    .sgpr_spill_count: 0
    .symbol:         _ZL40rocblas_trsm_block_backward_substitutionIffPKfPfLb0ELb0ELb1EEv18rocblas_operation_llT0_T1_lllT2_lllib.kd
    .uniform_work_group_size: 1
    .uses_dynamic_stack: false
    .vgpr_count:     11
    .vgpr_spill_count: 0
    .wavefront_size: 64
  - .args:
      - .offset:         0
        .size:           4
        .value_kind:     by_value
      - .offset:         8
        .size:           8
        .value_kind:     by_value
      - .offset:         16
        .size:           8
        .value_kind:     by_value
      - .offset:         24
        .size:           4
        .value_kind:     by_value
      - .address_space:  global
        .offset:         32
        .size:           8
        .value_kind:     global_buffer
      - .offset:         40
        .size:           8
        .value_kind:     by_value
      - .offset:         48
        .size:           8
        .value_kind:     by_value
      - .offset:         56
        .size:           8
        .value_kind:     by_value
      - .address_space:  global
        .offset:         64
        .size:           8
        .value_kind:     global_buffer
      - .offset:         72
        .size:           8
        .value_kind:     by_value
      - .offset:         80
        .size:           8
        .value_kind:     by_value
      - .offset:         88
        .size:           8
        .value_kind:     by_value
      - .offset:         96
        .size:           4
        .value_kind:     by_value
      - .offset:         100
        .size:           1
        .value_kind:     by_value
      - .offset:         104
        .size:           4
        .value_kind:     hidden_block_count_x
      - .offset:         108
        .size:           4
        .value_kind:     hidden_block_count_y
      - .offset:         112
        .size:           4
        .value_kind:     hidden_block_count_z
      - .offset:         116
        .size:           2
        .value_kind:     hidden_group_size_x
      - .offset:         118
        .size:           2
        .value_kind:     hidden_group_size_y
      - .offset:         120
        .size:           2
        .value_kind:     hidden_group_size_z
      - .offset:         122
        .size:           2
        .value_kind:     hidden_remainder_x
      - .offset:         124
        .size:           2
        .value_kind:     hidden_remainder_y
      - .offset:         126
        .size:           2
        .value_kind:     hidden_remainder_z
      - .offset:         144
        .size:           8
        .value_kind:     hidden_global_offset_x
      - .offset:         152
        .size:           8
        .value_kind:     hidden_global_offset_y
      - .offset:         160
        .size:           8
        .value_kind:     hidden_global_offset_z
      - .offset:         168
        .size:           2
        .value_kind:     hidden_grid_dims
      - .offset:         224
        .size:           4
        .value_kind:     hidden_dynamic_lds_size
    .group_segment_fixed_size: 0
    .kernarg_segment_align: 8
    .kernarg_segment_size: 360
    .language:       OpenCL C
    .language_version:
      - 2
      - 0
    .max_flat_workgroup_size: 1024
    .name:           _ZL39rocblas_trsm_block_forward_substitutionIffPKfPfLb0ELb1ELb0EEv18rocblas_operation_llT0_T1_lllT2_lllib
    .private_segment_fixed_size: 0
    .sgpr_count:     44
    .sgpr_spill_count: 0
    .symbol:         _ZL39rocblas_trsm_block_forward_substitutionIffPKfPfLb0ELb1ELb0EEv18rocblas_operation_llT0_T1_lllT2_lllib.kd
    .uniform_work_group_size: 1
    .uses_dynamic_stack: false
    .vgpr_count:     16
    .vgpr_spill_count: 0
    .wavefront_size: 64
  - .args:
      - .offset:         0
        .size:           4
        .value_kind:     by_value
      - .offset:         8
        .size:           8
        .value_kind:     by_value
      - .offset:         16
        .size:           8
        .value_kind:     by_value
      - .offset:         24
        .size:           4
        .value_kind:     by_value
      - .address_space:  global
        .offset:         32
        .size:           8
        .value_kind:     global_buffer
      - .offset:         40
        .size:           8
        .value_kind:     by_value
      - .offset:         48
        .size:           8
        .value_kind:     by_value
      - .offset:         56
        .size:           8
        .value_kind:     by_value
      - .address_space:  global
        .offset:         64
        .size:           8
        .value_kind:     global_buffer
      - .offset:         72
        .size:           8
        .value_kind:     by_value
      - .offset:         80
        .size:           8
        .value_kind:     by_value
      - .offset:         88
        .size:           8
        .value_kind:     by_value
      - .offset:         96
        .size:           4
        .value_kind:     by_value
      - .offset:         100
        .size:           1
        .value_kind:     by_value
      - .offset:         104
        .size:           4
        .value_kind:     hidden_block_count_x
      - .offset:         108
        .size:           4
        .value_kind:     hidden_block_count_y
      - .offset:         112
        .size:           4
        .value_kind:     hidden_block_count_z
      - .offset:         116
        .size:           2
        .value_kind:     hidden_group_size_x
      - .offset:         118
        .size:           2
        .value_kind:     hidden_group_size_y
      - .offset:         120
        .size:           2
        .value_kind:     hidden_group_size_z
      - .offset:         122
        .size:           2
        .value_kind:     hidden_remainder_x
      - .offset:         124
        .size:           2
        .value_kind:     hidden_remainder_y
      - .offset:         126
        .size:           2
        .value_kind:     hidden_remainder_z
      - .offset:         144
        .size:           8
        .value_kind:     hidden_global_offset_x
      - .offset:         152
        .size:           8
        .value_kind:     hidden_global_offset_y
      - .offset:         160
        .size:           8
        .value_kind:     hidden_global_offset_z
      - .offset:         168
        .size:           2
        .value_kind:     hidden_grid_dims
      - .offset:         224
        .size:           4
        .value_kind:     hidden_dynamic_lds_size
    .group_segment_fixed_size: 0
    .kernarg_segment_align: 8
    .kernarg_segment_size: 360
    .language:       OpenCL C
    .language_version:
      - 2
      - 0
    .max_flat_workgroup_size: 1024
    .name:           _ZL40rocblas_trsm_block_backward_substitutionIffPKfPfLb0ELb1ELb0EEv18rocblas_operation_llT0_T1_lllT2_lllib
    .private_segment_fixed_size: 0
    .sgpr_count:     48
    .sgpr_spill_count: 0
    .symbol:         _ZL40rocblas_trsm_block_backward_substitutionIffPKfPfLb0ELb1ELb0EEv18rocblas_operation_llT0_T1_lllT2_lllib.kd
    .uniform_work_group_size: 1
    .uses_dynamic_stack: false
    .vgpr_count:     16
    .vgpr_spill_count: 0
    .wavefront_size: 64
  - .args:
      - .offset:         0
        .size:           4
        .value_kind:     by_value
      - .offset:         8
        .size:           8
        .value_kind:     by_value
      - .offset:         16
        .size:           8
        .value_kind:     by_value
      - .offset:         24
        .size:           4
        .value_kind:     by_value
      - .address_space:  global
        .offset:         32
        .size:           8
        .value_kind:     global_buffer
      - .offset:         40
        .size:           8
        .value_kind:     by_value
      - .offset:         48
        .size:           8
        .value_kind:     by_value
      - .offset:         56
        .size:           8
        .value_kind:     by_value
      - .address_space:  global
        .offset:         64
        .size:           8
        .value_kind:     global_buffer
      - .offset:         72
        .size:           8
        .value_kind:     by_value
      - .offset:         80
        .size:           8
        .value_kind:     by_value
      - .offset:         88
        .size:           8
        .value_kind:     by_value
      - .offset:         96
        .size:           4
        .value_kind:     by_value
      - .offset:         100
        .size:           1
        .value_kind:     by_value
      - .offset:         104
        .size:           4
        .value_kind:     hidden_block_count_x
      - .offset:         108
        .size:           4
        .value_kind:     hidden_block_count_y
      - .offset:         112
        .size:           4
        .value_kind:     hidden_block_count_z
      - .offset:         116
        .size:           2
        .value_kind:     hidden_group_size_x
      - .offset:         118
        .size:           2
        .value_kind:     hidden_group_size_y
      - .offset:         120
        .size:           2
        .value_kind:     hidden_group_size_z
      - .offset:         122
        .size:           2
        .value_kind:     hidden_remainder_x
      - .offset:         124
        .size:           2
        .value_kind:     hidden_remainder_y
      - .offset:         126
        .size:           2
        .value_kind:     hidden_remainder_z
      - .offset:         144
        .size:           8
        .value_kind:     hidden_global_offset_x
      - .offset:         152
        .size:           8
        .value_kind:     hidden_global_offset_y
      - .offset:         160
        .size:           8
        .value_kind:     hidden_global_offset_z
      - .offset:         168
        .size:           2
        .value_kind:     hidden_grid_dims
      - .offset:         224
        .size:           4
        .value_kind:     hidden_dynamic_lds_size
    .group_segment_fixed_size: 0
    .kernarg_segment_align: 8
    .kernarg_segment_size: 360
    .language:       OpenCL C
    .language_version:
      - 2
      - 0
    .max_flat_workgroup_size: 1024
    .name:           _ZL39rocblas_trsm_block_forward_substitutionIffPKfPfLb0ELb1ELb1EEv18rocblas_operation_llT0_T1_lllT2_lllib
    .private_segment_fixed_size: 0
    .sgpr_count:     36
    .sgpr_spill_count: 0
    .symbol:         _ZL39rocblas_trsm_block_forward_substitutionIffPKfPfLb0ELb1ELb1EEv18rocblas_operation_llT0_T1_lllT2_lllib.kd
    .uniform_work_group_size: 1
    .uses_dynamic_stack: false
    .vgpr_count:     11
    .vgpr_spill_count: 0
    .wavefront_size: 64
  - .args:
      - .offset:         0
        .size:           4
        .value_kind:     by_value
      - .offset:         8
        .size:           8
        .value_kind:     by_value
      - .offset:         16
        .size:           8
        .value_kind:     by_value
      - .offset:         24
        .size:           4
        .value_kind:     by_value
      - .address_space:  global
        .offset:         32
        .size:           8
        .value_kind:     global_buffer
      - .offset:         40
        .size:           8
        .value_kind:     by_value
      - .offset:         48
        .size:           8
        .value_kind:     by_value
      - .offset:         56
        .size:           8
        .value_kind:     by_value
      - .address_space:  global
        .offset:         64
        .size:           8
        .value_kind:     global_buffer
      - .offset:         72
        .size:           8
        .value_kind:     by_value
      - .offset:         80
        .size:           8
        .value_kind:     by_value
      - .offset:         88
        .size:           8
        .value_kind:     by_value
      - .offset:         96
        .size:           4
        .value_kind:     by_value
      - .offset:         100
        .size:           1
        .value_kind:     by_value
      - .offset:         104
        .size:           4
        .value_kind:     hidden_block_count_x
      - .offset:         108
        .size:           4
        .value_kind:     hidden_block_count_y
      - .offset:         112
        .size:           4
        .value_kind:     hidden_block_count_z
      - .offset:         116
        .size:           2
        .value_kind:     hidden_group_size_x
      - .offset:         118
        .size:           2
        .value_kind:     hidden_group_size_y
      - .offset:         120
        .size:           2
        .value_kind:     hidden_group_size_z
      - .offset:         122
        .size:           2
        .value_kind:     hidden_remainder_x
      - .offset:         124
        .size:           2
        .value_kind:     hidden_remainder_y
      - .offset:         126
        .size:           2
        .value_kind:     hidden_remainder_z
      - .offset:         144
        .size:           8
        .value_kind:     hidden_global_offset_x
      - .offset:         152
        .size:           8
        .value_kind:     hidden_global_offset_y
      - .offset:         160
        .size:           8
        .value_kind:     hidden_global_offset_z
      - .offset:         168
        .size:           2
        .value_kind:     hidden_grid_dims
      - .offset:         224
        .size:           4
        .value_kind:     hidden_dynamic_lds_size
    .group_segment_fixed_size: 0
    .kernarg_segment_align: 8
    .kernarg_segment_size: 360
    .language:       OpenCL C
    .language_version:
      - 2
      - 0
    .max_flat_workgroup_size: 1024
    .name:           _ZL40rocblas_trsm_block_backward_substitutionIffPKfPfLb0ELb1ELb1EEv18rocblas_operation_llT0_T1_lllT2_lllib
    .private_segment_fixed_size: 0
    .sgpr_count:     36
    .sgpr_spill_count: 0
    .symbol:         _ZL40rocblas_trsm_block_backward_substitutionIffPKfPfLb0ELb1ELb1EEv18rocblas_operation_llT0_T1_lllT2_lllib.kd
    .uniform_work_group_size: 1
    .uses_dynamic_stack: false
    .vgpr_count:     11
    .vgpr_spill_count: 0
    .wavefront_size: 64
  - .args:
      - .offset:         0
        .size:           4
        .value_kind:     by_value
      - .offset:         8
        .size:           8
        .value_kind:     by_value
      - .offset:         16
        .size:           8
        .value_kind:     by_value
      - .offset:         24
        .size:           4
        .value_kind:     by_value
      - .address_space:  global
        .offset:         32
        .size:           8
        .value_kind:     global_buffer
      - .offset:         40
        .size:           8
        .value_kind:     by_value
      - .offset:         48
        .size:           8
        .value_kind:     by_value
      - .offset:         56
        .size:           8
        .value_kind:     by_value
      - .address_space:  global
        .offset:         64
        .size:           8
        .value_kind:     global_buffer
      - .offset:         72
        .size:           8
        .value_kind:     by_value
      - .offset:         80
        .size:           8
        .value_kind:     by_value
      - .offset:         88
        .size:           8
        .value_kind:     by_value
      - .offset:         96
        .size:           4
        .value_kind:     by_value
      - .offset:         100
        .size:           1
        .value_kind:     by_value
      - .offset:         104
        .size:           4
        .value_kind:     hidden_block_count_x
      - .offset:         108
        .size:           4
        .value_kind:     hidden_block_count_y
      - .offset:         112
        .size:           4
        .value_kind:     hidden_block_count_z
      - .offset:         116
        .size:           2
        .value_kind:     hidden_group_size_x
      - .offset:         118
        .size:           2
        .value_kind:     hidden_group_size_y
      - .offset:         120
        .size:           2
        .value_kind:     hidden_group_size_z
      - .offset:         122
        .size:           2
        .value_kind:     hidden_remainder_x
      - .offset:         124
        .size:           2
        .value_kind:     hidden_remainder_y
      - .offset:         126
        .size:           2
        .value_kind:     hidden_remainder_z
      - .offset:         144
        .size:           8
        .value_kind:     hidden_global_offset_x
      - .offset:         152
        .size:           8
        .value_kind:     hidden_global_offset_y
      - .offset:         160
        .size:           8
        .value_kind:     hidden_global_offset_z
      - .offset:         168
        .size:           2
        .value_kind:     hidden_grid_dims
      - .offset:         224
        .size:           4
        .value_kind:     hidden_dynamic_lds_size
    .group_segment_fixed_size: 0
    .kernarg_segment_align: 8
    .kernarg_segment_size: 360
    .language:       OpenCL C
    .language_version:
      - 2
      - 0
    .max_flat_workgroup_size: 1024
    .name:           _ZL39rocblas_trsm_block_forward_substitutionIffPKfPfLb1ELb1ELb0EEv18rocblas_operation_llT0_T1_lllT2_lllib
    .private_segment_fixed_size: 0
    .sgpr_count:     44
    .sgpr_spill_count: 0
    .symbol:         _ZL39rocblas_trsm_block_forward_substitutionIffPKfPfLb1ELb1ELb0EEv18rocblas_operation_llT0_T1_lllT2_lllib.kd
    .uniform_work_group_size: 1
    .uses_dynamic_stack: false
    .vgpr_count:     16
    .vgpr_spill_count: 0
    .wavefront_size: 64
  - .args:
      - .offset:         0
        .size:           4
        .value_kind:     by_value
      - .offset:         8
        .size:           8
        .value_kind:     by_value
      - .offset:         16
        .size:           8
        .value_kind:     by_value
      - .offset:         24
        .size:           4
        .value_kind:     by_value
      - .address_space:  global
        .offset:         32
        .size:           8
        .value_kind:     global_buffer
      - .offset:         40
        .size:           8
        .value_kind:     by_value
      - .offset:         48
        .size:           8
        .value_kind:     by_value
      - .offset:         56
        .size:           8
        .value_kind:     by_value
      - .address_space:  global
        .offset:         64
        .size:           8
        .value_kind:     global_buffer
      - .offset:         72
        .size:           8
        .value_kind:     by_value
      - .offset:         80
        .size:           8
        .value_kind:     by_value
      - .offset:         88
        .size:           8
        .value_kind:     by_value
      - .offset:         96
        .size:           4
        .value_kind:     by_value
      - .offset:         100
        .size:           1
        .value_kind:     by_value
      - .offset:         104
        .size:           4
        .value_kind:     hidden_block_count_x
      - .offset:         108
        .size:           4
        .value_kind:     hidden_block_count_y
      - .offset:         112
        .size:           4
        .value_kind:     hidden_block_count_z
      - .offset:         116
        .size:           2
        .value_kind:     hidden_group_size_x
      - .offset:         118
        .size:           2
        .value_kind:     hidden_group_size_y
      - .offset:         120
        .size:           2
        .value_kind:     hidden_group_size_z
      - .offset:         122
        .size:           2
        .value_kind:     hidden_remainder_x
      - .offset:         124
        .size:           2
        .value_kind:     hidden_remainder_y
      - .offset:         126
        .size:           2
        .value_kind:     hidden_remainder_z
      - .offset:         144
        .size:           8
        .value_kind:     hidden_global_offset_x
      - .offset:         152
        .size:           8
        .value_kind:     hidden_global_offset_y
      - .offset:         160
        .size:           8
        .value_kind:     hidden_global_offset_z
      - .offset:         168
        .size:           2
        .value_kind:     hidden_grid_dims
      - .offset:         224
        .size:           4
        .value_kind:     hidden_dynamic_lds_size
    .group_segment_fixed_size: 0
    .kernarg_segment_align: 8
    .kernarg_segment_size: 360
    .language:       OpenCL C
    .language_version:
      - 2
      - 0
    .max_flat_workgroup_size: 1024
    .name:           _ZL40rocblas_trsm_block_backward_substitutionIffPKfPfLb1ELb1ELb0EEv18rocblas_operation_llT0_T1_lllT2_lllib
    .private_segment_fixed_size: 0
    .sgpr_count:     48
    .sgpr_spill_count: 0
    .symbol:         _ZL40rocblas_trsm_block_backward_substitutionIffPKfPfLb1ELb1ELb0EEv18rocblas_operation_llT0_T1_lllT2_lllib.kd
    .uniform_work_group_size: 1
    .uses_dynamic_stack: false
    .vgpr_count:     16
    .vgpr_spill_count: 0
    .wavefront_size: 64
  - .args:
      - .offset:         0
        .size:           4
        .value_kind:     by_value
      - .offset:         8
        .size:           8
        .value_kind:     by_value
      - .offset:         16
        .size:           8
        .value_kind:     by_value
      - .offset:         24
        .size:           4
        .value_kind:     by_value
      - .address_space:  global
        .offset:         32
        .size:           8
        .value_kind:     global_buffer
      - .offset:         40
        .size:           8
        .value_kind:     by_value
      - .offset:         48
        .size:           8
        .value_kind:     by_value
      - .offset:         56
        .size:           8
        .value_kind:     by_value
      - .address_space:  global
        .offset:         64
        .size:           8
        .value_kind:     global_buffer
      - .offset:         72
        .size:           8
        .value_kind:     by_value
      - .offset:         80
        .size:           8
        .value_kind:     by_value
      - .offset:         88
        .size:           8
        .value_kind:     by_value
      - .offset:         96
        .size:           4
        .value_kind:     by_value
      - .offset:         100
        .size:           1
        .value_kind:     by_value
      - .offset:         104
        .size:           4
        .value_kind:     hidden_block_count_x
      - .offset:         108
        .size:           4
        .value_kind:     hidden_block_count_y
      - .offset:         112
        .size:           4
        .value_kind:     hidden_block_count_z
      - .offset:         116
        .size:           2
        .value_kind:     hidden_group_size_x
      - .offset:         118
        .size:           2
        .value_kind:     hidden_group_size_y
      - .offset:         120
        .size:           2
        .value_kind:     hidden_group_size_z
      - .offset:         122
        .size:           2
        .value_kind:     hidden_remainder_x
      - .offset:         124
        .size:           2
        .value_kind:     hidden_remainder_y
      - .offset:         126
        .size:           2
        .value_kind:     hidden_remainder_z
      - .offset:         144
        .size:           8
        .value_kind:     hidden_global_offset_x
      - .offset:         152
        .size:           8
        .value_kind:     hidden_global_offset_y
      - .offset:         160
        .size:           8
        .value_kind:     hidden_global_offset_z
      - .offset:         168
        .size:           2
        .value_kind:     hidden_grid_dims
      - .offset:         224
        .size:           4
        .value_kind:     hidden_dynamic_lds_size
    .group_segment_fixed_size: 0
    .kernarg_segment_align: 8
    .kernarg_segment_size: 360
    .language:       OpenCL C
    .language_version:
      - 2
      - 0
    .max_flat_workgroup_size: 1024
    .name:           _ZL39rocblas_trsm_block_forward_substitutionIffPKfPfLb1ELb1ELb1EEv18rocblas_operation_llT0_T1_lllT2_lllib
    .private_segment_fixed_size: 0
    .sgpr_count:     36
    .sgpr_spill_count: 0
    .symbol:         _ZL39rocblas_trsm_block_forward_substitutionIffPKfPfLb1ELb1ELb1EEv18rocblas_operation_llT0_T1_lllT2_lllib.kd
    .uniform_work_group_size: 1
    .uses_dynamic_stack: false
    .vgpr_count:     10
    .vgpr_spill_count: 0
    .wavefront_size: 64
  - .args:
      - .offset:         0
        .size:           4
        .value_kind:     by_value
      - .offset:         8
        .size:           8
        .value_kind:     by_value
      - .offset:         16
        .size:           8
        .value_kind:     by_value
      - .offset:         24
        .size:           4
        .value_kind:     by_value
      - .address_space:  global
        .offset:         32
        .size:           8
        .value_kind:     global_buffer
      - .offset:         40
        .size:           8
        .value_kind:     by_value
      - .offset:         48
        .size:           8
        .value_kind:     by_value
      - .offset:         56
        .size:           8
        .value_kind:     by_value
      - .address_space:  global
        .offset:         64
        .size:           8
        .value_kind:     global_buffer
      - .offset:         72
        .size:           8
        .value_kind:     by_value
      - .offset:         80
        .size:           8
        .value_kind:     by_value
      - .offset:         88
        .size:           8
        .value_kind:     by_value
      - .offset:         96
        .size:           4
        .value_kind:     by_value
      - .offset:         100
        .size:           1
        .value_kind:     by_value
      - .offset:         104
        .size:           4
        .value_kind:     hidden_block_count_x
      - .offset:         108
        .size:           4
        .value_kind:     hidden_block_count_y
      - .offset:         112
        .size:           4
        .value_kind:     hidden_block_count_z
      - .offset:         116
        .size:           2
        .value_kind:     hidden_group_size_x
      - .offset:         118
        .size:           2
        .value_kind:     hidden_group_size_y
      - .offset:         120
        .size:           2
        .value_kind:     hidden_group_size_z
      - .offset:         122
        .size:           2
        .value_kind:     hidden_remainder_x
      - .offset:         124
        .size:           2
        .value_kind:     hidden_remainder_y
      - .offset:         126
        .size:           2
        .value_kind:     hidden_remainder_z
      - .offset:         144
        .size:           8
        .value_kind:     hidden_global_offset_x
      - .offset:         152
        .size:           8
        .value_kind:     hidden_global_offset_y
      - .offset:         160
        .size:           8
        .value_kind:     hidden_global_offset_z
      - .offset:         168
        .size:           2
        .value_kind:     hidden_grid_dims
      - .offset:         224
        .size:           4
        .value_kind:     hidden_dynamic_lds_size
    .group_segment_fixed_size: 0
    .kernarg_segment_align: 8
    .kernarg_segment_size: 360
    .language:       OpenCL C
    .language_version:
      - 2
      - 0
    .max_flat_workgroup_size: 1024
    .name:           _ZL40rocblas_trsm_block_backward_substitutionIffPKfPfLb1ELb1ELb1EEv18rocblas_operation_llT0_T1_lllT2_lllib
    .private_segment_fixed_size: 0
    .sgpr_count:     36
    .sgpr_spill_count: 0
    .symbol:         _ZL40rocblas_trsm_block_backward_substitutionIffPKfPfLb1ELb1ELb1EEv18rocblas_operation_llT0_T1_lllT2_lllib.kd
    .uniform_work_group_size: 1
    .uses_dynamic_stack: false
    .vgpr_count:     11
    .vgpr_spill_count: 0
    .wavefront_size: 64
  - .args:
      - .offset:         0
        .size:           4
        .value_kind:     by_value
      - .offset:         8
        .size:           8
        .value_kind:     by_value
      - .offset:         16
        .size:           8
        .value_kind:     by_value
      - .offset:         24
        .size:           4
        .value_kind:     by_value
      - .address_space:  global
        .offset:         32
        .size:           8
        .value_kind:     global_buffer
      - .offset:         40
        .size:           8
        .value_kind:     by_value
      - .offset:         48
        .size:           8
        .value_kind:     by_value
      - .offset:         56
        .size:           8
        .value_kind:     by_value
      - .address_space:  global
        .offset:         64
        .size:           8
        .value_kind:     global_buffer
      - .offset:         72
        .size:           8
        .value_kind:     by_value
      - .offset:         80
        .size:           8
        .value_kind:     by_value
      - .offset:         88
        .size:           8
        .value_kind:     by_value
      - .offset:         96
        .size:           4
        .value_kind:     by_value
      - .offset:         100
        .size:           1
        .value_kind:     by_value
      - .offset:         104
        .size:           4
        .value_kind:     hidden_block_count_x
      - .offset:         108
        .size:           4
        .value_kind:     hidden_block_count_y
      - .offset:         112
        .size:           4
        .value_kind:     hidden_block_count_z
      - .offset:         116
        .size:           2
        .value_kind:     hidden_group_size_x
      - .offset:         118
        .size:           2
        .value_kind:     hidden_group_size_y
      - .offset:         120
        .size:           2
        .value_kind:     hidden_group_size_z
      - .offset:         122
        .size:           2
        .value_kind:     hidden_remainder_x
      - .offset:         124
        .size:           2
        .value_kind:     hidden_remainder_y
      - .offset:         126
        .size:           2
        .value_kind:     hidden_remainder_z
      - .offset:         144
        .size:           8
        .value_kind:     hidden_global_offset_x
      - .offset:         152
        .size:           8
        .value_kind:     hidden_global_offset_y
      - .offset:         160
        .size:           8
        .value_kind:     hidden_global_offset_z
      - .offset:         168
        .size:           2
        .value_kind:     hidden_grid_dims
      - .offset:         224
        .size:           4
        .value_kind:     hidden_dynamic_lds_size
    .group_segment_fixed_size: 0
    .kernarg_segment_align: 8
    .kernarg_segment_size: 360
    .language:       OpenCL C
    .language_version:
      - 2
      - 0
    .max_flat_workgroup_size: 1024
    .name:           _ZL39rocblas_trsm_block_forward_substitutionIffPKfPfLb1ELb0ELb0EEv18rocblas_operation_llT0_T1_lllT2_lllib
    .private_segment_fixed_size: 0
    .sgpr_count:     44
    .sgpr_spill_count: 0
    .symbol:         _ZL39rocblas_trsm_block_forward_substitutionIffPKfPfLb1ELb0ELb0EEv18rocblas_operation_llT0_T1_lllT2_lllib.kd
    .uniform_work_group_size: 1
    .uses_dynamic_stack: false
    .vgpr_count:     16
    .vgpr_spill_count: 0
    .wavefront_size: 64
  - .args:
      - .offset:         0
        .size:           4
        .value_kind:     by_value
      - .offset:         8
        .size:           8
        .value_kind:     by_value
      - .offset:         16
        .size:           8
        .value_kind:     by_value
      - .offset:         24
        .size:           4
        .value_kind:     by_value
      - .address_space:  global
        .offset:         32
        .size:           8
        .value_kind:     global_buffer
      - .offset:         40
        .size:           8
        .value_kind:     by_value
      - .offset:         48
        .size:           8
        .value_kind:     by_value
      - .offset:         56
        .size:           8
        .value_kind:     by_value
      - .address_space:  global
        .offset:         64
        .size:           8
        .value_kind:     global_buffer
      - .offset:         72
        .size:           8
        .value_kind:     by_value
      - .offset:         80
        .size:           8
        .value_kind:     by_value
      - .offset:         88
        .size:           8
        .value_kind:     by_value
      - .offset:         96
        .size:           4
        .value_kind:     by_value
      - .offset:         100
        .size:           1
        .value_kind:     by_value
      - .offset:         104
        .size:           4
        .value_kind:     hidden_block_count_x
      - .offset:         108
        .size:           4
        .value_kind:     hidden_block_count_y
      - .offset:         112
        .size:           4
        .value_kind:     hidden_block_count_z
      - .offset:         116
        .size:           2
        .value_kind:     hidden_group_size_x
      - .offset:         118
        .size:           2
        .value_kind:     hidden_group_size_y
      - .offset:         120
        .size:           2
        .value_kind:     hidden_group_size_z
      - .offset:         122
        .size:           2
        .value_kind:     hidden_remainder_x
      - .offset:         124
        .size:           2
        .value_kind:     hidden_remainder_y
      - .offset:         126
        .size:           2
        .value_kind:     hidden_remainder_z
      - .offset:         144
        .size:           8
        .value_kind:     hidden_global_offset_x
      - .offset:         152
        .size:           8
        .value_kind:     hidden_global_offset_y
      - .offset:         160
        .size:           8
        .value_kind:     hidden_global_offset_z
      - .offset:         168
        .size:           2
        .value_kind:     hidden_grid_dims
      - .offset:         224
        .size:           4
        .value_kind:     hidden_dynamic_lds_size
    .group_segment_fixed_size: 0
    .kernarg_segment_align: 8
    .kernarg_segment_size: 360
    .language:       OpenCL C
    .language_version:
      - 2
      - 0
    .max_flat_workgroup_size: 1024
    .name:           _ZL40rocblas_trsm_block_backward_substitutionIffPKfPfLb1ELb0ELb0EEv18rocblas_operation_llT0_T1_lllT2_lllib
    .private_segment_fixed_size: 0
    .sgpr_count:     48
    .sgpr_spill_count: 0
    .symbol:         _ZL40rocblas_trsm_block_backward_substitutionIffPKfPfLb1ELb0ELb0EEv18rocblas_operation_llT0_T1_lllT2_lllib.kd
    .uniform_work_group_size: 1
    .uses_dynamic_stack: false
    .vgpr_count:     16
    .vgpr_spill_count: 0
    .wavefront_size: 64
  - .args:
      - .offset:         0
        .size:           4
        .value_kind:     by_value
      - .offset:         8
        .size:           8
        .value_kind:     by_value
      - .offset:         16
        .size:           8
        .value_kind:     by_value
      - .offset:         24
        .size:           4
        .value_kind:     by_value
      - .address_space:  global
        .offset:         32
        .size:           8
        .value_kind:     global_buffer
      - .offset:         40
        .size:           8
        .value_kind:     by_value
      - .offset:         48
        .size:           8
        .value_kind:     by_value
      - .offset:         56
        .size:           8
        .value_kind:     by_value
      - .address_space:  global
        .offset:         64
        .size:           8
        .value_kind:     global_buffer
      - .offset:         72
        .size:           8
        .value_kind:     by_value
      - .offset:         80
        .size:           8
        .value_kind:     by_value
      - .offset:         88
        .size:           8
        .value_kind:     by_value
      - .offset:         96
        .size:           4
        .value_kind:     by_value
      - .offset:         100
        .size:           1
        .value_kind:     by_value
      - .offset:         104
        .size:           4
        .value_kind:     hidden_block_count_x
      - .offset:         108
        .size:           4
        .value_kind:     hidden_block_count_y
      - .offset:         112
        .size:           4
        .value_kind:     hidden_block_count_z
      - .offset:         116
        .size:           2
        .value_kind:     hidden_group_size_x
      - .offset:         118
        .size:           2
        .value_kind:     hidden_group_size_y
      - .offset:         120
        .size:           2
        .value_kind:     hidden_group_size_z
      - .offset:         122
        .size:           2
        .value_kind:     hidden_remainder_x
      - .offset:         124
        .size:           2
        .value_kind:     hidden_remainder_y
      - .offset:         126
        .size:           2
        .value_kind:     hidden_remainder_z
      - .offset:         144
        .size:           8
        .value_kind:     hidden_global_offset_x
      - .offset:         152
        .size:           8
        .value_kind:     hidden_global_offset_y
      - .offset:         160
        .size:           8
        .value_kind:     hidden_global_offset_z
      - .offset:         168
        .size:           2
        .value_kind:     hidden_grid_dims
      - .offset:         224
        .size:           4
        .value_kind:     hidden_dynamic_lds_size
    .group_segment_fixed_size: 0
    .kernarg_segment_align: 8
    .kernarg_segment_size: 360
    .language:       OpenCL C
    .language_version:
      - 2
      - 0
    .max_flat_workgroup_size: 1024
    .name:           _ZL39rocblas_trsm_block_forward_substitutionIffPKfPfLb1ELb0ELb1EEv18rocblas_operation_llT0_T1_lllT2_lllib
    .private_segment_fixed_size: 0
    .sgpr_count:     36
    .sgpr_spill_count: 0
    .symbol:         _ZL39rocblas_trsm_block_forward_substitutionIffPKfPfLb1ELb0ELb1EEv18rocblas_operation_llT0_T1_lllT2_lllib.kd
    .uniform_work_group_size: 1
    .uses_dynamic_stack: false
    .vgpr_count:     10
    .vgpr_spill_count: 0
    .wavefront_size: 64
  - .args:
      - .offset:         0
        .size:           4
        .value_kind:     by_value
      - .offset:         8
        .size:           8
        .value_kind:     by_value
      - .offset:         16
        .size:           8
        .value_kind:     by_value
      - .offset:         24
        .size:           4
        .value_kind:     by_value
      - .address_space:  global
        .offset:         32
        .size:           8
        .value_kind:     global_buffer
      - .offset:         40
        .size:           8
        .value_kind:     by_value
      - .offset:         48
        .size:           8
        .value_kind:     by_value
      - .offset:         56
        .size:           8
        .value_kind:     by_value
      - .address_space:  global
        .offset:         64
        .size:           8
        .value_kind:     global_buffer
      - .offset:         72
        .size:           8
        .value_kind:     by_value
      - .offset:         80
        .size:           8
        .value_kind:     by_value
      - .offset:         88
        .size:           8
        .value_kind:     by_value
      - .offset:         96
        .size:           4
        .value_kind:     by_value
      - .offset:         100
        .size:           1
        .value_kind:     by_value
      - .offset:         104
        .size:           4
        .value_kind:     hidden_block_count_x
      - .offset:         108
        .size:           4
        .value_kind:     hidden_block_count_y
      - .offset:         112
        .size:           4
        .value_kind:     hidden_block_count_z
      - .offset:         116
        .size:           2
        .value_kind:     hidden_group_size_x
      - .offset:         118
        .size:           2
        .value_kind:     hidden_group_size_y
      - .offset:         120
        .size:           2
        .value_kind:     hidden_group_size_z
      - .offset:         122
        .size:           2
        .value_kind:     hidden_remainder_x
      - .offset:         124
        .size:           2
        .value_kind:     hidden_remainder_y
      - .offset:         126
        .size:           2
        .value_kind:     hidden_remainder_z
      - .offset:         144
        .size:           8
        .value_kind:     hidden_global_offset_x
      - .offset:         152
        .size:           8
        .value_kind:     hidden_global_offset_y
      - .offset:         160
        .size:           8
        .value_kind:     hidden_global_offset_z
      - .offset:         168
        .size:           2
        .value_kind:     hidden_grid_dims
      - .offset:         224
        .size:           4
        .value_kind:     hidden_dynamic_lds_size
    .group_segment_fixed_size: 0
    .kernarg_segment_align: 8
    .kernarg_segment_size: 360
    .language:       OpenCL C
    .language_version:
      - 2
      - 0
    .max_flat_workgroup_size: 1024
    .name:           _ZL40rocblas_trsm_block_backward_substitutionIffPKfPfLb1ELb0ELb1EEv18rocblas_operation_llT0_T1_lllT2_lllib
    .private_segment_fixed_size: 0
    .sgpr_count:     36
    .sgpr_spill_count: 0
    .symbol:         _ZL40rocblas_trsm_block_backward_substitutionIffPKfPfLb1ELb0ELb1EEv18rocblas_operation_llT0_T1_lllT2_lllib.kd
    .uniform_work_group_size: 1
    .uses_dynamic_stack: false
    .vgpr_count:     11
    .vgpr_spill_count: 0
    .wavefront_size: 64
  - .args:
      - .address_space:  global
        .offset:         0
        .size:           8
        .value_kind:     global_buffer
      - .offset:         8
        .size:           8
        .value_kind:     by_value
      - .address_space:  global
        .offset:         16
        .size:           8
        .value_kind:     global_buffer
    .group_segment_fixed_size: 0
    .kernarg_segment_align: 8
    .kernarg_segment_size: 24
    .language:       OpenCL C
    .language_version:
      - 2
      - 0
    .max_flat_workgroup_size: 128
    .name:           _ZL26setup_batched_array_kernelILi128EfEvPT0_lPS1_
    .private_segment_fixed_size: 0
    .sgpr_count:     13
    .sgpr_spill_count: 0
    .symbol:         _ZL26setup_batched_array_kernelILi128EfEvPT0_lPS1_.kd
    .uniform_work_group_size: 1
    .uses_dynamic_stack: false
    .vgpr_count:     3
    .vgpr_spill_count: 0
    .wavefront_size: 64
  - .args:
      - .offset:         0
        .size:           4
        .value_kind:     by_value
      - .offset:         4
        .size:           4
        .value_kind:     by_value
      - .address_space:  global
        .offset:         8
        .size:           8
        .value_kind:     global_buffer
      - .offset:         16
        .size:           8
        .value_kind:     by_value
      - .offset:         24
        .size:           4
        .value_kind:     by_value
      - .offset:         32
        .size:           8
        .value_kind:     by_value
      - .address_space:  global
        .offset:         40
        .size:           8
        .value_kind:     global_buffer
      - .offset:         48
        .size:           8
        .value_kind:     by_value
      - .offset:         56
        .size:           8
        .value_kind:     by_value
      - .offset:         64
        .size:           4
        .value_kind:     by_value
    .group_segment_fixed_size: 4096
    .kernarg_segment_align: 8
    .kernarg_segment_size: 68
    .language:       OpenCL C
    .language_version:
      - 2
      - 0
    .max_flat_workgroup_size: 256
    .name:           _ZL25rocblas_trtri_trsm_kernelILi128ELi16ELi8EfPKfPfEv13rocblas_fill_17rocblas_diagonal_T3_lilT4_lli
    .private_segment_fixed_size: 0
    .sgpr_count:     36
    .sgpr_spill_count: 0
    .symbol:         _ZL25rocblas_trtri_trsm_kernelILi128ELi16ELi8EfPKfPfEv13rocblas_fill_17rocblas_diagonal_T3_lilT4_lli.kd
    .uniform_work_group_size: 1
    .uses_dynamic_stack: false
    .vgpr_count:     24
    .vgpr_spill_count: 0
    .wavefront_size: 64
  - .args:
      - .address_space:  global
        .offset:         0
        .size:           8
        .value_kind:     global_buffer
      - .offset:         8
        .size:           4
        .value_kind:     by_value
      - .offset:         12
        .size:           4
        .value_kind:     by_value
      - .offset:         16
        .size:           8
        .value_kind:     by_value
      - .offset:         24
        .size:           4
        .value_kind:     by_value
      - .offset:         32
        .size:           8
        .value_kind:     by_value
      - .address_space:  global
        .offset:         40
        .size:           8
        .value_kind:     global_buffer
      - .offset:         48
        .size:           8
        .value_kind:     by_value
      - .offset:         56
        .size:           8
        .value_kind:     by_value
      - .offset:         64
        .size:           4
        .value_kind:     by_value
      - .offset:         68
        .size:           4
        .value_kind:     by_value
      - .offset:         72
        .size:           4
        .value_kind:     hidden_block_count_x
      - .offset:         76
        .size:           4
        .value_kind:     hidden_block_count_y
      - .offset:         80
        .size:           4
        .value_kind:     hidden_block_count_z
      - .offset:         84
        .size:           2
        .value_kind:     hidden_group_size_x
      - .offset:         86
        .size:           2
        .value_kind:     hidden_group_size_y
      - .offset:         88
        .size:           2
        .value_kind:     hidden_group_size_z
      - .offset:         90
        .size:           2
        .value_kind:     hidden_remainder_x
      - .offset:         92
        .size:           2
        .value_kind:     hidden_remainder_y
      - .offset:         94
        .size:           2
        .value_kind:     hidden_remainder_z
      - .offset:         112
        .size:           8
        .value_kind:     hidden_global_offset_x
      - .offset:         120
        .size:           8
        .value_kind:     hidden_global_offset_y
      - .offset:         128
        .size:           8
        .value_kind:     hidden_global_offset_z
      - .offset:         136
        .size:           2
        .value_kind:     hidden_grid_dims
    .group_segment_fixed_size: 0
    .kernarg_segment_align: 8
    .kernarg_segment_size: 328
    .language:       OpenCL C
    .language_version:
      - 2
      - 0
    .max_flat_workgroup_size: 128
    .name:           _ZL18rocblas_trtri_fillILi128EfPfEvP15_rocblas_handle13rocblas_fill_ililT1_llii
    .private_segment_fixed_size: 0
    .sgpr_count:     43
    .sgpr_spill_count: 0
    .symbol:         _ZL18rocblas_trtri_fillILi128EfPfEvP15_rocblas_handle13rocblas_fill_ililT1_llii.kd
    .uniform_work_group_size: 1
    .uses_dynamic_stack: false
    .vgpr_count:     28
    .vgpr_spill_count: 0
    .wavefront_size: 64
  - .args:
      - .offset:         0
        .size:           4
        .value_kind:     by_value
      - .offset:         4
        .size:           4
        .value_kind:     by_value
      - .offset:         8
        .size:           4
        .value_kind:     by_value
      - .address_space:  global
        .offset:         16
        .size:           8
        .value_kind:     global_buffer
      - .offset:         24
        .size:           4
        .value_kind:     by_value
      - .offset:         32
        .size:           8
        .value_kind:     by_value
      - .address_space:  global
        .offset:         40
        .size:           8
        .value_kind:     global_buffer
      - .offset:         48
        .size:           4
        .value_kind:     by_value
      - .offset:         56
        .size:           8
        .value_kind:     by_value
      - .offset:         64
        .size:           8
        .value_kind:     by_value
      - .offset:         72
        .size:           8
        .value_kind:     by_value
      - .offset:         80
        .size:           4
        .value_kind:     by_value
      - .offset:         88
        .size:           4
        .value_kind:     hidden_block_count_x
      - .offset:         92
        .size:           4
        .value_kind:     hidden_block_count_y
      - .offset:         96
        .size:           4
        .value_kind:     hidden_block_count_z
      - .offset:         100
        .size:           2
        .value_kind:     hidden_group_size_x
      - .offset:         102
        .size:           2
        .value_kind:     hidden_group_size_y
      - .offset:         104
        .size:           2
        .value_kind:     hidden_group_size_z
      - .offset:         106
        .size:           2
        .value_kind:     hidden_remainder_x
      - .offset:         108
        .size:           2
        .value_kind:     hidden_remainder_y
      - .offset:         110
        .size:           2
        .value_kind:     hidden_remainder_z
      - .offset:         128
        .size:           8
        .value_kind:     hidden_global_offset_x
      - .offset:         136
        .size:           8
        .value_kind:     hidden_global_offset_y
      - .offset:         144
        .size:           8
        .value_kind:     hidden_global_offset_z
      - .offset:         152
        .size:           2
        .value_kind:     hidden_grid_dims
    .group_segment_fixed_size: 0
    .kernarg_segment_align: 8
    .kernarg_segment_size: 344
    .language:       OpenCL C
    .language_version:
      - 2
      - 0
    .max_flat_workgroup_size: 1024
    .name:           _ZL24rocblas_copy_matrix_trsmILi128ELi8EfPKfPfEviiiT2_ilT3_illli
    .private_segment_fixed_size: 0
    .sgpr_count:     27
    .sgpr_spill_count: 0
    .symbol:         _ZL24rocblas_copy_matrix_trsmILi128ELi8EfPKfPfEviiiT2_ilT3_illli.kd
    .uniform_work_group_size: 1
    .uses_dynamic_stack: false
    .vgpr_count:     9
    .vgpr_spill_count: 0
    .wavefront_size: 64
  - .args:
      - .offset:         0
        .size:           8
        .value_kind:     by_value
      - .offset:         8
        .size:           8
        .value_kind:     by_value
      - .offset:         16
        .size:           4
        .value_kind:     by_value
      - .address_space:  global
        .offset:         24
        .size:           8
        .value_kind:     global_buffer
      - .offset:         32
        .size:           8
        .value_kind:     by_value
      - .offset:         40
        .size:           8
        .value_kind:     by_value
      - .offset:         48
        .size:           8
        .value_kind:     by_value
      - .offset:         56
        .size:           8
        .value_kind:     by_value
      - .offset:         64
        .size:           4
        .value_kind:     by_value
    .group_segment_fixed_size: 0
    .kernarg_segment_align: 8
    .kernarg_segment_size: 68
    .language:       OpenCL C
    .language_version:
      - 2
      - 0
    .max_flat_workgroup_size: 1024
    .name:           _ZL23rocblas_set_matrix_trsmILi128ELi8EdPdEvlliT2_llT1_li
    .private_segment_fixed_size: 0
    .sgpr_count:     16
    .sgpr_spill_count: 0
    .symbol:         _ZL23rocblas_set_matrix_trsmILi128ELi8EdPdEvlliT2_llT1_li.kd
    .uniform_work_group_size: 1
    .uses_dynamic_stack: false
    .vgpr_count:     6
    .vgpr_spill_count: 0
    .wavefront_size: 64
  - .args:
      - .offset:         0
        .size:           4
        .value_kind:     by_value
      - .offset:         4
        .size:           4
        .value_kind:     by_value
      - .offset:         8
        .size:           4
        .value_kind:     by_value
      - .offset:         12
        .size:           4
        .value_kind:     by_value
      - .offset:         16
        .size:           4
        .value_kind:     by_value
      - .offset:         24
        .size:           8
        .value_kind:     by_value
      - .address_space:  global
        .offset:         32
        .size:           8
        .value_kind:     global_buffer
      - .offset:         40
        .size:           8
        .value_kind:     by_value
      - .offset:         48
        .size:           4
        .value_kind:     by_value
      - .offset:         56
        .size:           8
        .value_kind:     by_value
      - .address_space:  global
        .offset:         64
        .size:           8
        .value_kind:     global_buffer
      - .offset:         72
        .size:           8
        .value_kind:     by_value
      - .offset:         80
        .size:           4
        .value_kind:     by_value
      - .offset:         88
        .size:           8
        .value_kind:     by_value
      - .offset:         96
        .size:           4
        .value_kind:     by_value
      - .offset:         104
        .size:           4
        .value_kind:     hidden_block_count_x
      - .offset:         108
        .size:           4
        .value_kind:     hidden_block_count_y
      - .offset:         112
        .size:           4
        .value_kind:     hidden_block_count_z
      - .offset:         116
        .size:           2
        .value_kind:     hidden_group_size_x
      - .offset:         118
        .size:           2
        .value_kind:     hidden_group_size_y
      - .offset:         120
        .size:           2
        .value_kind:     hidden_group_size_z
      - .offset:         122
        .size:           2
        .value_kind:     hidden_remainder_x
      - .offset:         124
        .size:           2
        .value_kind:     hidden_remainder_y
      - .offset:         126
        .size:           2
        .value_kind:     hidden_remainder_z
      - .offset:         144
        .size:           8
        .value_kind:     hidden_global_offset_x
      - .offset:         152
        .size:           8
        .value_kind:     hidden_global_offset_y
      - .offset:         160
        .size:           8
        .value_kind:     hidden_global_offset_z
      - .offset:         168
        .size:           2
        .value_kind:     hidden_grid_dims
    .group_segment_fixed_size: 256
    .kernarg_segment_align: 8
    .kernarg_segment_size: 360
    .language:       OpenCL C
    .language_version:
      - 2
      - 0
    .max_flat_workgroup_size: 4
    .name:           _ZL38rocblas_trsm_small_left_device_sharedBILi4ELi4ELb0EddPKdPdEv13rocblas_fill_18rocblas_operation_17rocblas_diagonal_iiT3_T4_lilT5_lili
    .private_segment_fixed_size: 0
    .sgpr_count:     30
    .sgpr_spill_count: 0
    .symbol:         _ZL38rocblas_trsm_small_left_device_sharedBILi4ELi4ELb0EddPKdPdEv13rocblas_fill_18rocblas_operation_17rocblas_diagonal_iiT3_T4_lilT5_lili.kd
    .uniform_work_group_size: 1
    .uses_dynamic_stack: false
    .vgpr_count:     21
    .vgpr_spill_count: 0
    .wavefront_size: 64
  - .args:
      - .offset:         0
        .size:           4
        .value_kind:     by_value
      - .offset:         4
        .size:           4
        .value_kind:     by_value
      - .offset:         8
        .size:           4
        .value_kind:     by_value
      - .offset:         12
        .size:           4
        .value_kind:     by_value
      - .offset:         16
        .size:           4
        .value_kind:     by_value
      - .offset:         24
        .size:           8
        .value_kind:     by_value
      - .address_space:  global
        .offset:         32
        .size:           8
        .value_kind:     global_buffer
      - .offset:         40
        .size:           8
        .value_kind:     by_value
      - .offset:         48
        .size:           4
        .value_kind:     by_value
      - .offset:         56
        .size:           8
        .value_kind:     by_value
      - .address_space:  global
        .offset:         64
        .size:           8
        .value_kind:     global_buffer
      - .offset:         72
        .size:           8
        .value_kind:     by_value
      - .offset:         80
        .size:           4
        .value_kind:     by_value
      - .offset:         88
        .size:           8
        .value_kind:     by_value
      - .offset:         96
        .size:           4
        .value_kind:     by_value
      - .offset:         104
        .size:           4
        .value_kind:     hidden_block_count_x
      - .offset:         108
        .size:           4
        .value_kind:     hidden_block_count_y
      - .offset:         112
        .size:           4
        .value_kind:     hidden_block_count_z
      - .offset:         116
        .size:           2
        .value_kind:     hidden_group_size_x
      - .offset:         118
        .size:           2
        .value_kind:     hidden_group_size_y
      - .offset:         120
        .size:           2
        .value_kind:     hidden_group_size_z
      - .offset:         122
        .size:           2
        .value_kind:     hidden_remainder_x
      - .offset:         124
        .size:           2
        .value_kind:     hidden_remainder_y
      - .offset:         126
        .size:           2
        .value_kind:     hidden_remainder_z
      - .offset:         144
        .size:           8
        .value_kind:     hidden_global_offset_x
      - .offset:         152
        .size:           8
        .value_kind:     hidden_global_offset_y
      - .offset:         160
        .size:           8
        .value_kind:     hidden_global_offset_z
      - .offset:         168
        .size:           2
        .value_kind:     hidden_grid_dims
    .group_segment_fixed_size: 128
    .kernarg_segment_align: 8
    .kernarg_segment_size: 360
    .language:       OpenCL C
    .language_version:
      - 2
      - 0
    .max_flat_workgroup_size: 4
    .name:           _ZL30rocblas_trsm_small_left_deviceILi4ELi4ELb0EddPKdPdEv13rocblas_fill_18rocblas_operation_17rocblas_diagonal_iiT3_T4_lilT5_lili
    .private_segment_fixed_size: 0
    .sgpr_count:     30
    .sgpr_spill_count: 0
    .symbol:         _ZL30rocblas_trsm_small_left_deviceILi4ELi4ELb0EddPKdPdEv13rocblas_fill_18rocblas_operation_17rocblas_diagonal_iiT3_T4_lilT5_lili.kd
    .uniform_work_group_size: 1
    .uses_dynamic_stack: false
    .vgpr_count:     26
    .vgpr_spill_count: 0
    .wavefront_size: 64
  - .args:
      - .offset:         0
        .size:           4
        .value_kind:     by_value
      - .offset:         4
        .size:           4
        .value_kind:     by_value
      - .offset:         8
        .size:           4
        .value_kind:     by_value
      - .offset:         12
        .size:           4
        .value_kind:     by_value
      - .offset:         16
        .size:           4
        .value_kind:     by_value
      - .offset:         24
        .size:           8
        .value_kind:     by_value
      - .address_space:  global
        .offset:         32
        .size:           8
        .value_kind:     global_buffer
      - .offset:         40
        .size:           8
        .value_kind:     by_value
      - .offset:         48
        .size:           4
        .value_kind:     by_value
      - .offset:         56
        .size:           8
        .value_kind:     by_value
      - .address_space:  global
        .offset:         64
        .size:           8
        .value_kind:     global_buffer
      - .offset:         72
        .size:           8
        .value_kind:     by_value
      - .offset:         80
        .size:           4
        .value_kind:     by_value
      - .offset:         88
        .size:           8
        .value_kind:     by_value
      - .offset:         96
        .size:           4
        .value_kind:     by_value
      - .offset:         104
        .size:           4
        .value_kind:     hidden_block_count_x
      - .offset:         108
        .size:           4
        .value_kind:     hidden_block_count_y
      - .offset:         112
        .size:           4
        .value_kind:     hidden_block_count_z
      - .offset:         116
        .size:           2
        .value_kind:     hidden_group_size_x
      - .offset:         118
        .size:           2
        .value_kind:     hidden_group_size_y
      - .offset:         120
        .size:           2
        .value_kind:     hidden_group_size_z
      - .offset:         122
        .size:           2
        .value_kind:     hidden_remainder_x
      - .offset:         124
        .size:           2
        .value_kind:     hidden_remainder_y
      - .offset:         126
        .size:           2
        .value_kind:     hidden_remainder_z
      - .offset:         144
        .size:           8
        .value_kind:     hidden_global_offset_x
      - .offset:         152
        .size:           8
        .value_kind:     hidden_global_offset_y
      - .offset:         160
        .size:           8
        .value_kind:     hidden_global_offset_z
      - .offset:         168
        .size:           2
        .value_kind:     hidden_grid_dims
    .group_segment_fixed_size: 256
    .kernarg_segment_align: 8
    .kernarg_segment_size: 360
    .language:       OpenCL C
    .language_version:
      - 2
      - 0
    .max_flat_workgroup_size: 4
    .name:           _ZL38rocblas_trsm_small_left_device_sharedBILi4ELi4ELb1EddPKdPdEv13rocblas_fill_18rocblas_operation_17rocblas_diagonal_iiT3_T4_lilT5_lili
    .private_segment_fixed_size: 0
    .sgpr_count:     30
    .sgpr_spill_count: 0
    .symbol:         _ZL38rocblas_trsm_small_left_device_sharedBILi4ELi4ELb1EddPKdPdEv13rocblas_fill_18rocblas_operation_17rocblas_diagonal_iiT3_T4_lilT5_lili.kd
    .uniform_work_group_size: 1
    .uses_dynamic_stack: false
    .vgpr_count:     19
    .vgpr_spill_count: 0
    .wavefront_size: 64
  - .args:
      - .offset:         0
        .size:           4
        .value_kind:     by_value
      - .offset:         4
        .size:           4
        .value_kind:     by_value
      - .offset:         8
        .size:           4
        .value_kind:     by_value
      - .offset:         12
        .size:           4
        .value_kind:     by_value
      - .offset:         16
        .size:           4
        .value_kind:     by_value
      - .offset:         24
        .size:           8
        .value_kind:     by_value
      - .address_space:  global
        .offset:         32
        .size:           8
        .value_kind:     global_buffer
      - .offset:         40
        .size:           8
        .value_kind:     by_value
      - .offset:         48
        .size:           4
        .value_kind:     by_value
      - .offset:         56
        .size:           8
        .value_kind:     by_value
      - .address_space:  global
        .offset:         64
        .size:           8
        .value_kind:     global_buffer
      - .offset:         72
        .size:           8
        .value_kind:     by_value
      - .offset:         80
        .size:           4
        .value_kind:     by_value
      - .offset:         88
        .size:           8
        .value_kind:     by_value
      - .offset:         96
        .size:           4
        .value_kind:     by_value
      - .offset:         104
        .size:           4
        .value_kind:     hidden_block_count_x
      - .offset:         108
        .size:           4
        .value_kind:     hidden_block_count_y
      - .offset:         112
        .size:           4
        .value_kind:     hidden_block_count_z
      - .offset:         116
        .size:           2
        .value_kind:     hidden_group_size_x
      - .offset:         118
        .size:           2
        .value_kind:     hidden_group_size_y
      - .offset:         120
        .size:           2
        .value_kind:     hidden_group_size_z
      - .offset:         122
        .size:           2
        .value_kind:     hidden_remainder_x
      - .offset:         124
        .size:           2
        .value_kind:     hidden_remainder_y
      - .offset:         126
        .size:           2
        .value_kind:     hidden_remainder_z
      - .offset:         144
        .size:           8
        .value_kind:     hidden_global_offset_x
      - .offset:         152
        .size:           8
        .value_kind:     hidden_global_offset_y
      - .offset:         160
        .size:           8
        .value_kind:     hidden_global_offset_z
      - .offset:         168
        .size:           2
        .value_kind:     hidden_grid_dims
    .group_segment_fixed_size: 128
    .kernarg_segment_align: 8
    .kernarg_segment_size: 360
    .language:       OpenCL C
    .language_version:
      - 2
      - 0
    .max_flat_workgroup_size: 4
    .name:           _ZL30rocblas_trsm_small_left_deviceILi4ELi4ELb1EddPKdPdEv13rocblas_fill_18rocblas_operation_17rocblas_diagonal_iiT3_T4_lilT5_lili
    .private_segment_fixed_size: 0
    .sgpr_count:     30
    .sgpr_spill_count: 0
    .symbol:         _ZL30rocblas_trsm_small_left_deviceILi4ELi4ELb1EddPKdPdEv13rocblas_fill_18rocblas_operation_17rocblas_diagonal_iiT3_T4_lilT5_lili.kd
    .uniform_work_group_size: 1
    .uses_dynamic_stack: false
    .vgpr_count:     21
    .vgpr_spill_count: 0
    .wavefront_size: 64
  - .args:
      - .offset:         0
        .size:           4
        .value_kind:     by_value
      - .offset:         4
        .size:           4
        .value_kind:     by_value
      - .offset:         8
        .size:           4
        .value_kind:     by_value
      - .offset:         12
        .size:           4
        .value_kind:     by_value
      - .offset:         16
        .size:           4
        .value_kind:     by_value
      - .offset:         24
        .size:           8
        .value_kind:     by_value
      - .address_space:  global
        .offset:         32
        .size:           8
        .value_kind:     global_buffer
      - .offset:         40
        .size:           8
        .value_kind:     by_value
      - .offset:         48
        .size:           4
        .value_kind:     by_value
      - .offset:         56
        .size:           8
        .value_kind:     by_value
      - .address_space:  global
        .offset:         64
        .size:           8
        .value_kind:     global_buffer
      - .offset:         72
        .size:           8
        .value_kind:     by_value
      - .offset:         80
        .size:           4
        .value_kind:     by_value
      - .offset:         88
        .size:           8
        .value_kind:     by_value
      - .offset:         96
        .size:           4
        .value_kind:     by_value
      - .offset:         104
        .size:           4
        .value_kind:     hidden_block_count_x
      - .offset:         108
        .size:           4
        .value_kind:     hidden_block_count_y
      - .offset:         112
        .size:           4
        .value_kind:     hidden_block_count_z
      - .offset:         116
        .size:           2
        .value_kind:     hidden_group_size_x
      - .offset:         118
        .size:           2
        .value_kind:     hidden_group_size_y
      - .offset:         120
        .size:           2
        .value_kind:     hidden_group_size_z
      - .offset:         122
        .size:           2
        .value_kind:     hidden_remainder_x
      - .offset:         124
        .size:           2
        .value_kind:     hidden_remainder_y
      - .offset:         126
        .size:           2
        .value_kind:     hidden_remainder_z
      - .offset:         144
        .size:           8
        .value_kind:     hidden_global_offset_x
      - .offset:         152
        .size:           8
        .value_kind:     hidden_global_offset_y
      - .offset:         160
        .size:           8
        .value_kind:     hidden_global_offset_z
      - .offset:         168
        .size:           2
        .value_kind:     hidden_grid_dims
    .group_segment_fixed_size: 256
    .kernarg_segment_align: 8
    .kernarg_segment_size: 360
    .language:       OpenCL C
    .language_version:
      - 2
      - 0
    .max_flat_workgroup_size: 4
    .name:           _ZL31rocblas_trsm_small_right_deviceIddPKdPdLi4EEv13rocblas_fill_18rocblas_operation_17rocblas_diagonal_iiT0_T1_lilT2_lili
    .private_segment_fixed_size: 0
    .sgpr_count:     30
    .sgpr_spill_count: 0
    .symbol:         _ZL31rocblas_trsm_small_right_deviceIddPKdPdLi4EEv13rocblas_fill_18rocblas_operation_17rocblas_diagonal_iiT0_T1_lilT2_lili.kd
    .uniform_work_group_size: 1
    .uses_dynamic_stack: false
    .vgpr_count:     28
    .vgpr_spill_count: 0
    .wavefront_size: 64
  - .args:
      - .offset:         0
        .size:           4
        .value_kind:     by_value
      - .offset:         4
        .size:           4
        .value_kind:     by_value
      - .offset:         8
        .size:           4
        .value_kind:     by_value
      - .offset:         12
        .size:           4
        .value_kind:     by_value
      - .offset:         16
        .size:           4
        .value_kind:     by_value
      - .offset:         24
        .size:           8
        .value_kind:     by_value
      - .address_space:  global
        .offset:         32
        .size:           8
        .value_kind:     global_buffer
      - .offset:         40
        .size:           8
        .value_kind:     by_value
      - .offset:         48
        .size:           4
        .value_kind:     by_value
      - .offset:         56
        .size:           8
        .value_kind:     by_value
      - .address_space:  global
        .offset:         64
        .size:           8
        .value_kind:     global_buffer
      - .offset:         72
        .size:           8
        .value_kind:     by_value
      - .offset:         80
        .size:           4
        .value_kind:     by_value
      - .offset:         88
        .size:           8
        .value_kind:     by_value
      - .offset:         96
        .size:           4
        .value_kind:     by_value
      - .offset:         104
        .size:           4
        .value_kind:     hidden_block_count_x
      - .offset:         108
        .size:           4
        .value_kind:     hidden_block_count_y
      - .offset:         112
        .size:           4
        .value_kind:     hidden_block_count_z
      - .offset:         116
        .size:           2
        .value_kind:     hidden_group_size_x
      - .offset:         118
        .size:           2
        .value_kind:     hidden_group_size_y
      - .offset:         120
        .size:           2
        .value_kind:     hidden_group_size_z
      - .offset:         122
        .size:           2
        .value_kind:     hidden_remainder_x
      - .offset:         124
        .size:           2
        .value_kind:     hidden_remainder_y
      - .offset:         126
        .size:           2
        .value_kind:     hidden_remainder_z
      - .offset:         144
        .size:           8
        .value_kind:     hidden_global_offset_x
      - .offset:         152
        .size:           8
        .value_kind:     hidden_global_offset_y
      - .offset:         160
        .size:           8
        .value_kind:     hidden_global_offset_z
      - .offset:         168
        .size:           2
        .value_kind:     hidden_grid_dims
    .group_segment_fixed_size: 1024
    .kernarg_segment_align: 8
    .kernarg_segment_size: 360
    .language:       OpenCL C
    .language_version:
      - 2
      - 0
    .max_flat_workgroup_size: 8
    .name:           _ZL38rocblas_trsm_small_left_device_sharedBILi8ELi8ELb0EddPKdPdEv13rocblas_fill_18rocblas_operation_17rocblas_diagonal_iiT3_T4_lilT5_lili
    .private_segment_fixed_size: 0
    .sgpr_count:     30
    .sgpr_spill_count: 0
    .symbol:         _ZL38rocblas_trsm_small_left_device_sharedBILi8ELi8ELb0EddPKdPdEv13rocblas_fill_18rocblas_operation_17rocblas_diagonal_iiT3_T4_lilT5_lili.kd
    .uniform_work_group_size: 1
    .uses_dynamic_stack: false
    .vgpr_count:     31
    .vgpr_spill_count: 0
    .wavefront_size: 64
  - .args:
      - .offset:         0
        .size:           4
        .value_kind:     by_value
      - .offset:         4
        .size:           4
        .value_kind:     by_value
      - .offset:         8
        .size:           4
        .value_kind:     by_value
      - .offset:         12
        .size:           4
        .value_kind:     by_value
      - .offset:         16
        .size:           4
        .value_kind:     by_value
      - .offset:         24
        .size:           8
        .value_kind:     by_value
      - .address_space:  global
        .offset:         32
        .size:           8
        .value_kind:     global_buffer
      - .offset:         40
        .size:           8
        .value_kind:     by_value
      - .offset:         48
        .size:           4
        .value_kind:     by_value
      - .offset:         56
        .size:           8
        .value_kind:     by_value
      - .address_space:  global
        .offset:         64
        .size:           8
        .value_kind:     global_buffer
      - .offset:         72
        .size:           8
        .value_kind:     by_value
      - .offset:         80
        .size:           4
        .value_kind:     by_value
      - .offset:         88
        .size:           8
        .value_kind:     by_value
      - .offset:         96
        .size:           4
        .value_kind:     by_value
      - .offset:         104
        .size:           4
        .value_kind:     hidden_block_count_x
      - .offset:         108
        .size:           4
        .value_kind:     hidden_block_count_y
      - .offset:         112
        .size:           4
        .value_kind:     hidden_block_count_z
      - .offset:         116
        .size:           2
        .value_kind:     hidden_group_size_x
      - .offset:         118
        .size:           2
        .value_kind:     hidden_group_size_y
      - .offset:         120
        .size:           2
        .value_kind:     hidden_group_size_z
      - .offset:         122
        .size:           2
        .value_kind:     hidden_remainder_x
      - .offset:         124
        .size:           2
        .value_kind:     hidden_remainder_y
      - .offset:         126
        .size:           2
        .value_kind:     hidden_remainder_z
      - .offset:         144
        .size:           8
        .value_kind:     hidden_global_offset_x
      - .offset:         152
        .size:           8
        .value_kind:     hidden_global_offset_y
      - .offset:         160
        .size:           8
        .value_kind:     hidden_global_offset_z
      - .offset:         168
        .size:           2
        .value_kind:     hidden_grid_dims
    .group_segment_fixed_size: 512
    .kernarg_segment_align: 8
    .kernarg_segment_size: 360
    .language:       OpenCL C
    .language_version:
      - 2
      - 0
    .max_flat_workgroup_size: 8
    .name:           _ZL30rocblas_trsm_small_left_deviceILi8ELi8ELb0EddPKdPdEv13rocblas_fill_18rocblas_operation_17rocblas_diagonal_iiT3_T4_lilT5_lili
    .private_segment_fixed_size: 0
    .sgpr_count:     30
    .sgpr_spill_count: 0
    .symbol:         _ZL30rocblas_trsm_small_left_deviceILi8ELi8ELb0EddPKdPdEv13rocblas_fill_18rocblas_operation_17rocblas_diagonal_iiT3_T4_lilT5_lili.kd
    .uniform_work_group_size: 1
    .uses_dynamic_stack: false
    .vgpr_count:     37
    .vgpr_spill_count: 0
    .wavefront_size: 64
  - .args:
      - .offset:         0
        .size:           4
        .value_kind:     by_value
      - .offset:         4
        .size:           4
        .value_kind:     by_value
      - .offset:         8
        .size:           4
        .value_kind:     by_value
      - .offset:         12
        .size:           4
        .value_kind:     by_value
      - .offset:         16
        .size:           4
        .value_kind:     by_value
      - .offset:         24
        .size:           8
        .value_kind:     by_value
      - .address_space:  global
        .offset:         32
        .size:           8
        .value_kind:     global_buffer
      - .offset:         40
        .size:           8
        .value_kind:     by_value
      - .offset:         48
        .size:           4
        .value_kind:     by_value
      - .offset:         56
        .size:           8
        .value_kind:     by_value
      - .address_space:  global
        .offset:         64
        .size:           8
        .value_kind:     global_buffer
      - .offset:         72
        .size:           8
        .value_kind:     by_value
      - .offset:         80
        .size:           4
        .value_kind:     by_value
      - .offset:         88
        .size:           8
        .value_kind:     by_value
      - .offset:         96
        .size:           4
        .value_kind:     by_value
      - .offset:         104
        .size:           4
        .value_kind:     hidden_block_count_x
      - .offset:         108
        .size:           4
        .value_kind:     hidden_block_count_y
      - .offset:         112
        .size:           4
        .value_kind:     hidden_block_count_z
      - .offset:         116
        .size:           2
        .value_kind:     hidden_group_size_x
      - .offset:         118
        .size:           2
        .value_kind:     hidden_group_size_y
      - .offset:         120
        .size:           2
        .value_kind:     hidden_group_size_z
      - .offset:         122
        .size:           2
        .value_kind:     hidden_remainder_x
      - .offset:         124
        .size:           2
        .value_kind:     hidden_remainder_y
      - .offset:         126
        .size:           2
        .value_kind:     hidden_remainder_z
      - .offset:         144
        .size:           8
        .value_kind:     hidden_global_offset_x
      - .offset:         152
        .size:           8
        .value_kind:     hidden_global_offset_y
      - .offset:         160
        .size:           8
        .value_kind:     hidden_global_offset_z
      - .offset:         168
        .size:           2
        .value_kind:     hidden_grid_dims
    .group_segment_fixed_size: 1024
    .kernarg_segment_align: 8
    .kernarg_segment_size: 360
    .language:       OpenCL C
    .language_version:
      - 2
      - 0
    .max_flat_workgroup_size: 8
    .name:           _ZL38rocblas_trsm_small_left_device_sharedBILi8ELi8ELb1EddPKdPdEv13rocblas_fill_18rocblas_operation_17rocblas_diagonal_iiT3_T4_lilT5_lili
    .private_segment_fixed_size: 0
    .sgpr_count:     30
    .sgpr_spill_count: 0
    .symbol:         _ZL38rocblas_trsm_small_left_device_sharedBILi8ELi8ELb1EddPKdPdEv13rocblas_fill_18rocblas_operation_17rocblas_diagonal_iiT3_T4_lilT5_lili.kd
    .uniform_work_group_size: 1
    .uses_dynamic_stack: false
    .vgpr_count:     27
    .vgpr_spill_count: 0
    .wavefront_size: 64
  - .args:
      - .offset:         0
        .size:           4
        .value_kind:     by_value
      - .offset:         4
        .size:           4
        .value_kind:     by_value
      - .offset:         8
        .size:           4
        .value_kind:     by_value
      - .offset:         12
        .size:           4
        .value_kind:     by_value
      - .offset:         16
        .size:           4
        .value_kind:     by_value
      - .offset:         24
        .size:           8
        .value_kind:     by_value
      - .address_space:  global
        .offset:         32
        .size:           8
        .value_kind:     global_buffer
      - .offset:         40
        .size:           8
        .value_kind:     by_value
      - .offset:         48
        .size:           4
        .value_kind:     by_value
      - .offset:         56
        .size:           8
        .value_kind:     by_value
      - .address_space:  global
        .offset:         64
        .size:           8
        .value_kind:     global_buffer
      - .offset:         72
        .size:           8
        .value_kind:     by_value
      - .offset:         80
        .size:           4
        .value_kind:     by_value
      - .offset:         88
        .size:           8
        .value_kind:     by_value
      - .offset:         96
        .size:           4
        .value_kind:     by_value
      - .offset:         104
        .size:           4
        .value_kind:     hidden_block_count_x
      - .offset:         108
        .size:           4
        .value_kind:     hidden_block_count_y
      - .offset:         112
        .size:           4
        .value_kind:     hidden_block_count_z
      - .offset:         116
        .size:           2
        .value_kind:     hidden_group_size_x
      - .offset:         118
        .size:           2
        .value_kind:     hidden_group_size_y
      - .offset:         120
        .size:           2
        .value_kind:     hidden_group_size_z
      - .offset:         122
        .size:           2
        .value_kind:     hidden_remainder_x
      - .offset:         124
        .size:           2
        .value_kind:     hidden_remainder_y
      - .offset:         126
        .size:           2
        .value_kind:     hidden_remainder_z
      - .offset:         144
        .size:           8
        .value_kind:     hidden_global_offset_x
      - .offset:         152
        .size:           8
        .value_kind:     hidden_global_offset_y
      - .offset:         160
        .size:           8
        .value_kind:     hidden_global_offset_z
      - .offset:         168
        .size:           2
        .value_kind:     hidden_grid_dims
    .group_segment_fixed_size: 512
    .kernarg_segment_align: 8
    .kernarg_segment_size: 360
    .language:       OpenCL C
    .language_version:
      - 2
      - 0
    .max_flat_workgroup_size: 8
    .name:           _ZL30rocblas_trsm_small_left_deviceILi8ELi8ELb1EddPKdPdEv13rocblas_fill_18rocblas_operation_17rocblas_diagonal_iiT3_T4_lilT5_lili
    .private_segment_fixed_size: 0
    .sgpr_count:     30
    .sgpr_spill_count: 0
    .symbol:         _ZL30rocblas_trsm_small_left_deviceILi8ELi8ELb1EddPKdPdEv13rocblas_fill_18rocblas_operation_17rocblas_diagonal_iiT3_T4_lilT5_lili.kd
    .uniform_work_group_size: 1
    .uses_dynamic_stack: false
    .vgpr_count:     27
    .vgpr_spill_count: 0
    .wavefront_size: 64
  - .args:
      - .offset:         0
        .size:           4
        .value_kind:     by_value
      - .offset:         4
        .size:           4
        .value_kind:     by_value
      - .offset:         8
        .size:           4
        .value_kind:     by_value
      - .offset:         12
        .size:           4
        .value_kind:     by_value
      - .offset:         16
        .size:           4
        .value_kind:     by_value
      - .offset:         24
        .size:           8
        .value_kind:     by_value
      - .address_space:  global
        .offset:         32
        .size:           8
        .value_kind:     global_buffer
      - .offset:         40
        .size:           8
        .value_kind:     by_value
      - .offset:         48
        .size:           4
        .value_kind:     by_value
      - .offset:         56
        .size:           8
        .value_kind:     by_value
      - .address_space:  global
        .offset:         64
        .size:           8
        .value_kind:     global_buffer
      - .offset:         72
        .size:           8
        .value_kind:     by_value
      - .offset:         80
        .size:           4
        .value_kind:     by_value
      - .offset:         88
        .size:           8
        .value_kind:     by_value
      - .offset:         96
        .size:           4
        .value_kind:     by_value
      - .offset:         104
        .size:           4
        .value_kind:     hidden_block_count_x
      - .offset:         108
        .size:           4
        .value_kind:     hidden_block_count_y
      - .offset:         112
        .size:           4
        .value_kind:     hidden_block_count_z
      - .offset:         116
        .size:           2
        .value_kind:     hidden_group_size_x
      - .offset:         118
        .size:           2
        .value_kind:     hidden_group_size_y
      - .offset:         120
        .size:           2
        .value_kind:     hidden_group_size_z
      - .offset:         122
        .size:           2
        .value_kind:     hidden_remainder_x
      - .offset:         124
        .size:           2
        .value_kind:     hidden_remainder_y
      - .offset:         126
        .size:           2
        .value_kind:     hidden_remainder_z
      - .offset:         144
        .size:           8
        .value_kind:     hidden_global_offset_x
      - .offset:         152
        .size:           8
        .value_kind:     hidden_global_offset_y
      - .offset:         160
        .size:           8
        .value_kind:     hidden_global_offset_z
      - .offset:         168
        .size:           2
        .value_kind:     hidden_grid_dims
    .group_segment_fixed_size: 1024
    .kernarg_segment_align: 8
    .kernarg_segment_size: 360
    .language:       OpenCL C
    .language_version:
      - 2
      - 0
    .max_flat_workgroup_size: 8
    .name:           _ZL31rocblas_trsm_small_right_deviceIddPKdPdLi8EEv13rocblas_fill_18rocblas_operation_17rocblas_diagonal_iiT0_T1_lilT2_lili
    .private_segment_fixed_size: 0
    .sgpr_count:     30
    .sgpr_spill_count: 0
    .symbol:         _ZL31rocblas_trsm_small_right_deviceIddPKdPdLi8EEv13rocblas_fill_18rocblas_operation_17rocblas_diagonal_iiT0_T1_lilT2_lili.kd
    .uniform_work_group_size: 1
    .uses_dynamic_stack: false
    .vgpr_count:     29
    .vgpr_spill_count: 0
    .wavefront_size: 64
  - .args:
      - .offset:         0
        .size:           4
        .value_kind:     by_value
      - .offset:         4
        .size:           4
        .value_kind:     by_value
      - .offset:         8
        .size:           4
        .value_kind:     by_value
      - .offset:         12
        .size:           4
        .value_kind:     by_value
      - .offset:         16
        .size:           4
        .value_kind:     by_value
      - .offset:         24
        .size:           8
        .value_kind:     by_value
      - .address_space:  global
        .offset:         32
        .size:           8
        .value_kind:     global_buffer
      - .offset:         40
        .size:           8
        .value_kind:     by_value
      - .offset:         48
        .size:           4
        .value_kind:     by_value
      - .offset:         56
        .size:           8
        .value_kind:     by_value
      - .address_space:  global
        .offset:         64
        .size:           8
        .value_kind:     global_buffer
      - .offset:         72
        .size:           8
        .value_kind:     by_value
      - .offset:         80
        .size:           4
        .value_kind:     by_value
      - .offset:         88
        .size:           8
        .value_kind:     by_value
      - .offset:         96
        .size:           4
        .value_kind:     by_value
      - .offset:         104
        .size:           4
        .value_kind:     hidden_block_count_x
      - .offset:         108
        .size:           4
        .value_kind:     hidden_block_count_y
      - .offset:         112
        .size:           4
        .value_kind:     hidden_block_count_z
      - .offset:         116
        .size:           2
        .value_kind:     hidden_group_size_x
      - .offset:         118
        .size:           2
        .value_kind:     hidden_group_size_y
      - .offset:         120
        .size:           2
        .value_kind:     hidden_group_size_z
      - .offset:         122
        .size:           2
        .value_kind:     hidden_remainder_x
      - .offset:         124
        .size:           2
        .value_kind:     hidden_remainder_y
      - .offset:         126
        .size:           2
        .value_kind:     hidden_remainder_z
      - .offset:         144
        .size:           8
        .value_kind:     hidden_global_offset_x
      - .offset:         152
        .size:           8
        .value_kind:     hidden_global_offset_y
      - .offset:         160
        .size:           8
        .value_kind:     hidden_global_offset_z
      - .offset:         168
        .size:           2
        .value_kind:     hidden_grid_dims
    .group_segment_fixed_size: 2304
    .kernarg_segment_align: 8
    .kernarg_segment_size: 360
    .language:       OpenCL C
    .language_version:
      - 2
      - 0
    .max_flat_workgroup_size: 12
    .name:           _ZL38rocblas_trsm_small_left_device_sharedBILi12ELi12ELb0EddPKdPdEv13rocblas_fill_18rocblas_operation_17rocblas_diagonal_iiT3_T4_lilT5_lili
    .private_segment_fixed_size: 0
    .sgpr_count:     30
    .sgpr_spill_count: 0
    .symbol:         _ZL38rocblas_trsm_small_left_device_sharedBILi12ELi12ELb0EddPKdPdEv13rocblas_fill_18rocblas_operation_17rocblas_diagonal_iiT3_T4_lilT5_lili.kd
    .uniform_work_group_size: 1
    .uses_dynamic_stack: false
    .vgpr_count:     51
    .vgpr_spill_count: 0
    .wavefront_size: 64
  - .args:
      - .offset:         0
        .size:           4
        .value_kind:     by_value
      - .offset:         4
        .size:           4
        .value_kind:     by_value
      - .offset:         8
        .size:           4
        .value_kind:     by_value
      - .offset:         12
        .size:           4
        .value_kind:     by_value
      - .offset:         16
        .size:           4
        .value_kind:     by_value
      - .offset:         24
        .size:           8
        .value_kind:     by_value
      - .address_space:  global
        .offset:         32
        .size:           8
        .value_kind:     global_buffer
      - .offset:         40
        .size:           8
        .value_kind:     by_value
      - .offset:         48
        .size:           4
        .value_kind:     by_value
      - .offset:         56
        .size:           8
        .value_kind:     by_value
      - .address_space:  global
        .offset:         64
        .size:           8
        .value_kind:     global_buffer
      - .offset:         72
        .size:           8
        .value_kind:     by_value
      - .offset:         80
        .size:           4
        .value_kind:     by_value
      - .offset:         88
        .size:           8
        .value_kind:     by_value
      - .offset:         96
        .size:           4
        .value_kind:     by_value
      - .offset:         104
        .size:           4
        .value_kind:     hidden_block_count_x
      - .offset:         108
        .size:           4
        .value_kind:     hidden_block_count_y
      - .offset:         112
        .size:           4
        .value_kind:     hidden_block_count_z
      - .offset:         116
        .size:           2
        .value_kind:     hidden_group_size_x
      - .offset:         118
        .size:           2
        .value_kind:     hidden_group_size_y
      - .offset:         120
        .size:           2
        .value_kind:     hidden_group_size_z
      - .offset:         122
        .size:           2
        .value_kind:     hidden_remainder_x
      - .offset:         124
        .size:           2
        .value_kind:     hidden_remainder_y
      - .offset:         126
        .size:           2
        .value_kind:     hidden_remainder_z
      - .offset:         144
        .size:           8
        .value_kind:     hidden_global_offset_x
      - .offset:         152
        .size:           8
        .value_kind:     hidden_global_offset_y
      - .offset:         160
        .size:           8
        .value_kind:     hidden_global_offset_z
      - .offset:         168
        .size:           2
        .value_kind:     hidden_grid_dims
    .group_segment_fixed_size: 1152
    .kernarg_segment_align: 8
    .kernarg_segment_size: 360
    .language:       OpenCL C
    .language_version:
      - 2
      - 0
    .max_flat_workgroup_size: 12
    .name:           _ZL30rocblas_trsm_small_left_deviceILi12ELi12ELb0EddPKdPdEv13rocblas_fill_18rocblas_operation_17rocblas_diagonal_iiT3_T4_lilT5_lili
    .private_segment_fixed_size: 0
    .sgpr_count:     30
    .sgpr_spill_count: 0
    .symbol:         _ZL30rocblas_trsm_small_left_deviceILi12ELi12ELb0EddPKdPdEv13rocblas_fill_18rocblas_operation_17rocblas_diagonal_iiT3_T4_lilT5_lili.kd
    .uniform_work_group_size: 1
    .uses_dynamic_stack: false
    .vgpr_count:     65
    .vgpr_spill_count: 0
    .wavefront_size: 64
  - .args:
      - .offset:         0
        .size:           4
        .value_kind:     by_value
      - .offset:         4
        .size:           4
        .value_kind:     by_value
      - .offset:         8
        .size:           4
        .value_kind:     by_value
      - .offset:         12
        .size:           4
        .value_kind:     by_value
      - .offset:         16
        .size:           4
        .value_kind:     by_value
      - .offset:         24
        .size:           8
        .value_kind:     by_value
      - .address_space:  global
        .offset:         32
        .size:           8
        .value_kind:     global_buffer
      - .offset:         40
        .size:           8
        .value_kind:     by_value
      - .offset:         48
        .size:           4
        .value_kind:     by_value
      - .offset:         56
        .size:           8
        .value_kind:     by_value
      - .address_space:  global
        .offset:         64
        .size:           8
        .value_kind:     global_buffer
      - .offset:         72
        .size:           8
        .value_kind:     by_value
      - .offset:         80
        .size:           4
        .value_kind:     by_value
      - .offset:         88
        .size:           8
        .value_kind:     by_value
      - .offset:         96
        .size:           4
        .value_kind:     by_value
      - .offset:         104
        .size:           4
        .value_kind:     hidden_block_count_x
      - .offset:         108
        .size:           4
        .value_kind:     hidden_block_count_y
      - .offset:         112
        .size:           4
        .value_kind:     hidden_block_count_z
      - .offset:         116
        .size:           2
        .value_kind:     hidden_group_size_x
      - .offset:         118
        .size:           2
        .value_kind:     hidden_group_size_y
      - .offset:         120
        .size:           2
        .value_kind:     hidden_group_size_z
      - .offset:         122
        .size:           2
        .value_kind:     hidden_remainder_x
      - .offset:         124
        .size:           2
        .value_kind:     hidden_remainder_y
      - .offset:         126
        .size:           2
        .value_kind:     hidden_remainder_z
      - .offset:         144
        .size:           8
        .value_kind:     hidden_global_offset_x
      - .offset:         152
        .size:           8
        .value_kind:     hidden_global_offset_y
      - .offset:         160
        .size:           8
        .value_kind:     hidden_global_offset_z
      - .offset:         168
        .size:           2
        .value_kind:     hidden_grid_dims
    .group_segment_fixed_size: 2304
    .kernarg_segment_align: 8
    .kernarg_segment_size: 360
    .language:       OpenCL C
    .language_version:
      - 2
      - 0
    .max_flat_workgroup_size: 12
    .name:           _ZL38rocblas_trsm_small_left_device_sharedBILi12ELi12ELb1EddPKdPdEv13rocblas_fill_18rocblas_operation_17rocblas_diagonal_iiT3_T4_lilT5_lili
    .private_segment_fixed_size: 0
    .sgpr_count:     30
    .sgpr_spill_count: 0
    .symbol:         _ZL38rocblas_trsm_small_left_device_sharedBILi12ELi12ELb1EddPKdPdEv13rocblas_fill_18rocblas_operation_17rocblas_diagonal_iiT3_T4_lilT5_lili.kd
    .uniform_work_group_size: 1
    .uses_dynamic_stack: false
    .vgpr_count:     39
    .vgpr_spill_count: 0
    .wavefront_size: 64
  - .args:
      - .offset:         0
        .size:           4
        .value_kind:     by_value
      - .offset:         4
        .size:           4
        .value_kind:     by_value
      - .offset:         8
        .size:           4
        .value_kind:     by_value
      - .offset:         12
        .size:           4
        .value_kind:     by_value
      - .offset:         16
        .size:           4
        .value_kind:     by_value
      - .offset:         24
        .size:           8
        .value_kind:     by_value
      - .address_space:  global
        .offset:         32
        .size:           8
        .value_kind:     global_buffer
      - .offset:         40
        .size:           8
        .value_kind:     by_value
      - .offset:         48
        .size:           4
        .value_kind:     by_value
      - .offset:         56
        .size:           8
        .value_kind:     by_value
      - .address_space:  global
        .offset:         64
        .size:           8
        .value_kind:     global_buffer
      - .offset:         72
        .size:           8
        .value_kind:     by_value
      - .offset:         80
        .size:           4
        .value_kind:     by_value
      - .offset:         88
        .size:           8
        .value_kind:     by_value
      - .offset:         96
        .size:           4
        .value_kind:     by_value
      - .offset:         104
        .size:           4
        .value_kind:     hidden_block_count_x
      - .offset:         108
        .size:           4
        .value_kind:     hidden_block_count_y
      - .offset:         112
        .size:           4
        .value_kind:     hidden_block_count_z
      - .offset:         116
        .size:           2
        .value_kind:     hidden_group_size_x
      - .offset:         118
        .size:           2
        .value_kind:     hidden_group_size_y
      - .offset:         120
        .size:           2
        .value_kind:     hidden_group_size_z
      - .offset:         122
        .size:           2
        .value_kind:     hidden_remainder_x
      - .offset:         124
        .size:           2
        .value_kind:     hidden_remainder_y
      - .offset:         126
        .size:           2
        .value_kind:     hidden_remainder_z
      - .offset:         144
        .size:           8
        .value_kind:     hidden_global_offset_x
      - .offset:         152
        .size:           8
        .value_kind:     hidden_global_offset_y
      - .offset:         160
        .size:           8
        .value_kind:     hidden_global_offset_z
      - .offset:         168
        .size:           2
        .value_kind:     hidden_grid_dims
    .group_segment_fixed_size: 1152
    .kernarg_segment_align: 8
    .kernarg_segment_size: 360
    .language:       OpenCL C
    .language_version:
      - 2
      - 0
    .max_flat_workgroup_size: 12
    .name:           _ZL30rocblas_trsm_small_left_deviceILi12ELi12ELb1EddPKdPdEv13rocblas_fill_18rocblas_operation_17rocblas_diagonal_iiT3_T4_lilT5_lili
    .private_segment_fixed_size: 0
    .sgpr_count:     30
    .sgpr_spill_count: 0
    .symbol:         _ZL30rocblas_trsm_small_left_deviceILi12ELi12ELb1EddPKdPdEv13rocblas_fill_18rocblas_operation_17rocblas_diagonal_iiT3_T4_lilT5_lili.kd
    .uniform_work_group_size: 1
    .uses_dynamic_stack: false
    .vgpr_count:     47
    .vgpr_spill_count: 0
    .wavefront_size: 64
  - .args:
      - .offset:         0
        .size:           4
        .value_kind:     by_value
      - .offset:         4
        .size:           4
        .value_kind:     by_value
      - .offset:         8
        .size:           4
        .value_kind:     by_value
      - .offset:         12
        .size:           4
        .value_kind:     by_value
      - .offset:         16
        .size:           4
        .value_kind:     by_value
      - .offset:         24
        .size:           8
        .value_kind:     by_value
      - .address_space:  global
        .offset:         32
        .size:           8
        .value_kind:     global_buffer
      - .offset:         40
        .size:           8
        .value_kind:     by_value
      - .offset:         48
        .size:           4
        .value_kind:     by_value
      - .offset:         56
        .size:           8
        .value_kind:     by_value
      - .address_space:  global
        .offset:         64
        .size:           8
        .value_kind:     global_buffer
      - .offset:         72
        .size:           8
        .value_kind:     by_value
      - .offset:         80
        .size:           4
        .value_kind:     by_value
      - .offset:         88
        .size:           8
        .value_kind:     by_value
      - .offset:         96
        .size:           4
        .value_kind:     by_value
      - .offset:         104
        .size:           4
        .value_kind:     hidden_block_count_x
      - .offset:         108
        .size:           4
        .value_kind:     hidden_block_count_y
      - .offset:         112
        .size:           4
        .value_kind:     hidden_block_count_z
      - .offset:         116
        .size:           2
        .value_kind:     hidden_group_size_x
      - .offset:         118
        .size:           2
        .value_kind:     hidden_group_size_y
      - .offset:         120
        .size:           2
        .value_kind:     hidden_group_size_z
      - .offset:         122
        .size:           2
        .value_kind:     hidden_remainder_x
      - .offset:         124
        .size:           2
        .value_kind:     hidden_remainder_y
      - .offset:         126
        .size:           2
        .value_kind:     hidden_remainder_z
      - .offset:         144
        .size:           8
        .value_kind:     hidden_global_offset_x
      - .offset:         152
        .size:           8
        .value_kind:     hidden_global_offset_y
      - .offset:         160
        .size:           8
        .value_kind:     hidden_global_offset_z
      - .offset:         168
        .size:           2
        .value_kind:     hidden_grid_dims
    .group_segment_fixed_size: 2304
    .kernarg_segment_align: 8
    .kernarg_segment_size: 360
    .language:       OpenCL C
    .language_version:
      - 2
      - 0
    .max_flat_workgroup_size: 12
    .name:           _ZL31rocblas_trsm_small_right_deviceIddPKdPdLi12EEv13rocblas_fill_18rocblas_operation_17rocblas_diagonal_iiT0_T1_lilT2_lili
    .private_segment_fixed_size: 0
    .sgpr_count:     30
    .sgpr_spill_count: 0
    .symbol:         _ZL31rocblas_trsm_small_right_deviceIddPKdPdLi12EEv13rocblas_fill_18rocblas_operation_17rocblas_diagonal_iiT0_T1_lilT2_lili.kd
    .uniform_work_group_size: 1
    .uses_dynamic_stack: false
    .vgpr_count:     34
    .vgpr_spill_count: 0
    .wavefront_size: 64
  - .args:
      - .offset:         0
        .size:           4
        .value_kind:     by_value
      - .offset:         4
        .size:           4
        .value_kind:     by_value
      - .offset:         8
        .size:           4
        .value_kind:     by_value
      - .offset:         12
        .size:           4
        .value_kind:     by_value
      - .offset:         16
        .size:           4
        .value_kind:     by_value
      - .offset:         24
        .size:           8
        .value_kind:     by_value
      - .address_space:  global
        .offset:         32
        .size:           8
        .value_kind:     global_buffer
      - .offset:         40
        .size:           8
        .value_kind:     by_value
      - .offset:         48
        .size:           4
        .value_kind:     by_value
      - .offset:         56
        .size:           8
        .value_kind:     by_value
      - .address_space:  global
        .offset:         64
        .size:           8
        .value_kind:     global_buffer
      - .offset:         72
        .size:           8
        .value_kind:     by_value
      - .offset:         80
        .size:           4
        .value_kind:     by_value
      - .offset:         88
        .size:           8
        .value_kind:     by_value
      - .offset:         96
        .size:           4
        .value_kind:     by_value
      - .offset:         104
        .size:           4
        .value_kind:     hidden_block_count_x
      - .offset:         108
        .size:           4
        .value_kind:     hidden_block_count_y
      - .offset:         112
        .size:           4
        .value_kind:     hidden_block_count_z
      - .offset:         116
        .size:           2
        .value_kind:     hidden_group_size_x
      - .offset:         118
        .size:           2
        .value_kind:     hidden_group_size_y
      - .offset:         120
        .size:           2
        .value_kind:     hidden_group_size_z
      - .offset:         122
        .size:           2
        .value_kind:     hidden_remainder_x
      - .offset:         124
        .size:           2
        .value_kind:     hidden_remainder_y
      - .offset:         126
        .size:           2
        .value_kind:     hidden_remainder_z
      - .offset:         144
        .size:           8
        .value_kind:     hidden_global_offset_x
      - .offset:         152
        .size:           8
        .value_kind:     hidden_global_offset_y
      - .offset:         160
        .size:           8
        .value_kind:     hidden_global_offset_z
      - .offset:         168
        .size:           2
        .value_kind:     hidden_grid_dims
    .group_segment_fixed_size: 4096
    .kernarg_segment_align: 8
    .kernarg_segment_size: 360
    .language:       OpenCL C
    .language_version:
      - 2
      - 0
    .max_flat_workgroup_size: 16
    .name:           _ZL38rocblas_trsm_small_left_device_sharedBILi16ELi16ELb0EddPKdPdEv13rocblas_fill_18rocblas_operation_17rocblas_diagonal_iiT3_T4_lilT5_lili
    .private_segment_fixed_size: 0
    .sgpr_count:     30
    .sgpr_spill_count: 0
    .symbol:         _ZL38rocblas_trsm_small_left_device_sharedBILi16ELi16ELb0EddPKdPdEv13rocblas_fill_18rocblas_operation_17rocblas_diagonal_iiT3_T4_lilT5_lili.kd
    .uniform_work_group_size: 1
    .uses_dynamic_stack: false
    .vgpr_count:     81
    .vgpr_spill_count: 0
    .wavefront_size: 64
  - .args:
      - .offset:         0
        .size:           4
        .value_kind:     by_value
      - .offset:         4
        .size:           4
        .value_kind:     by_value
      - .offset:         8
        .size:           4
        .value_kind:     by_value
      - .offset:         12
        .size:           4
        .value_kind:     by_value
      - .offset:         16
        .size:           4
        .value_kind:     by_value
      - .offset:         24
        .size:           8
        .value_kind:     by_value
      - .address_space:  global
        .offset:         32
        .size:           8
        .value_kind:     global_buffer
      - .offset:         40
        .size:           8
        .value_kind:     by_value
      - .offset:         48
        .size:           4
        .value_kind:     by_value
      - .offset:         56
        .size:           8
        .value_kind:     by_value
      - .address_space:  global
        .offset:         64
        .size:           8
        .value_kind:     global_buffer
      - .offset:         72
        .size:           8
        .value_kind:     by_value
      - .offset:         80
        .size:           4
        .value_kind:     by_value
      - .offset:         88
        .size:           8
        .value_kind:     by_value
      - .offset:         96
        .size:           4
        .value_kind:     by_value
      - .offset:         104
        .size:           4
        .value_kind:     hidden_block_count_x
      - .offset:         108
        .size:           4
        .value_kind:     hidden_block_count_y
      - .offset:         112
        .size:           4
        .value_kind:     hidden_block_count_z
      - .offset:         116
        .size:           2
        .value_kind:     hidden_group_size_x
      - .offset:         118
        .size:           2
        .value_kind:     hidden_group_size_y
      - .offset:         120
        .size:           2
        .value_kind:     hidden_group_size_z
      - .offset:         122
        .size:           2
        .value_kind:     hidden_remainder_x
      - .offset:         124
        .size:           2
        .value_kind:     hidden_remainder_y
      - .offset:         126
        .size:           2
        .value_kind:     hidden_remainder_z
      - .offset:         144
        .size:           8
        .value_kind:     hidden_global_offset_x
      - .offset:         152
        .size:           8
        .value_kind:     hidden_global_offset_y
      - .offset:         160
        .size:           8
        .value_kind:     hidden_global_offset_z
      - .offset:         168
        .size:           2
        .value_kind:     hidden_grid_dims
    .group_segment_fixed_size: 2048
    .kernarg_segment_align: 8
    .kernarg_segment_size: 360
    .language:       OpenCL C
    .language_version:
      - 2
      - 0
    .max_flat_workgroup_size: 16
    .name:           _ZL30rocblas_trsm_small_left_deviceILi16ELi16ELb0EddPKdPdEv13rocblas_fill_18rocblas_operation_17rocblas_diagonal_iiT3_T4_lilT5_lili
    .private_segment_fixed_size: 0
    .sgpr_count:     30
    .sgpr_spill_count: 0
    .symbol:         _ZL30rocblas_trsm_small_left_deviceILi16ELi16ELb0EddPKdPdEv13rocblas_fill_18rocblas_operation_17rocblas_diagonal_iiT3_T4_lilT5_lili.kd
    .uniform_work_group_size: 1
    .uses_dynamic_stack: false
    .vgpr_count:     64
    .vgpr_spill_count: 0
    .wavefront_size: 64
  - .args:
      - .offset:         0
        .size:           4
        .value_kind:     by_value
      - .offset:         4
        .size:           4
        .value_kind:     by_value
      - .offset:         8
        .size:           4
        .value_kind:     by_value
      - .offset:         12
        .size:           4
        .value_kind:     by_value
      - .offset:         16
        .size:           4
        .value_kind:     by_value
      - .offset:         24
        .size:           8
        .value_kind:     by_value
      - .address_space:  global
        .offset:         32
        .size:           8
        .value_kind:     global_buffer
      - .offset:         40
        .size:           8
        .value_kind:     by_value
      - .offset:         48
        .size:           4
        .value_kind:     by_value
      - .offset:         56
        .size:           8
        .value_kind:     by_value
      - .address_space:  global
        .offset:         64
        .size:           8
        .value_kind:     global_buffer
      - .offset:         72
        .size:           8
        .value_kind:     by_value
      - .offset:         80
        .size:           4
        .value_kind:     by_value
      - .offset:         88
        .size:           8
        .value_kind:     by_value
      - .offset:         96
        .size:           4
        .value_kind:     by_value
      - .offset:         104
        .size:           4
        .value_kind:     hidden_block_count_x
      - .offset:         108
        .size:           4
        .value_kind:     hidden_block_count_y
      - .offset:         112
        .size:           4
        .value_kind:     hidden_block_count_z
      - .offset:         116
        .size:           2
        .value_kind:     hidden_group_size_x
      - .offset:         118
        .size:           2
        .value_kind:     hidden_group_size_y
      - .offset:         120
        .size:           2
        .value_kind:     hidden_group_size_z
      - .offset:         122
        .size:           2
        .value_kind:     hidden_remainder_x
      - .offset:         124
        .size:           2
        .value_kind:     hidden_remainder_y
      - .offset:         126
        .size:           2
        .value_kind:     hidden_remainder_z
      - .offset:         144
        .size:           8
        .value_kind:     hidden_global_offset_x
      - .offset:         152
        .size:           8
        .value_kind:     hidden_global_offset_y
      - .offset:         160
        .size:           8
        .value_kind:     hidden_global_offset_z
      - .offset:         168
        .size:           2
        .value_kind:     hidden_grid_dims
    .group_segment_fixed_size: 4096
    .kernarg_segment_align: 8
    .kernarg_segment_size: 360
    .language:       OpenCL C
    .language_version:
      - 2
      - 0
    .max_flat_workgroup_size: 16
    .name:           _ZL38rocblas_trsm_small_left_device_sharedBILi16ELi16ELb1EddPKdPdEv13rocblas_fill_18rocblas_operation_17rocblas_diagonal_iiT3_T4_lilT5_lili
    .private_segment_fixed_size: 0
    .sgpr_count:     32
    .sgpr_spill_count: 0
    .symbol:         _ZL38rocblas_trsm_small_left_device_sharedBILi16ELi16ELb1EddPKdPdEv13rocblas_fill_18rocblas_operation_17rocblas_diagonal_iiT3_T4_lilT5_lili.kd
    .uniform_work_group_size: 1
    .uses_dynamic_stack: false
    .vgpr_count:     67
    .vgpr_spill_count: 0
    .wavefront_size: 64
  - .args:
      - .offset:         0
        .size:           4
        .value_kind:     by_value
      - .offset:         4
        .size:           4
        .value_kind:     by_value
      - .offset:         8
        .size:           4
        .value_kind:     by_value
      - .offset:         12
        .size:           4
        .value_kind:     by_value
      - .offset:         16
        .size:           4
        .value_kind:     by_value
      - .offset:         24
        .size:           8
        .value_kind:     by_value
      - .address_space:  global
        .offset:         32
        .size:           8
        .value_kind:     global_buffer
      - .offset:         40
        .size:           8
        .value_kind:     by_value
      - .offset:         48
        .size:           4
        .value_kind:     by_value
      - .offset:         56
        .size:           8
        .value_kind:     by_value
      - .address_space:  global
        .offset:         64
        .size:           8
        .value_kind:     global_buffer
      - .offset:         72
        .size:           8
        .value_kind:     by_value
      - .offset:         80
        .size:           4
        .value_kind:     by_value
      - .offset:         88
        .size:           8
        .value_kind:     by_value
      - .offset:         96
        .size:           4
        .value_kind:     by_value
      - .offset:         104
        .size:           4
        .value_kind:     hidden_block_count_x
      - .offset:         108
        .size:           4
        .value_kind:     hidden_block_count_y
      - .offset:         112
        .size:           4
        .value_kind:     hidden_block_count_z
      - .offset:         116
        .size:           2
        .value_kind:     hidden_group_size_x
      - .offset:         118
        .size:           2
        .value_kind:     hidden_group_size_y
      - .offset:         120
        .size:           2
        .value_kind:     hidden_group_size_z
      - .offset:         122
        .size:           2
        .value_kind:     hidden_remainder_x
      - .offset:         124
        .size:           2
        .value_kind:     hidden_remainder_y
      - .offset:         126
        .size:           2
        .value_kind:     hidden_remainder_z
      - .offset:         144
        .size:           8
        .value_kind:     hidden_global_offset_x
      - .offset:         152
        .size:           8
        .value_kind:     hidden_global_offset_y
      - .offset:         160
        .size:           8
        .value_kind:     hidden_global_offset_z
      - .offset:         168
        .size:           2
        .value_kind:     hidden_grid_dims
    .group_segment_fixed_size: 2048
    .kernarg_segment_align: 8
    .kernarg_segment_size: 360
    .language:       OpenCL C
    .language_version:
      - 2
      - 0
    .max_flat_workgroup_size: 16
    .name:           _ZL30rocblas_trsm_small_left_deviceILi16ELi16ELb1EddPKdPdEv13rocblas_fill_18rocblas_operation_17rocblas_diagonal_iiT3_T4_lilT5_lili
    .private_segment_fixed_size: 0
    .sgpr_count:     36
    .sgpr_spill_count: 0
    .symbol:         _ZL30rocblas_trsm_small_left_deviceILi16ELi16ELb1EddPKdPdEv13rocblas_fill_18rocblas_operation_17rocblas_diagonal_iiT3_T4_lilT5_lili.kd
    .uniform_work_group_size: 1
    .uses_dynamic_stack: false
    .vgpr_count:     63
    .vgpr_spill_count: 0
    .wavefront_size: 64
  - .args:
      - .offset:         0
        .size:           4
        .value_kind:     by_value
      - .offset:         4
        .size:           4
        .value_kind:     by_value
      - .offset:         8
        .size:           4
        .value_kind:     by_value
      - .offset:         12
        .size:           4
        .value_kind:     by_value
      - .offset:         16
        .size:           4
        .value_kind:     by_value
      - .offset:         24
        .size:           8
        .value_kind:     by_value
      - .address_space:  global
        .offset:         32
        .size:           8
        .value_kind:     global_buffer
      - .offset:         40
        .size:           8
        .value_kind:     by_value
      - .offset:         48
        .size:           4
        .value_kind:     by_value
      - .offset:         56
        .size:           8
        .value_kind:     by_value
      - .address_space:  global
        .offset:         64
        .size:           8
        .value_kind:     global_buffer
      - .offset:         72
        .size:           8
        .value_kind:     by_value
      - .offset:         80
        .size:           4
        .value_kind:     by_value
      - .offset:         88
        .size:           8
        .value_kind:     by_value
      - .offset:         96
        .size:           4
        .value_kind:     by_value
      - .offset:         104
        .size:           4
        .value_kind:     hidden_block_count_x
      - .offset:         108
        .size:           4
        .value_kind:     hidden_block_count_y
      - .offset:         112
        .size:           4
        .value_kind:     hidden_block_count_z
      - .offset:         116
        .size:           2
        .value_kind:     hidden_group_size_x
      - .offset:         118
        .size:           2
        .value_kind:     hidden_group_size_y
      - .offset:         120
        .size:           2
        .value_kind:     hidden_group_size_z
      - .offset:         122
        .size:           2
        .value_kind:     hidden_remainder_x
      - .offset:         124
        .size:           2
        .value_kind:     hidden_remainder_y
      - .offset:         126
        .size:           2
        .value_kind:     hidden_remainder_z
      - .offset:         144
        .size:           8
        .value_kind:     hidden_global_offset_x
      - .offset:         152
        .size:           8
        .value_kind:     hidden_global_offset_y
      - .offset:         160
        .size:           8
        .value_kind:     hidden_global_offset_z
      - .offset:         168
        .size:           2
        .value_kind:     hidden_grid_dims
    .group_segment_fixed_size: 4096
    .kernarg_segment_align: 8
    .kernarg_segment_size: 360
    .language:       OpenCL C
    .language_version:
      - 2
      - 0
    .max_flat_workgroup_size: 16
    .name:           _ZL31rocblas_trsm_small_right_deviceIddPKdPdLi16EEv13rocblas_fill_18rocblas_operation_17rocblas_diagonal_iiT0_T1_lilT2_lili
    .private_segment_fixed_size: 0
    .sgpr_count:     30
    .sgpr_spill_count: 0
    .symbol:         _ZL31rocblas_trsm_small_right_deviceIddPKdPdLi16EEv13rocblas_fill_18rocblas_operation_17rocblas_diagonal_iiT0_T1_lilT2_lili.kd
    .uniform_work_group_size: 1
    .uses_dynamic_stack: false
    .vgpr_count:     36
    .vgpr_spill_count: 0
    .wavefront_size: 64
  - .args:
      - .offset:         0
        .size:           4
        .value_kind:     by_value
      - .offset:         4
        .size:           4
        .value_kind:     by_value
      - .offset:         8
        .size:           4
        .value_kind:     by_value
      - .offset:         12
        .size:           4
        .value_kind:     by_value
      - .offset:         16
        .size:           4
        .value_kind:     by_value
      - .offset:         24
        .size:           8
        .value_kind:     by_value
      - .address_space:  global
        .offset:         32
        .size:           8
        .value_kind:     global_buffer
      - .offset:         40
        .size:           8
        .value_kind:     by_value
      - .offset:         48
        .size:           4
        .value_kind:     by_value
      - .offset:         56
        .size:           8
        .value_kind:     by_value
      - .address_space:  global
        .offset:         64
        .size:           8
        .value_kind:     global_buffer
      - .offset:         72
        .size:           8
        .value_kind:     by_value
      - .offset:         80
        .size:           4
        .value_kind:     by_value
      - .offset:         88
        .size:           8
        .value_kind:     by_value
      - .offset:         96
        .size:           4
        .value_kind:     by_value
      - .offset:         104
        .size:           4
        .value_kind:     hidden_block_count_x
      - .offset:         108
        .size:           4
        .value_kind:     hidden_block_count_y
      - .offset:         112
        .size:           4
        .value_kind:     hidden_block_count_z
      - .offset:         116
        .size:           2
        .value_kind:     hidden_group_size_x
      - .offset:         118
        .size:           2
        .value_kind:     hidden_group_size_y
      - .offset:         120
        .size:           2
        .value_kind:     hidden_group_size_z
      - .offset:         122
        .size:           2
        .value_kind:     hidden_remainder_x
      - .offset:         124
        .size:           2
        .value_kind:     hidden_remainder_y
      - .offset:         126
        .size:           2
        .value_kind:     hidden_remainder_z
      - .offset:         144
        .size:           8
        .value_kind:     hidden_global_offset_x
      - .offset:         152
        .size:           8
        .value_kind:     hidden_global_offset_y
      - .offset:         160
        .size:           8
        .value_kind:     hidden_global_offset_z
      - .offset:         168
        .size:           2
        .value_kind:     hidden_grid_dims
    .group_segment_fixed_size: 6400
    .kernarg_segment_align: 8
    .kernarg_segment_size: 360
    .language:       OpenCL C
    .language_version:
      - 2
      - 0
    .max_flat_workgroup_size: 20
    .name:           _ZL38rocblas_trsm_small_left_device_sharedBILi20ELi20ELb0EddPKdPdEv13rocblas_fill_18rocblas_operation_17rocblas_diagonal_iiT3_T4_lilT5_lili
    .private_segment_fixed_size: 0
    .sgpr_count:     31
    .sgpr_spill_count: 0
    .symbol:         _ZL38rocblas_trsm_small_left_device_sharedBILi20ELi20ELb0EddPKdPdEv13rocblas_fill_18rocblas_operation_17rocblas_diagonal_iiT3_T4_lilT5_lili.kd
    .uniform_work_group_size: 1
    .uses_dynamic_stack: false
    .vgpr_count:     104
    .vgpr_spill_count: 0
    .wavefront_size: 64
  - .args:
      - .offset:         0
        .size:           4
        .value_kind:     by_value
      - .offset:         4
        .size:           4
        .value_kind:     by_value
      - .offset:         8
        .size:           4
        .value_kind:     by_value
      - .offset:         12
        .size:           4
        .value_kind:     by_value
      - .offset:         16
        .size:           4
        .value_kind:     by_value
      - .offset:         24
        .size:           8
        .value_kind:     by_value
      - .address_space:  global
        .offset:         32
        .size:           8
        .value_kind:     global_buffer
      - .offset:         40
        .size:           8
        .value_kind:     by_value
      - .offset:         48
        .size:           4
        .value_kind:     by_value
      - .offset:         56
        .size:           8
        .value_kind:     by_value
      - .address_space:  global
        .offset:         64
        .size:           8
        .value_kind:     global_buffer
      - .offset:         72
        .size:           8
        .value_kind:     by_value
      - .offset:         80
        .size:           4
        .value_kind:     by_value
      - .offset:         88
        .size:           8
        .value_kind:     by_value
      - .offset:         96
        .size:           4
        .value_kind:     by_value
      - .offset:         104
        .size:           4
        .value_kind:     hidden_block_count_x
      - .offset:         108
        .size:           4
        .value_kind:     hidden_block_count_y
      - .offset:         112
        .size:           4
        .value_kind:     hidden_block_count_z
      - .offset:         116
        .size:           2
        .value_kind:     hidden_group_size_x
      - .offset:         118
        .size:           2
        .value_kind:     hidden_group_size_y
      - .offset:         120
        .size:           2
        .value_kind:     hidden_group_size_z
      - .offset:         122
        .size:           2
        .value_kind:     hidden_remainder_x
      - .offset:         124
        .size:           2
        .value_kind:     hidden_remainder_y
      - .offset:         126
        .size:           2
        .value_kind:     hidden_remainder_z
      - .offset:         144
        .size:           8
        .value_kind:     hidden_global_offset_x
      - .offset:         152
        .size:           8
        .value_kind:     hidden_global_offset_y
      - .offset:         160
        .size:           8
        .value_kind:     hidden_global_offset_z
      - .offset:         168
        .size:           2
        .value_kind:     hidden_grid_dims
    .group_segment_fixed_size: 3200
    .kernarg_segment_align: 8
    .kernarg_segment_size: 360
    .language:       OpenCL C
    .language_version:
      - 2
      - 0
    .max_flat_workgroup_size: 20
    .name:           _ZL30rocblas_trsm_small_left_deviceILi20ELi20ELb0EddPKdPdEv13rocblas_fill_18rocblas_operation_17rocblas_diagonal_iiT3_T4_lilT5_lili
    .private_segment_fixed_size: 0
    .sgpr_count:     36
    .sgpr_spill_count: 0
    .symbol:         _ZL30rocblas_trsm_small_left_deviceILi20ELi20ELb0EddPKdPdEv13rocblas_fill_18rocblas_operation_17rocblas_diagonal_iiT3_T4_lilT5_lili.kd
    .uniform_work_group_size: 1
    .uses_dynamic_stack: false
    .vgpr_count:     84
    .vgpr_spill_count: 0
    .wavefront_size: 64
  - .args:
      - .offset:         0
        .size:           4
        .value_kind:     by_value
      - .offset:         4
        .size:           4
        .value_kind:     by_value
      - .offset:         8
        .size:           4
        .value_kind:     by_value
      - .offset:         12
        .size:           4
        .value_kind:     by_value
      - .offset:         16
        .size:           4
        .value_kind:     by_value
      - .offset:         24
        .size:           8
        .value_kind:     by_value
      - .address_space:  global
        .offset:         32
        .size:           8
        .value_kind:     global_buffer
      - .offset:         40
        .size:           8
        .value_kind:     by_value
      - .offset:         48
        .size:           4
        .value_kind:     by_value
      - .offset:         56
        .size:           8
        .value_kind:     by_value
      - .address_space:  global
        .offset:         64
        .size:           8
        .value_kind:     global_buffer
      - .offset:         72
        .size:           8
        .value_kind:     by_value
      - .offset:         80
        .size:           4
        .value_kind:     by_value
      - .offset:         88
        .size:           8
        .value_kind:     by_value
      - .offset:         96
        .size:           4
        .value_kind:     by_value
      - .offset:         104
        .size:           4
        .value_kind:     hidden_block_count_x
      - .offset:         108
        .size:           4
        .value_kind:     hidden_block_count_y
      - .offset:         112
        .size:           4
        .value_kind:     hidden_block_count_z
      - .offset:         116
        .size:           2
        .value_kind:     hidden_group_size_x
      - .offset:         118
        .size:           2
        .value_kind:     hidden_group_size_y
      - .offset:         120
        .size:           2
        .value_kind:     hidden_group_size_z
      - .offset:         122
        .size:           2
        .value_kind:     hidden_remainder_x
      - .offset:         124
        .size:           2
        .value_kind:     hidden_remainder_y
      - .offset:         126
        .size:           2
        .value_kind:     hidden_remainder_z
      - .offset:         144
        .size:           8
        .value_kind:     hidden_global_offset_x
      - .offset:         152
        .size:           8
        .value_kind:     hidden_global_offset_y
      - .offset:         160
        .size:           8
        .value_kind:     hidden_global_offset_z
      - .offset:         168
        .size:           2
        .value_kind:     hidden_grid_dims
    .group_segment_fixed_size: 6400
    .kernarg_segment_align: 8
    .kernarg_segment_size: 360
    .language:       OpenCL C
    .language_version:
      - 2
      - 0
    .max_flat_workgroup_size: 20
    .name:           _ZL38rocblas_trsm_small_left_device_sharedBILi20ELi20ELb1EddPKdPdEv13rocblas_fill_18rocblas_operation_17rocblas_diagonal_iiT3_T4_lilT5_lili
    .private_segment_fixed_size: 0
    .sgpr_count:     30
    .sgpr_spill_count: 0
    .symbol:         _ZL38rocblas_trsm_small_left_device_sharedBILi20ELi20ELb1EddPKdPdEv13rocblas_fill_18rocblas_operation_17rocblas_diagonal_iiT3_T4_lilT5_lili.kd
    .uniform_work_group_size: 1
    .uses_dynamic_stack: false
    .vgpr_count:     84
    .vgpr_spill_count: 0
    .wavefront_size: 64
  - .args:
      - .offset:         0
        .size:           4
        .value_kind:     by_value
      - .offset:         4
        .size:           4
        .value_kind:     by_value
      - .offset:         8
        .size:           4
        .value_kind:     by_value
      - .offset:         12
        .size:           4
        .value_kind:     by_value
      - .offset:         16
        .size:           4
        .value_kind:     by_value
      - .offset:         24
        .size:           8
        .value_kind:     by_value
      - .address_space:  global
        .offset:         32
        .size:           8
        .value_kind:     global_buffer
      - .offset:         40
        .size:           8
        .value_kind:     by_value
      - .offset:         48
        .size:           4
        .value_kind:     by_value
      - .offset:         56
        .size:           8
        .value_kind:     by_value
      - .address_space:  global
        .offset:         64
        .size:           8
        .value_kind:     global_buffer
      - .offset:         72
        .size:           8
        .value_kind:     by_value
      - .offset:         80
        .size:           4
        .value_kind:     by_value
      - .offset:         88
        .size:           8
        .value_kind:     by_value
      - .offset:         96
        .size:           4
        .value_kind:     by_value
      - .offset:         104
        .size:           4
        .value_kind:     hidden_block_count_x
      - .offset:         108
        .size:           4
        .value_kind:     hidden_block_count_y
      - .offset:         112
        .size:           4
        .value_kind:     hidden_block_count_z
      - .offset:         116
        .size:           2
        .value_kind:     hidden_group_size_x
      - .offset:         118
        .size:           2
        .value_kind:     hidden_group_size_y
      - .offset:         120
        .size:           2
        .value_kind:     hidden_group_size_z
      - .offset:         122
        .size:           2
        .value_kind:     hidden_remainder_x
      - .offset:         124
        .size:           2
        .value_kind:     hidden_remainder_y
      - .offset:         126
        .size:           2
        .value_kind:     hidden_remainder_z
      - .offset:         144
        .size:           8
        .value_kind:     hidden_global_offset_x
      - .offset:         152
        .size:           8
        .value_kind:     hidden_global_offset_y
      - .offset:         160
        .size:           8
        .value_kind:     hidden_global_offset_z
      - .offset:         168
        .size:           2
        .value_kind:     hidden_grid_dims
    .group_segment_fixed_size: 3200
    .kernarg_segment_align: 8
    .kernarg_segment_size: 360
    .language:       OpenCL C
    .language_version:
      - 2
      - 0
    .max_flat_workgroup_size: 20
    .name:           _ZL30rocblas_trsm_small_left_deviceILi20ELi20ELb1EddPKdPdEv13rocblas_fill_18rocblas_operation_17rocblas_diagonal_iiT3_T4_lilT5_lili
    .private_segment_fixed_size: 0
    .sgpr_count:     33
    .sgpr_spill_count: 0
    .symbol:         _ZL30rocblas_trsm_small_left_deviceILi20ELi20ELb1EddPKdPdEv13rocblas_fill_18rocblas_operation_17rocblas_diagonal_iiT3_T4_lilT5_lili.kd
    .uniform_work_group_size: 1
    .uses_dynamic_stack: false
    .vgpr_count:     85
    .vgpr_spill_count: 0
    .wavefront_size: 64
  - .args:
      - .offset:         0
        .size:           4
        .value_kind:     by_value
      - .offset:         4
        .size:           4
        .value_kind:     by_value
      - .offset:         8
        .size:           4
        .value_kind:     by_value
      - .offset:         12
        .size:           4
        .value_kind:     by_value
      - .offset:         16
        .size:           4
        .value_kind:     by_value
      - .offset:         24
        .size:           8
        .value_kind:     by_value
      - .address_space:  global
        .offset:         32
        .size:           8
        .value_kind:     global_buffer
      - .offset:         40
        .size:           8
        .value_kind:     by_value
      - .offset:         48
        .size:           4
        .value_kind:     by_value
      - .offset:         56
        .size:           8
        .value_kind:     by_value
      - .address_space:  global
        .offset:         64
        .size:           8
        .value_kind:     global_buffer
      - .offset:         72
        .size:           8
        .value_kind:     by_value
      - .offset:         80
        .size:           4
        .value_kind:     by_value
      - .offset:         88
        .size:           8
        .value_kind:     by_value
      - .offset:         96
        .size:           4
        .value_kind:     by_value
      - .offset:         104
        .size:           4
        .value_kind:     hidden_block_count_x
      - .offset:         108
        .size:           4
        .value_kind:     hidden_block_count_y
      - .offset:         112
        .size:           4
        .value_kind:     hidden_block_count_z
      - .offset:         116
        .size:           2
        .value_kind:     hidden_group_size_x
      - .offset:         118
        .size:           2
        .value_kind:     hidden_group_size_y
      - .offset:         120
        .size:           2
        .value_kind:     hidden_group_size_z
      - .offset:         122
        .size:           2
        .value_kind:     hidden_remainder_x
      - .offset:         124
        .size:           2
        .value_kind:     hidden_remainder_y
      - .offset:         126
        .size:           2
        .value_kind:     hidden_remainder_z
      - .offset:         144
        .size:           8
        .value_kind:     hidden_global_offset_x
      - .offset:         152
        .size:           8
        .value_kind:     hidden_global_offset_y
      - .offset:         160
        .size:           8
        .value_kind:     hidden_global_offset_z
      - .offset:         168
        .size:           2
        .value_kind:     hidden_grid_dims
    .group_segment_fixed_size: 6400
    .kernarg_segment_align: 8
    .kernarg_segment_size: 360
    .language:       OpenCL C
    .language_version:
      - 2
      - 0
    .max_flat_workgroup_size: 20
    .name:           _ZL31rocblas_trsm_small_right_deviceIddPKdPdLi20EEv13rocblas_fill_18rocblas_operation_17rocblas_diagonal_iiT0_T1_lilT2_lili
    .private_segment_fixed_size: 0
    .sgpr_count:     30
    .sgpr_spill_count: 0
    .symbol:         _ZL31rocblas_trsm_small_right_deviceIddPKdPdLi20EEv13rocblas_fill_18rocblas_operation_17rocblas_diagonal_iiT0_T1_lilT2_lili.kd
    .uniform_work_group_size: 1
    .uses_dynamic_stack: false
    .vgpr_count:     34
    .vgpr_spill_count: 0
    .wavefront_size: 64
  - .args:
      - .offset:         0
        .size:           4
        .value_kind:     by_value
      - .offset:         4
        .size:           4
        .value_kind:     by_value
      - .offset:         8
        .size:           4
        .value_kind:     by_value
      - .offset:         12
        .size:           4
        .value_kind:     by_value
      - .offset:         16
        .size:           4
        .value_kind:     by_value
      - .offset:         24
        .size:           8
        .value_kind:     by_value
      - .address_space:  global
        .offset:         32
        .size:           8
        .value_kind:     global_buffer
      - .offset:         40
        .size:           8
        .value_kind:     by_value
      - .offset:         48
        .size:           4
        .value_kind:     by_value
      - .offset:         56
        .size:           8
        .value_kind:     by_value
      - .address_space:  global
        .offset:         64
        .size:           8
        .value_kind:     global_buffer
      - .offset:         72
        .size:           8
        .value_kind:     by_value
      - .offset:         80
        .size:           4
        .value_kind:     by_value
      - .offset:         88
        .size:           8
        .value_kind:     by_value
      - .offset:         96
        .size:           4
        .value_kind:     by_value
      - .offset:         104
        .size:           4
        .value_kind:     hidden_block_count_x
      - .offset:         108
        .size:           4
        .value_kind:     hidden_block_count_y
      - .offset:         112
        .size:           4
        .value_kind:     hidden_block_count_z
      - .offset:         116
        .size:           2
        .value_kind:     hidden_group_size_x
      - .offset:         118
        .size:           2
        .value_kind:     hidden_group_size_y
      - .offset:         120
        .size:           2
        .value_kind:     hidden_group_size_z
      - .offset:         122
        .size:           2
        .value_kind:     hidden_remainder_x
      - .offset:         124
        .size:           2
        .value_kind:     hidden_remainder_y
      - .offset:         126
        .size:           2
        .value_kind:     hidden_remainder_z
      - .offset:         144
        .size:           8
        .value_kind:     hidden_global_offset_x
      - .offset:         152
        .size:           8
        .value_kind:     hidden_global_offset_y
      - .offset:         160
        .size:           8
        .value_kind:     hidden_global_offset_z
      - .offset:         168
        .size:           2
        .value_kind:     hidden_grid_dims
    .group_segment_fixed_size: 9216
    .kernarg_segment_align: 8
    .kernarg_segment_size: 360
    .language:       OpenCL C
    .language_version:
      - 2
      - 0
    .max_flat_workgroup_size: 24
    .name:           _ZL38rocblas_trsm_small_left_device_sharedBILi24ELi24ELb0EddPKdPdEv13rocblas_fill_18rocblas_operation_17rocblas_diagonal_iiT3_T4_lilT5_lili
    .private_segment_fixed_size: 0
    .sgpr_count:     35
    .sgpr_spill_count: 0
    .symbol:         _ZL38rocblas_trsm_small_left_device_sharedBILi24ELi24ELb0EddPKdPdEv13rocblas_fill_18rocblas_operation_17rocblas_diagonal_iiT3_T4_lilT5_lili.kd
    .uniform_work_group_size: 1
    .uses_dynamic_stack: false
    .vgpr_count:     126
    .vgpr_spill_count: 0
    .wavefront_size: 64
  - .args:
      - .offset:         0
        .size:           4
        .value_kind:     by_value
      - .offset:         4
        .size:           4
        .value_kind:     by_value
      - .offset:         8
        .size:           4
        .value_kind:     by_value
      - .offset:         12
        .size:           4
        .value_kind:     by_value
      - .offset:         16
        .size:           4
        .value_kind:     by_value
      - .offset:         24
        .size:           8
        .value_kind:     by_value
      - .address_space:  global
        .offset:         32
        .size:           8
        .value_kind:     global_buffer
      - .offset:         40
        .size:           8
        .value_kind:     by_value
      - .offset:         48
        .size:           4
        .value_kind:     by_value
      - .offset:         56
        .size:           8
        .value_kind:     by_value
      - .address_space:  global
        .offset:         64
        .size:           8
        .value_kind:     global_buffer
      - .offset:         72
        .size:           8
        .value_kind:     by_value
      - .offset:         80
        .size:           4
        .value_kind:     by_value
      - .offset:         88
        .size:           8
        .value_kind:     by_value
      - .offset:         96
        .size:           4
        .value_kind:     by_value
      - .offset:         104
        .size:           4
        .value_kind:     hidden_block_count_x
      - .offset:         108
        .size:           4
        .value_kind:     hidden_block_count_y
      - .offset:         112
        .size:           4
        .value_kind:     hidden_block_count_z
      - .offset:         116
        .size:           2
        .value_kind:     hidden_group_size_x
      - .offset:         118
        .size:           2
        .value_kind:     hidden_group_size_y
      - .offset:         120
        .size:           2
        .value_kind:     hidden_group_size_z
      - .offset:         122
        .size:           2
        .value_kind:     hidden_remainder_x
      - .offset:         124
        .size:           2
        .value_kind:     hidden_remainder_y
      - .offset:         126
        .size:           2
        .value_kind:     hidden_remainder_z
      - .offset:         144
        .size:           8
        .value_kind:     hidden_global_offset_x
      - .offset:         152
        .size:           8
        .value_kind:     hidden_global_offset_y
      - .offset:         160
        .size:           8
        .value_kind:     hidden_global_offset_z
      - .offset:         168
        .size:           2
        .value_kind:     hidden_grid_dims
    .group_segment_fixed_size: 4608
    .kernarg_segment_align: 8
    .kernarg_segment_size: 360
    .language:       OpenCL C
    .language_version:
      - 2
      - 0
    .max_flat_workgroup_size: 24
    .name:           _ZL30rocblas_trsm_small_left_deviceILi24ELi24ELb0EddPKdPdEv13rocblas_fill_18rocblas_operation_17rocblas_diagonal_iiT3_T4_lilT5_lili
    .private_segment_fixed_size: 0
    .sgpr_count:     34
    .sgpr_spill_count: 0
    .symbol:         _ZL30rocblas_trsm_small_left_deviceILi24ELi24ELb0EddPKdPdEv13rocblas_fill_18rocblas_operation_17rocblas_diagonal_iiT3_T4_lilT5_lili.kd
    .uniform_work_group_size: 1
    .uses_dynamic_stack: false
    .vgpr_count:     84
    .vgpr_spill_count: 0
    .wavefront_size: 64
  - .args:
      - .offset:         0
        .size:           4
        .value_kind:     by_value
      - .offset:         4
        .size:           4
        .value_kind:     by_value
      - .offset:         8
        .size:           4
        .value_kind:     by_value
      - .offset:         12
        .size:           4
        .value_kind:     by_value
      - .offset:         16
        .size:           4
        .value_kind:     by_value
      - .offset:         24
        .size:           8
        .value_kind:     by_value
      - .address_space:  global
        .offset:         32
        .size:           8
        .value_kind:     global_buffer
      - .offset:         40
        .size:           8
        .value_kind:     by_value
      - .offset:         48
        .size:           4
        .value_kind:     by_value
      - .offset:         56
        .size:           8
        .value_kind:     by_value
      - .address_space:  global
        .offset:         64
        .size:           8
        .value_kind:     global_buffer
      - .offset:         72
        .size:           8
        .value_kind:     by_value
      - .offset:         80
        .size:           4
        .value_kind:     by_value
      - .offset:         88
        .size:           8
        .value_kind:     by_value
      - .offset:         96
        .size:           4
        .value_kind:     by_value
      - .offset:         104
        .size:           4
        .value_kind:     hidden_block_count_x
      - .offset:         108
        .size:           4
        .value_kind:     hidden_block_count_y
      - .offset:         112
        .size:           4
        .value_kind:     hidden_block_count_z
      - .offset:         116
        .size:           2
        .value_kind:     hidden_group_size_x
      - .offset:         118
        .size:           2
        .value_kind:     hidden_group_size_y
      - .offset:         120
        .size:           2
        .value_kind:     hidden_group_size_z
      - .offset:         122
        .size:           2
        .value_kind:     hidden_remainder_x
      - .offset:         124
        .size:           2
        .value_kind:     hidden_remainder_y
      - .offset:         126
        .size:           2
        .value_kind:     hidden_remainder_z
      - .offset:         144
        .size:           8
        .value_kind:     hidden_global_offset_x
      - .offset:         152
        .size:           8
        .value_kind:     hidden_global_offset_y
      - .offset:         160
        .size:           8
        .value_kind:     hidden_global_offset_z
      - .offset:         168
        .size:           2
        .value_kind:     hidden_grid_dims
    .group_segment_fixed_size: 9216
    .kernarg_segment_align: 8
    .kernarg_segment_size: 360
    .language:       OpenCL C
    .language_version:
      - 2
      - 0
    .max_flat_workgroup_size: 24
    .name:           _ZL38rocblas_trsm_small_left_device_sharedBILi24ELi24ELb1EddPKdPdEv13rocblas_fill_18rocblas_operation_17rocblas_diagonal_iiT3_T4_lilT5_lili
    .private_segment_fixed_size: 0
    .sgpr_count:     32
    .sgpr_spill_count: 0
    .symbol:         _ZL38rocblas_trsm_small_left_device_sharedBILi24ELi24ELb1EddPKdPdEv13rocblas_fill_18rocblas_operation_17rocblas_diagonal_iiT3_T4_lilT5_lili.kd
    .uniform_work_group_size: 1
    .uses_dynamic_stack: false
    .vgpr_count:     132
    .vgpr_spill_count: 0
    .wavefront_size: 64
  - .args:
      - .offset:         0
        .size:           4
        .value_kind:     by_value
      - .offset:         4
        .size:           4
        .value_kind:     by_value
      - .offset:         8
        .size:           4
        .value_kind:     by_value
      - .offset:         12
        .size:           4
        .value_kind:     by_value
      - .offset:         16
        .size:           4
        .value_kind:     by_value
      - .offset:         24
        .size:           8
        .value_kind:     by_value
      - .address_space:  global
        .offset:         32
        .size:           8
        .value_kind:     global_buffer
      - .offset:         40
        .size:           8
        .value_kind:     by_value
      - .offset:         48
        .size:           4
        .value_kind:     by_value
      - .offset:         56
        .size:           8
        .value_kind:     by_value
      - .address_space:  global
        .offset:         64
        .size:           8
        .value_kind:     global_buffer
      - .offset:         72
        .size:           8
        .value_kind:     by_value
      - .offset:         80
        .size:           4
        .value_kind:     by_value
      - .offset:         88
        .size:           8
        .value_kind:     by_value
      - .offset:         96
        .size:           4
        .value_kind:     by_value
      - .offset:         104
        .size:           4
        .value_kind:     hidden_block_count_x
      - .offset:         108
        .size:           4
        .value_kind:     hidden_block_count_y
      - .offset:         112
        .size:           4
        .value_kind:     hidden_block_count_z
      - .offset:         116
        .size:           2
        .value_kind:     hidden_group_size_x
      - .offset:         118
        .size:           2
        .value_kind:     hidden_group_size_y
      - .offset:         120
        .size:           2
        .value_kind:     hidden_group_size_z
      - .offset:         122
        .size:           2
        .value_kind:     hidden_remainder_x
      - .offset:         124
        .size:           2
        .value_kind:     hidden_remainder_y
      - .offset:         126
        .size:           2
        .value_kind:     hidden_remainder_z
      - .offset:         144
        .size:           8
        .value_kind:     hidden_global_offset_x
      - .offset:         152
        .size:           8
        .value_kind:     hidden_global_offset_y
      - .offset:         160
        .size:           8
        .value_kind:     hidden_global_offset_z
      - .offset:         168
        .size:           2
        .value_kind:     hidden_grid_dims
    .group_segment_fixed_size: 4608
    .kernarg_segment_align: 8
    .kernarg_segment_size: 360
    .language:       OpenCL C
    .language_version:
      - 2
      - 0
    .max_flat_workgroup_size: 24
    .name:           _ZL30rocblas_trsm_small_left_deviceILi24ELi24ELb1EddPKdPdEv13rocblas_fill_18rocblas_operation_17rocblas_diagonal_iiT3_T4_lilT5_lili
    .private_segment_fixed_size: 0
    .sgpr_count:     31
    .sgpr_spill_count: 0
    .symbol:         _ZL30rocblas_trsm_small_left_deviceILi24ELi24ELb1EddPKdPdEv13rocblas_fill_18rocblas_operation_17rocblas_diagonal_iiT3_T4_lilT5_lili.kd
    .uniform_work_group_size: 1
    .uses_dynamic_stack: false
    .vgpr_count:     115
    .vgpr_spill_count: 0
    .wavefront_size: 64
  - .args:
      - .offset:         0
        .size:           4
        .value_kind:     by_value
      - .offset:         4
        .size:           4
        .value_kind:     by_value
      - .offset:         8
        .size:           4
        .value_kind:     by_value
      - .offset:         12
        .size:           4
        .value_kind:     by_value
      - .offset:         16
        .size:           4
        .value_kind:     by_value
      - .offset:         24
        .size:           8
        .value_kind:     by_value
      - .address_space:  global
        .offset:         32
        .size:           8
        .value_kind:     global_buffer
      - .offset:         40
        .size:           8
        .value_kind:     by_value
      - .offset:         48
        .size:           4
        .value_kind:     by_value
      - .offset:         56
        .size:           8
        .value_kind:     by_value
      - .address_space:  global
        .offset:         64
        .size:           8
        .value_kind:     global_buffer
      - .offset:         72
        .size:           8
        .value_kind:     by_value
      - .offset:         80
        .size:           4
        .value_kind:     by_value
      - .offset:         88
        .size:           8
        .value_kind:     by_value
      - .offset:         96
        .size:           4
        .value_kind:     by_value
      - .offset:         104
        .size:           4
        .value_kind:     hidden_block_count_x
      - .offset:         108
        .size:           4
        .value_kind:     hidden_block_count_y
      - .offset:         112
        .size:           4
        .value_kind:     hidden_block_count_z
      - .offset:         116
        .size:           2
        .value_kind:     hidden_group_size_x
      - .offset:         118
        .size:           2
        .value_kind:     hidden_group_size_y
      - .offset:         120
        .size:           2
        .value_kind:     hidden_group_size_z
      - .offset:         122
        .size:           2
        .value_kind:     hidden_remainder_x
      - .offset:         124
        .size:           2
        .value_kind:     hidden_remainder_y
      - .offset:         126
        .size:           2
        .value_kind:     hidden_remainder_z
      - .offset:         144
        .size:           8
        .value_kind:     hidden_global_offset_x
      - .offset:         152
        .size:           8
        .value_kind:     hidden_global_offset_y
      - .offset:         160
        .size:           8
        .value_kind:     hidden_global_offset_z
      - .offset:         168
        .size:           2
        .value_kind:     hidden_grid_dims
    .group_segment_fixed_size: 9216
    .kernarg_segment_align: 8
    .kernarg_segment_size: 360
    .language:       OpenCL C
    .language_version:
      - 2
      - 0
    .max_flat_workgroup_size: 24
    .name:           _ZL31rocblas_trsm_small_right_deviceIddPKdPdLi24EEv13rocblas_fill_18rocblas_operation_17rocblas_diagonal_iiT0_T1_lilT2_lili
    .private_segment_fixed_size: 0
    .sgpr_count:     30
    .sgpr_spill_count: 0
    .symbol:         _ZL31rocblas_trsm_small_right_deviceIddPKdPdLi24EEv13rocblas_fill_18rocblas_operation_17rocblas_diagonal_iiT0_T1_lilT2_lili.kd
    .uniform_work_group_size: 1
    .uses_dynamic_stack: false
    .vgpr_count:     34
    .vgpr_spill_count: 0
    .wavefront_size: 64
  - .args:
      - .offset:         0
        .size:           4
        .value_kind:     by_value
      - .offset:         4
        .size:           4
        .value_kind:     by_value
      - .offset:         8
        .size:           4
        .value_kind:     by_value
      - .offset:         12
        .size:           4
        .value_kind:     by_value
      - .offset:         16
        .size:           4
        .value_kind:     by_value
      - .offset:         24
        .size:           8
        .value_kind:     by_value
      - .address_space:  global
        .offset:         32
        .size:           8
        .value_kind:     global_buffer
      - .offset:         40
        .size:           8
        .value_kind:     by_value
      - .offset:         48
        .size:           4
        .value_kind:     by_value
      - .offset:         56
        .size:           8
        .value_kind:     by_value
      - .address_space:  global
        .offset:         64
        .size:           8
        .value_kind:     global_buffer
      - .offset:         72
        .size:           8
        .value_kind:     by_value
      - .offset:         80
        .size:           4
        .value_kind:     by_value
      - .offset:         88
        .size:           8
        .value_kind:     by_value
      - .offset:         96
        .size:           4
        .value_kind:     by_value
      - .offset:         104
        .size:           4
        .value_kind:     hidden_block_count_x
      - .offset:         108
        .size:           4
        .value_kind:     hidden_block_count_y
      - .offset:         112
        .size:           4
        .value_kind:     hidden_block_count_z
      - .offset:         116
        .size:           2
        .value_kind:     hidden_group_size_x
      - .offset:         118
        .size:           2
        .value_kind:     hidden_group_size_y
      - .offset:         120
        .size:           2
        .value_kind:     hidden_group_size_z
      - .offset:         122
        .size:           2
        .value_kind:     hidden_remainder_x
      - .offset:         124
        .size:           2
        .value_kind:     hidden_remainder_y
      - .offset:         126
        .size:           2
        .value_kind:     hidden_remainder_z
      - .offset:         144
        .size:           8
        .value_kind:     hidden_global_offset_x
      - .offset:         152
        .size:           8
        .value_kind:     hidden_global_offset_y
      - .offset:         160
        .size:           8
        .value_kind:     hidden_global_offset_z
      - .offset:         168
        .size:           2
        .value_kind:     hidden_grid_dims
    .group_segment_fixed_size: 12544
    .kernarg_segment_align: 8
    .kernarg_segment_size: 360
    .language:       OpenCL C
    .language_version:
      - 2
      - 0
    .max_flat_workgroup_size: 28
    .name:           _ZL38rocblas_trsm_small_left_device_sharedBILi28ELi28ELb0EddPKdPdEv13rocblas_fill_18rocblas_operation_17rocblas_diagonal_iiT3_T4_lilT5_lili
    .private_segment_fixed_size: 0
    .sgpr_count:     40
    .sgpr_spill_count: 0
    .symbol:         _ZL38rocblas_trsm_small_left_device_sharedBILi28ELi28ELb0EddPKdPdEv13rocblas_fill_18rocblas_operation_17rocblas_diagonal_iiT3_T4_lilT5_lili.kd
    .uniform_work_group_size: 1
    .uses_dynamic_stack: false
    .vgpr_count:     129
    .vgpr_spill_count: 0
    .wavefront_size: 64
  - .args:
      - .offset:         0
        .size:           4
        .value_kind:     by_value
      - .offset:         4
        .size:           4
        .value_kind:     by_value
      - .offset:         8
        .size:           4
        .value_kind:     by_value
      - .offset:         12
        .size:           4
        .value_kind:     by_value
      - .offset:         16
        .size:           4
        .value_kind:     by_value
      - .offset:         24
        .size:           8
        .value_kind:     by_value
      - .address_space:  global
        .offset:         32
        .size:           8
        .value_kind:     global_buffer
      - .offset:         40
        .size:           8
        .value_kind:     by_value
      - .offset:         48
        .size:           4
        .value_kind:     by_value
      - .offset:         56
        .size:           8
        .value_kind:     by_value
      - .address_space:  global
        .offset:         64
        .size:           8
        .value_kind:     global_buffer
      - .offset:         72
        .size:           8
        .value_kind:     by_value
      - .offset:         80
        .size:           4
        .value_kind:     by_value
      - .offset:         88
        .size:           8
        .value_kind:     by_value
      - .offset:         96
        .size:           4
        .value_kind:     by_value
      - .offset:         104
        .size:           4
        .value_kind:     hidden_block_count_x
      - .offset:         108
        .size:           4
        .value_kind:     hidden_block_count_y
      - .offset:         112
        .size:           4
        .value_kind:     hidden_block_count_z
      - .offset:         116
        .size:           2
        .value_kind:     hidden_group_size_x
      - .offset:         118
        .size:           2
        .value_kind:     hidden_group_size_y
      - .offset:         120
        .size:           2
        .value_kind:     hidden_group_size_z
      - .offset:         122
        .size:           2
        .value_kind:     hidden_remainder_x
      - .offset:         124
        .size:           2
        .value_kind:     hidden_remainder_y
      - .offset:         126
        .size:           2
        .value_kind:     hidden_remainder_z
      - .offset:         144
        .size:           8
        .value_kind:     hidden_global_offset_x
      - .offset:         152
        .size:           8
        .value_kind:     hidden_global_offset_y
      - .offset:         160
        .size:           8
        .value_kind:     hidden_global_offset_z
      - .offset:         168
        .size:           2
        .value_kind:     hidden_grid_dims
    .group_segment_fixed_size: 6272
    .kernarg_segment_align: 8
    .kernarg_segment_size: 360
    .language:       OpenCL C
    .language_version:
      - 2
      - 0
    .max_flat_workgroup_size: 28
    .name:           _ZL30rocblas_trsm_small_left_deviceILi28ELi28ELb0EddPKdPdEv13rocblas_fill_18rocblas_operation_17rocblas_diagonal_iiT3_T4_lilT5_lili
    .private_segment_fixed_size: 0
    .sgpr_count:     40
    .sgpr_spill_count: 0
    .symbol:         _ZL30rocblas_trsm_small_left_deviceILi28ELi28ELb0EddPKdPdEv13rocblas_fill_18rocblas_operation_17rocblas_diagonal_iiT3_T4_lilT5_lili.kd
    .uniform_work_group_size: 1
    .uses_dynamic_stack: false
    .vgpr_count:     82
    .vgpr_spill_count: 0
    .wavefront_size: 64
  - .args:
      - .offset:         0
        .size:           4
        .value_kind:     by_value
      - .offset:         4
        .size:           4
        .value_kind:     by_value
      - .offset:         8
        .size:           4
        .value_kind:     by_value
      - .offset:         12
        .size:           4
        .value_kind:     by_value
      - .offset:         16
        .size:           4
        .value_kind:     by_value
      - .offset:         24
        .size:           8
        .value_kind:     by_value
      - .address_space:  global
        .offset:         32
        .size:           8
        .value_kind:     global_buffer
      - .offset:         40
        .size:           8
        .value_kind:     by_value
      - .offset:         48
        .size:           4
        .value_kind:     by_value
      - .offset:         56
        .size:           8
        .value_kind:     by_value
      - .address_space:  global
        .offset:         64
        .size:           8
        .value_kind:     global_buffer
      - .offset:         72
        .size:           8
        .value_kind:     by_value
      - .offset:         80
        .size:           4
        .value_kind:     by_value
      - .offset:         88
        .size:           8
        .value_kind:     by_value
      - .offset:         96
        .size:           4
        .value_kind:     by_value
      - .offset:         104
        .size:           4
        .value_kind:     hidden_block_count_x
      - .offset:         108
        .size:           4
        .value_kind:     hidden_block_count_y
      - .offset:         112
        .size:           4
        .value_kind:     hidden_block_count_z
      - .offset:         116
        .size:           2
        .value_kind:     hidden_group_size_x
      - .offset:         118
        .size:           2
        .value_kind:     hidden_group_size_y
      - .offset:         120
        .size:           2
        .value_kind:     hidden_group_size_z
      - .offset:         122
        .size:           2
        .value_kind:     hidden_remainder_x
      - .offset:         124
        .size:           2
        .value_kind:     hidden_remainder_y
      - .offset:         126
        .size:           2
        .value_kind:     hidden_remainder_z
      - .offset:         144
        .size:           8
        .value_kind:     hidden_global_offset_x
      - .offset:         152
        .size:           8
        .value_kind:     hidden_global_offset_y
      - .offset:         160
        .size:           8
        .value_kind:     hidden_global_offset_z
      - .offset:         168
        .size:           2
        .value_kind:     hidden_grid_dims
    .group_segment_fixed_size: 12544
    .kernarg_segment_align: 8
    .kernarg_segment_size: 360
    .language:       OpenCL C
    .language_version:
      - 2
      - 0
    .max_flat_workgroup_size: 28
    .name:           _ZL38rocblas_trsm_small_left_device_sharedBILi28ELi28ELb1EddPKdPdEv13rocblas_fill_18rocblas_operation_17rocblas_diagonal_iiT3_T4_lilT5_lili
    .private_segment_fixed_size: 0
    .sgpr_count:     30
    .sgpr_spill_count: 0
    .symbol:         _ZL38rocblas_trsm_small_left_device_sharedBILi28ELi28ELb1EddPKdPdEv13rocblas_fill_18rocblas_operation_17rocblas_diagonal_iiT3_T4_lilT5_lili.kd
    .uniform_work_group_size: 1
    .uses_dynamic_stack: false
    .vgpr_count:     142
    .vgpr_spill_count: 0
    .wavefront_size: 64
  - .args:
      - .offset:         0
        .size:           4
        .value_kind:     by_value
      - .offset:         4
        .size:           4
        .value_kind:     by_value
      - .offset:         8
        .size:           4
        .value_kind:     by_value
      - .offset:         12
        .size:           4
        .value_kind:     by_value
      - .offset:         16
        .size:           4
        .value_kind:     by_value
      - .offset:         24
        .size:           8
        .value_kind:     by_value
      - .address_space:  global
        .offset:         32
        .size:           8
        .value_kind:     global_buffer
      - .offset:         40
        .size:           8
        .value_kind:     by_value
      - .offset:         48
        .size:           4
        .value_kind:     by_value
      - .offset:         56
        .size:           8
        .value_kind:     by_value
      - .address_space:  global
        .offset:         64
        .size:           8
        .value_kind:     global_buffer
      - .offset:         72
        .size:           8
        .value_kind:     by_value
      - .offset:         80
        .size:           4
        .value_kind:     by_value
      - .offset:         88
        .size:           8
        .value_kind:     by_value
      - .offset:         96
        .size:           4
        .value_kind:     by_value
      - .offset:         104
        .size:           4
        .value_kind:     hidden_block_count_x
      - .offset:         108
        .size:           4
        .value_kind:     hidden_block_count_y
      - .offset:         112
        .size:           4
        .value_kind:     hidden_block_count_z
      - .offset:         116
        .size:           2
        .value_kind:     hidden_group_size_x
      - .offset:         118
        .size:           2
        .value_kind:     hidden_group_size_y
      - .offset:         120
        .size:           2
        .value_kind:     hidden_group_size_z
      - .offset:         122
        .size:           2
        .value_kind:     hidden_remainder_x
      - .offset:         124
        .size:           2
        .value_kind:     hidden_remainder_y
      - .offset:         126
        .size:           2
        .value_kind:     hidden_remainder_z
      - .offset:         144
        .size:           8
        .value_kind:     hidden_global_offset_x
      - .offset:         152
        .size:           8
        .value_kind:     hidden_global_offset_y
      - .offset:         160
        .size:           8
        .value_kind:     hidden_global_offset_z
      - .offset:         168
        .size:           2
        .value_kind:     hidden_grid_dims
    .group_segment_fixed_size: 6272
    .kernarg_segment_align: 8
    .kernarg_segment_size: 360
    .language:       OpenCL C
    .language_version:
      - 2
      - 0
    .max_flat_workgroup_size: 28
    .name:           _ZL30rocblas_trsm_small_left_deviceILi28ELi28ELb1EddPKdPdEv13rocblas_fill_18rocblas_operation_17rocblas_diagonal_iiT3_T4_lilT5_lili
    .private_segment_fixed_size: 0
    .sgpr_count:     35
    .sgpr_spill_count: 0
    .symbol:         _ZL30rocblas_trsm_small_left_deviceILi28ELi28ELb1EddPKdPdEv13rocblas_fill_18rocblas_operation_17rocblas_diagonal_iiT3_T4_lilT5_lili.kd
    .uniform_work_group_size: 1
    .uses_dynamic_stack: false
    .vgpr_count:     128
    .vgpr_spill_count: 0
    .wavefront_size: 64
  - .args:
      - .offset:         0
        .size:           4
        .value_kind:     by_value
      - .offset:         4
        .size:           4
        .value_kind:     by_value
      - .offset:         8
        .size:           4
        .value_kind:     by_value
      - .offset:         12
        .size:           4
        .value_kind:     by_value
      - .offset:         16
        .size:           4
        .value_kind:     by_value
      - .offset:         24
        .size:           8
        .value_kind:     by_value
      - .address_space:  global
        .offset:         32
        .size:           8
        .value_kind:     global_buffer
      - .offset:         40
        .size:           8
        .value_kind:     by_value
      - .offset:         48
        .size:           4
        .value_kind:     by_value
      - .offset:         56
        .size:           8
        .value_kind:     by_value
      - .address_space:  global
        .offset:         64
        .size:           8
        .value_kind:     global_buffer
      - .offset:         72
        .size:           8
        .value_kind:     by_value
      - .offset:         80
        .size:           4
        .value_kind:     by_value
      - .offset:         88
        .size:           8
        .value_kind:     by_value
      - .offset:         96
        .size:           4
        .value_kind:     by_value
      - .offset:         104
        .size:           4
        .value_kind:     hidden_block_count_x
      - .offset:         108
        .size:           4
        .value_kind:     hidden_block_count_y
      - .offset:         112
        .size:           4
        .value_kind:     hidden_block_count_z
      - .offset:         116
        .size:           2
        .value_kind:     hidden_group_size_x
      - .offset:         118
        .size:           2
        .value_kind:     hidden_group_size_y
      - .offset:         120
        .size:           2
        .value_kind:     hidden_group_size_z
      - .offset:         122
        .size:           2
        .value_kind:     hidden_remainder_x
      - .offset:         124
        .size:           2
        .value_kind:     hidden_remainder_y
      - .offset:         126
        .size:           2
        .value_kind:     hidden_remainder_z
      - .offset:         144
        .size:           8
        .value_kind:     hidden_global_offset_x
      - .offset:         152
        .size:           8
        .value_kind:     hidden_global_offset_y
      - .offset:         160
        .size:           8
        .value_kind:     hidden_global_offset_z
      - .offset:         168
        .size:           2
        .value_kind:     hidden_grid_dims
    .group_segment_fixed_size: 12544
    .kernarg_segment_align: 8
    .kernarg_segment_size: 360
    .language:       OpenCL C
    .language_version:
      - 2
      - 0
    .max_flat_workgroup_size: 28
    .name:           _ZL31rocblas_trsm_small_right_deviceIddPKdPdLi28EEv13rocblas_fill_18rocblas_operation_17rocblas_diagonal_iiT0_T1_lilT2_lili
    .private_segment_fixed_size: 0
    .sgpr_count:     30
    .sgpr_spill_count: 0
    .symbol:         _ZL31rocblas_trsm_small_right_deviceIddPKdPdLi28EEv13rocblas_fill_18rocblas_operation_17rocblas_diagonal_iiT0_T1_lilT2_lili.kd
    .uniform_work_group_size: 1
    .uses_dynamic_stack: false
    .vgpr_count:     34
    .vgpr_spill_count: 0
    .wavefront_size: 64
  - .args:
      - .offset:         0
        .size:           4
        .value_kind:     by_value
      - .offset:         4
        .size:           4
        .value_kind:     by_value
      - .offset:         8
        .size:           4
        .value_kind:     by_value
      - .offset:         12
        .size:           4
        .value_kind:     by_value
      - .offset:         16
        .size:           4
        .value_kind:     by_value
      - .offset:         24
        .size:           8
        .value_kind:     by_value
      - .address_space:  global
        .offset:         32
        .size:           8
        .value_kind:     global_buffer
      - .offset:         40
        .size:           8
        .value_kind:     by_value
      - .offset:         48
        .size:           4
        .value_kind:     by_value
      - .offset:         56
        .size:           8
        .value_kind:     by_value
      - .address_space:  global
        .offset:         64
        .size:           8
        .value_kind:     global_buffer
      - .offset:         72
        .size:           8
        .value_kind:     by_value
      - .offset:         80
        .size:           4
        .value_kind:     by_value
      - .offset:         88
        .size:           8
        .value_kind:     by_value
      - .offset:         96
        .size:           4
        .value_kind:     by_value
      - .offset:         104
        .size:           4
        .value_kind:     hidden_block_count_x
      - .offset:         108
        .size:           4
        .value_kind:     hidden_block_count_y
      - .offset:         112
        .size:           4
        .value_kind:     hidden_block_count_z
      - .offset:         116
        .size:           2
        .value_kind:     hidden_group_size_x
      - .offset:         118
        .size:           2
        .value_kind:     hidden_group_size_y
      - .offset:         120
        .size:           2
        .value_kind:     hidden_group_size_z
      - .offset:         122
        .size:           2
        .value_kind:     hidden_remainder_x
      - .offset:         124
        .size:           2
        .value_kind:     hidden_remainder_y
      - .offset:         126
        .size:           2
        .value_kind:     hidden_remainder_z
      - .offset:         144
        .size:           8
        .value_kind:     hidden_global_offset_x
      - .offset:         152
        .size:           8
        .value_kind:     hidden_global_offset_y
      - .offset:         160
        .size:           8
        .value_kind:     hidden_global_offset_z
      - .offset:         168
        .size:           2
        .value_kind:     hidden_grid_dims
    .group_segment_fixed_size: 16384
    .kernarg_segment_align: 8
    .kernarg_segment_size: 360
    .language:       OpenCL C
    .language_version:
      - 2
      - 0
    .max_flat_workgroup_size: 32
    .name:           _ZL38rocblas_trsm_small_left_device_sharedBILi32ELi32ELb0EddPKdPdEv13rocblas_fill_18rocblas_operation_17rocblas_diagonal_iiT3_T4_lilT5_lili
    .private_segment_fixed_size: 0
    .sgpr_count:     45
    .sgpr_spill_count: 0
    .symbol:         _ZL38rocblas_trsm_small_left_device_sharedBILi32ELi32ELb0EddPKdPdEv13rocblas_fill_18rocblas_operation_17rocblas_diagonal_iiT3_T4_lilT5_lili.kd
    .uniform_work_group_size: 1
    .uses_dynamic_stack: false
    .vgpr_count:     200
    .vgpr_spill_count: 0
    .wavefront_size: 64
  - .args:
      - .offset:         0
        .size:           4
        .value_kind:     by_value
      - .offset:         4
        .size:           4
        .value_kind:     by_value
      - .offset:         8
        .size:           4
        .value_kind:     by_value
      - .offset:         12
        .size:           4
        .value_kind:     by_value
      - .offset:         16
        .size:           4
        .value_kind:     by_value
      - .offset:         24
        .size:           8
        .value_kind:     by_value
      - .address_space:  global
        .offset:         32
        .size:           8
        .value_kind:     global_buffer
      - .offset:         40
        .size:           8
        .value_kind:     by_value
      - .offset:         48
        .size:           4
        .value_kind:     by_value
      - .offset:         56
        .size:           8
        .value_kind:     by_value
      - .address_space:  global
        .offset:         64
        .size:           8
        .value_kind:     global_buffer
      - .offset:         72
        .size:           8
        .value_kind:     by_value
      - .offset:         80
        .size:           4
        .value_kind:     by_value
      - .offset:         88
        .size:           8
        .value_kind:     by_value
      - .offset:         96
        .size:           4
        .value_kind:     by_value
      - .offset:         104
        .size:           4
        .value_kind:     hidden_block_count_x
      - .offset:         108
        .size:           4
        .value_kind:     hidden_block_count_y
      - .offset:         112
        .size:           4
        .value_kind:     hidden_block_count_z
      - .offset:         116
        .size:           2
        .value_kind:     hidden_group_size_x
      - .offset:         118
        .size:           2
        .value_kind:     hidden_group_size_y
      - .offset:         120
        .size:           2
        .value_kind:     hidden_group_size_z
      - .offset:         122
        .size:           2
        .value_kind:     hidden_remainder_x
      - .offset:         124
        .size:           2
        .value_kind:     hidden_remainder_y
      - .offset:         126
        .size:           2
        .value_kind:     hidden_remainder_z
      - .offset:         144
        .size:           8
        .value_kind:     hidden_global_offset_x
      - .offset:         152
        .size:           8
        .value_kind:     hidden_global_offset_y
      - .offset:         160
        .size:           8
        .value_kind:     hidden_global_offset_z
      - .offset:         168
        .size:           2
        .value_kind:     hidden_grid_dims
    .group_segment_fixed_size: 8192
    .kernarg_segment_align: 8
    .kernarg_segment_size: 360
    .language:       OpenCL C
    .language_version:
      - 2
      - 0
    .max_flat_workgroup_size: 32
    .name:           _ZL30rocblas_trsm_small_left_deviceILi32ELi32ELb0EddPKdPdEv13rocblas_fill_18rocblas_operation_17rocblas_diagonal_iiT3_T4_lilT5_lili
    .private_segment_fixed_size: 0
    .sgpr_count:     44
    .sgpr_spill_count: 0
    .symbol:         _ZL30rocblas_trsm_small_left_deviceILi32ELi32ELb0EddPKdPdEv13rocblas_fill_18rocblas_operation_17rocblas_diagonal_iiT3_T4_lilT5_lili.kd
    .uniform_work_group_size: 1
    .uses_dynamic_stack: false
    .vgpr_count:     128
    .vgpr_spill_count: 0
    .wavefront_size: 64
  - .args:
      - .offset:         0
        .size:           4
        .value_kind:     by_value
      - .offset:         4
        .size:           4
        .value_kind:     by_value
      - .offset:         8
        .size:           4
        .value_kind:     by_value
      - .offset:         12
        .size:           4
        .value_kind:     by_value
      - .offset:         16
        .size:           4
        .value_kind:     by_value
      - .offset:         24
        .size:           8
        .value_kind:     by_value
      - .address_space:  global
        .offset:         32
        .size:           8
        .value_kind:     global_buffer
      - .offset:         40
        .size:           8
        .value_kind:     by_value
      - .offset:         48
        .size:           4
        .value_kind:     by_value
      - .offset:         56
        .size:           8
        .value_kind:     by_value
      - .address_space:  global
        .offset:         64
        .size:           8
        .value_kind:     global_buffer
      - .offset:         72
        .size:           8
        .value_kind:     by_value
      - .offset:         80
        .size:           4
        .value_kind:     by_value
      - .offset:         88
        .size:           8
        .value_kind:     by_value
      - .offset:         96
        .size:           4
        .value_kind:     by_value
      - .offset:         104
        .size:           4
        .value_kind:     hidden_block_count_x
      - .offset:         108
        .size:           4
        .value_kind:     hidden_block_count_y
      - .offset:         112
        .size:           4
        .value_kind:     hidden_block_count_z
      - .offset:         116
        .size:           2
        .value_kind:     hidden_group_size_x
      - .offset:         118
        .size:           2
        .value_kind:     hidden_group_size_y
      - .offset:         120
        .size:           2
        .value_kind:     hidden_group_size_z
      - .offset:         122
        .size:           2
        .value_kind:     hidden_remainder_x
      - .offset:         124
        .size:           2
        .value_kind:     hidden_remainder_y
      - .offset:         126
        .size:           2
        .value_kind:     hidden_remainder_z
      - .offset:         144
        .size:           8
        .value_kind:     hidden_global_offset_x
      - .offset:         152
        .size:           8
        .value_kind:     hidden_global_offset_y
      - .offset:         160
        .size:           8
        .value_kind:     hidden_global_offset_z
      - .offset:         168
        .size:           2
        .value_kind:     hidden_grid_dims
    .group_segment_fixed_size: 16384
    .kernarg_segment_align: 8
    .kernarg_segment_size: 360
    .language:       OpenCL C
    .language_version:
      - 2
      - 0
    .max_flat_workgroup_size: 32
    .name:           _ZL38rocblas_trsm_small_left_device_sharedBILi32ELi32ELb1EddPKdPdEv13rocblas_fill_18rocblas_operation_17rocblas_diagonal_iiT3_T4_lilT5_lili
    .private_segment_fixed_size: 0
    .sgpr_count:     52
    .sgpr_spill_count: 0
    .symbol:         _ZL38rocblas_trsm_small_left_device_sharedBILi32ELi32ELb1EddPKdPdEv13rocblas_fill_18rocblas_operation_17rocblas_diagonal_iiT3_T4_lilT5_lili.kd
    .uniform_work_group_size: 1
    .uses_dynamic_stack: false
    .vgpr_count:     203
    .vgpr_spill_count: 0
    .wavefront_size: 64
  - .args:
      - .offset:         0
        .size:           4
        .value_kind:     by_value
      - .offset:         4
        .size:           4
        .value_kind:     by_value
      - .offset:         8
        .size:           4
        .value_kind:     by_value
      - .offset:         12
        .size:           4
        .value_kind:     by_value
      - .offset:         16
        .size:           4
        .value_kind:     by_value
      - .offset:         24
        .size:           8
        .value_kind:     by_value
      - .address_space:  global
        .offset:         32
        .size:           8
        .value_kind:     global_buffer
      - .offset:         40
        .size:           8
        .value_kind:     by_value
      - .offset:         48
        .size:           4
        .value_kind:     by_value
      - .offset:         56
        .size:           8
        .value_kind:     by_value
      - .address_space:  global
        .offset:         64
        .size:           8
        .value_kind:     global_buffer
      - .offset:         72
        .size:           8
        .value_kind:     by_value
      - .offset:         80
        .size:           4
        .value_kind:     by_value
      - .offset:         88
        .size:           8
        .value_kind:     by_value
      - .offset:         96
        .size:           4
        .value_kind:     by_value
      - .offset:         104
        .size:           4
        .value_kind:     hidden_block_count_x
      - .offset:         108
        .size:           4
        .value_kind:     hidden_block_count_y
      - .offset:         112
        .size:           4
        .value_kind:     hidden_block_count_z
      - .offset:         116
        .size:           2
        .value_kind:     hidden_group_size_x
      - .offset:         118
        .size:           2
        .value_kind:     hidden_group_size_y
      - .offset:         120
        .size:           2
        .value_kind:     hidden_group_size_z
      - .offset:         122
        .size:           2
        .value_kind:     hidden_remainder_x
      - .offset:         124
        .size:           2
        .value_kind:     hidden_remainder_y
      - .offset:         126
        .size:           2
        .value_kind:     hidden_remainder_z
      - .offset:         144
        .size:           8
        .value_kind:     hidden_global_offset_x
      - .offset:         152
        .size:           8
        .value_kind:     hidden_global_offset_y
      - .offset:         160
        .size:           8
        .value_kind:     hidden_global_offset_z
      - .offset:         168
        .size:           2
        .value_kind:     hidden_grid_dims
    .group_segment_fixed_size: 8192
    .kernarg_segment_align: 8
    .kernarg_segment_size: 360
    .language:       OpenCL C
    .language_version:
      - 2
      - 0
    .max_flat_workgroup_size: 32
    .name:           _ZL30rocblas_trsm_small_left_deviceILi32ELi32ELb1EddPKdPdEv13rocblas_fill_18rocblas_operation_17rocblas_diagonal_iiT3_T4_lilT5_lili
    .private_segment_fixed_size: 0
    .sgpr_count:     46
    .sgpr_spill_count: 0
    .symbol:         _ZL30rocblas_trsm_small_left_deviceILi32ELi32ELb1EddPKdPdEv13rocblas_fill_18rocblas_operation_17rocblas_diagonal_iiT3_T4_lilT5_lili.kd
    .uniform_work_group_size: 1
    .uses_dynamic_stack: false
    .vgpr_count:     161
    .vgpr_spill_count: 0
    .wavefront_size: 64
  - .args:
      - .offset:         0
        .size:           4
        .value_kind:     by_value
      - .offset:         4
        .size:           4
        .value_kind:     by_value
      - .offset:         8
        .size:           4
        .value_kind:     by_value
      - .offset:         12
        .size:           4
        .value_kind:     by_value
      - .offset:         16
        .size:           4
        .value_kind:     by_value
      - .offset:         24
        .size:           8
        .value_kind:     by_value
      - .address_space:  global
        .offset:         32
        .size:           8
        .value_kind:     global_buffer
      - .offset:         40
        .size:           8
        .value_kind:     by_value
      - .offset:         48
        .size:           4
        .value_kind:     by_value
      - .offset:         56
        .size:           8
        .value_kind:     by_value
      - .address_space:  global
        .offset:         64
        .size:           8
        .value_kind:     global_buffer
      - .offset:         72
        .size:           8
        .value_kind:     by_value
      - .offset:         80
        .size:           4
        .value_kind:     by_value
      - .offset:         88
        .size:           8
        .value_kind:     by_value
      - .offset:         96
        .size:           4
        .value_kind:     by_value
      - .offset:         104
        .size:           4
        .value_kind:     hidden_block_count_x
      - .offset:         108
        .size:           4
        .value_kind:     hidden_block_count_y
      - .offset:         112
        .size:           4
        .value_kind:     hidden_block_count_z
      - .offset:         116
        .size:           2
        .value_kind:     hidden_group_size_x
      - .offset:         118
        .size:           2
        .value_kind:     hidden_group_size_y
      - .offset:         120
        .size:           2
        .value_kind:     hidden_group_size_z
      - .offset:         122
        .size:           2
        .value_kind:     hidden_remainder_x
      - .offset:         124
        .size:           2
        .value_kind:     hidden_remainder_y
      - .offset:         126
        .size:           2
        .value_kind:     hidden_remainder_z
      - .offset:         144
        .size:           8
        .value_kind:     hidden_global_offset_x
      - .offset:         152
        .size:           8
        .value_kind:     hidden_global_offset_y
      - .offset:         160
        .size:           8
        .value_kind:     hidden_global_offset_z
      - .offset:         168
        .size:           2
        .value_kind:     hidden_grid_dims
    .group_segment_fixed_size: 16384
    .kernarg_segment_align: 8
    .kernarg_segment_size: 360
    .language:       OpenCL C
    .language_version:
      - 2
      - 0
    .max_flat_workgroup_size: 32
    .name:           _ZL31rocblas_trsm_small_right_deviceIddPKdPdLi32EEv13rocblas_fill_18rocblas_operation_17rocblas_diagonal_iiT0_T1_lilT2_lili
    .private_segment_fixed_size: 0
    .sgpr_count:     30
    .sgpr_spill_count: 0
    .symbol:         _ZL31rocblas_trsm_small_right_deviceIddPKdPdLi32EEv13rocblas_fill_18rocblas_operation_17rocblas_diagonal_iiT0_T1_lilT2_lili.kd
    .uniform_work_group_size: 1
    .uses_dynamic_stack: false
    .vgpr_count:     36
    .vgpr_spill_count: 0
    .wavefront_size: 64
  - .args:
      - .offset:         0
        .size:           4
        .value_kind:     by_value
      - .offset:         4
        .size:           4
        .value_kind:     by_value
      - .offset:         8
        .size:           4
        .value_kind:     by_value
      - .offset:         12
        .size:           4
        .value_kind:     by_value
      - .offset:         16
        .size:           4
        .value_kind:     by_value
      - .offset:         24
        .size:           8
        .value_kind:     by_value
      - .address_space:  global
        .offset:         32
        .size:           8
        .value_kind:     global_buffer
      - .offset:         40
        .size:           8
        .value_kind:     by_value
      - .offset:         48
        .size:           4
        .value_kind:     by_value
      - .offset:         56
        .size:           8
        .value_kind:     by_value
      - .address_space:  global
        .offset:         64
        .size:           8
        .value_kind:     global_buffer
      - .offset:         72
        .size:           8
        .value_kind:     by_value
      - .offset:         80
        .size:           4
        .value_kind:     by_value
      - .offset:         88
        .size:           8
        .value_kind:     by_value
      - .offset:         96
        .size:           4
        .value_kind:     by_value
      - .offset:         104
        .size:           4
        .value_kind:     hidden_block_count_x
      - .offset:         108
        .size:           4
        .value_kind:     hidden_block_count_y
      - .offset:         112
        .size:           4
        .value_kind:     hidden_block_count_z
      - .offset:         116
        .size:           2
        .value_kind:     hidden_group_size_x
      - .offset:         118
        .size:           2
        .value_kind:     hidden_group_size_y
      - .offset:         120
        .size:           2
        .value_kind:     hidden_group_size_z
      - .offset:         122
        .size:           2
        .value_kind:     hidden_remainder_x
      - .offset:         124
        .size:           2
        .value_kind:     hidden_remainder_y
      - .offset:         126
        .size:           2
        .value_kind:     hidden_remainder_z
      - .offset:         144
        .size:           8
        .value_kind:     hidden_global_offset_x
      - .offset:         152
        .size:           8
        .value_kind:     hidden_global_offset_y
      - .offset:         160
        .size:           8
        .value_kind:     hidden_global_offset_z
      - .offset:         168
        .size:           2
        .value_kind:     hidden_grid_dims
    .group_segment_fixed_size: 65536
    .kernarg_segment_align: 8
    .kernarg_segment_size: 360
    .language:       OpenCL C
    .language_version:
      - 2
      - 0
    .max_flat_workgroup_size: 64
    .name:           _ZL38rocblas_trsm_small_left_device_sharedBILi64ELi32ELb0EddPKdPdEv13rocblas_fill_18rocblas_operation_17rocblas_diagonal_iiT3_T4_lilT5_lili
    .private_segment_fixed_size: 0
    .sgpr_count:     50
    .sgpr_spill_count: 0
    .symbol:         _ZL38rocblas_trsm_small_left_device_sharedBILi64ELi32ELb0EddPKdPdEv13rocblas_fill_18rocblas_operation_17rocblas_diagonal_iiT3_T4_lilT5_lili.kd
    .uniform_work_group_size: 1
    .uses_dynamic_stack: false
    .vgpr_count:     135
    .vgpr_spill_count: 0
    .wavefront_size: 64
  - .args:
      - .offset:         0
        .size:           4
        .value_kind:     by_value
      - .offset:         4
        .size:           4
        .value_kind:     by_value
      - .offset:         8
        .size:           4
        .value_kind:     by_value
      - .offset:         12
        .size:           4
        .value_kind:     by_value
      - .offset:         16
        .size:           4
        .value_kind:     by_value
      - .offset:         24
        .size:           8
        .value_kind:     by_value
      - .address_space:  global
        .offset:         32
        .size:           8
        .value_kind:     global_buffer
      - .offset:         40
        .size:           8
        .value_kind:     by_value
      - .offset:         48
        .size:           4
        .value_kind:     by_value
      - .offset:         56
        .size:           8
        .value_kind:     by_value
      - .address_space:  global
        .offset:         64
        .size:           8
        .value_kind:     global_buffer
      - .offset:         72
        .size:           8
        .value_kind:     by_value
      - .offset:         80
        .size:           4
        .value_kind:     by_value
      - .offset:         88
        .size:           8
        .value_kind:     by_value
      - .offset:         96
        .size:           4
        .value_kind:     by_value
      - .offset:         104
        .size:           4
        .value_kind:     hidden_block_count_x
      - .offset:         108
        .size:           4
        .value_kind:     hidden_block_count_y
      - .offset:         112
        .size:           4
        .value_kind:     hidden_block_count_z
      - .offset:         116
        .size:           2
        .value_kind:     hidden_group_size_x
      - .offset:         118
        .size:           2
        .value_kind:     hidden_group_size_y
      - .offset:         120
        .size:           2
        .value_kind:     hidden_group_size_z
      - .offset:         122
        .size:           2
        .value_kind:     hidden_remainder_x
      - .offset:         124
        .size:           2
        .value_kind:     hidden_remainder_y
      - .offset:         126
        .size:           2
        .value_kind:     hidden_remainder_z
      - .offset:         144
        .size:           8
        .value_kind:     hidden_global_offset_x
      - .offset:         152
        .size:           8
        .value_kind:     hidden_global_offset_y
      - .offset:         160
        .size:           8
        .value_kind:     hidden_global_offset_z
      - .offset:         168
        .size:           2
        .value_kind:     hidden_grid_dims
    .group_segment_fixed_size: 32768
    .kernarg_segment_align: 8
    .kernarg_segment_size: 360
    .language:       OpenCL C
    .language_version:
      - 2
      - 0
    .max_flat_workgroup_size: 64
    .name:           _ZL30rocblas_trsm_small_left_deviceILi64ELi32ELb0EddPKdPdEv13rocblas_fill_18rocblas_operation_17rocblas_diagonal_iiT3_T4_lilT5_lili
    .private_segment_fixed_size: 0
    .sgpr_count:     48
    .sgpr_spill_count: 0
    .symbol:         _ZL30rocblas_trsm_small_left_deviceILi64ELi32ELb0EddPKdPdEv13rocblas_fill_18rocblas_operation_17rocblas_diagonal_iiT3_T4_lilT5_lili.kd
    .uniform_work_group_size: 1
    .uses_dynamic_stack: false
    .vgpr_count:     184
    .vgpr_spill_count: 0
    .wavefront_size: 64
  - .args:
      - .offset:         0
        .size:           4
        .value_kind:     by_value
      - .offset:         4
        .size:           4
        .value_kind:     by_value
      - .offset:         8
        .size:           4
        .value_kind:     by_value
      - .offset:         12
        .size:           4
        .value_kind:     by_value
      - .offset:         16
        .size:           4
        .value_kind:     by_value
      - .offset:         24
        .size:           8
        .value_kind:     by_value
      - .address_space:  global
        .offset:         32
        .size:           8
        .value_kind:     global_buffer
      - .offset:         40
        .size:           8
        .value_kind:     by_value
      - .offset:         48
        .size:           4
        .value_kind:     by_value
      - .offset:         56
        .size:           8
        .value_kind:     by_value
      - .address_space:  global
        .offset:         64
        .size:           8
        .value_kind:     global_buffer
      - .offset:         72
        .size:           8
        .value_kind:     by_value
      - .offset:         80
        .size:           4
        .value_kind:     by_value
      - .offset:         88
        .size:           8
        .value_kind:     by_value
      - .offset:         96
        .size:           4
        .value_kind:     by_value
      - .offset:         104
        .size:           4
        .value_kind:     hidden_block_count_x
      - .offset:         108
        .size:           4
        .value_kind:     hidden_block_count_y
      - .offset:         112
        .size:           4
        .value_kind:     hidden_block_count_z
      - .offset:         116
        .size:           2
        .value_kind:     hidden_group_size_x
      - .offset:         118
        .size:           2
        .value_kind:     hidden_group_size_y
      - .offset:         120
        .size:           2
        .value_kind:     hidden_group_size_z
      - .offset:         122
        .size:           2
        .value_kind:     hidden_remainder_x
      - .offset:         124
        .size:           2
        .value_kind:     hidden_remainder_y
      - .offset:         126
        .size:           2
        .value_kind:     hidden_remainder_z
      - .offset:         144
        .size:           8
        .value_kind:     hidden_global_offset_x
      - .offset:         152
        .size:           8
        .value_kind:     hidden_global_offset_y
      - .offset:         160
        .size:           8
        .value_kind:     hidden_global_offset_z
      - .offset:         168
        .size:           2
        .value_kind:     hidden_grid_dims
    .group_segment_fixed_size: 65536
    .kernarg_segment_align: 8
    .kernarg_segment_size: 360
    .language:       OpenCL C
    .language_version:
      - 2
      - 0
    .max_flat_workgroup_size: 64
    .name:           _ZL38rocblas_trsm_small_left_device_sharedBILi64ELi32ELb1EddPKdPdEv13rocblas_fill_18rocblas_operation_17rocblas_diagonal_iiT3_T4_lilT5_lili
    .private_segment_fixed_size: 0
    .sgpr_count:     55
    .sgpr_spill_count: 0
    .symbol:         _ZL38rocblas_trsm_small_left_device_sharedBILi64ELi32ELb1EddPKdPdEv13rocblas_fill_18rocblas_operation_17rocblas_diagonal_iiT3_T4_lilT5_lili.kd
    .uniform_work_group_size: 1
    .uses_dynamic_stack: false
    .vgpr_count:     236
    .vgpr_spill_count: 0
    .wavefront_size: 64
  - .args:
      - .offset:         0
        .size:           4
        .value_kind:     by_value
      - .offset:         4
        .size:           4
        .value_kind:     by_value
      - .offset:         8
        .size:           4
        .value_kind:     by_value
      - .offset:         12
        .size:           4
        .value_kind:     by_value
      - .offset:         16
        .size:           4
        .value_kind:     by_value
      - .offset:         24
        .size:           8
        .value_kind:     by_value
      - .address_space:  global
        .offset:         32
        .size:           8
        .value_kind:     global_buffer
      - .offset:         40
        .size:           8
        .value_kind:     by_value
      - .offset:         48
        .size:           4
        .value_kind:     by_value
      - .offset:         56
        .size:           8
        .value_kind:     by_value
      - .address_space:  global
        .offset:         64
        .size:           8
        .value_kind:     global_buffer
      - .offset:         72
        .size:           8
        .value_kind:     by_value
      - .offset:         80
        .size:           4
        .value_kind:     by_value
      - .offset:         88
        .size:           8
        .value_kind:     by_value
      - .offset:         96
        .size:           4
        .value_kind:     by_value
      - .offset:         104
        .size:           4
        .value_kind:     hidden_block_count_x
      - .offset:         108
        .size:           4
        .value_kind:     hidden_block_count_y
      - .offset:         112
        .size:           4
        .value_kind:     hidden_block_count_z
      - .offset:         116
        .size:           2
        .value_kind:     hidden_group_size_x
      - .offset:         118
        .size:           2
        .value_kind:     hidden_group_size_y
      - .offset:         120
        .size:           2
        .value_kind:     hidden_group_size_z
      - .offset:         122
        .size:           2
        .value_kind:     hidden_remainder_x
      - .offset:         124
        .size:           2
        .value_kind:     hidden_remainder_y
      - .offset:         126
        .size:           2
        .value_kind:     hidden_remainder_z
      - .offset:         144
        .size:           8
        .value_kind:     hidden_global_offset_x
      - .offset:         152
        .size:           8
        .value_kind:     hidden_global_offset_y
      - .offset:         160
        .size:           8
        .value_kind:     hidden_global_offset_z
      - .offset:         168
        .size:           2
        .value_kind:     hidden_grid_dims
    .group_segment_fixed_size: 32768
    .kernarg_segment_align: 8
    .kernarg_segment_size: 360
    .language:       OpenCL C
    .language_version:
      - 2
      - 0
    .max_flat_workgroup_size: 64
    .name:           _ZL30rocblas_trsm_small_left_deviceILi64ELi32ELb1EddPKdPdEv13rocblas_fill_18rocblas_operation_17rocblas_diagonal_iiT3_T4_lilT5_lili
    .private_segment_fixed_size: 0
    .sgpr_count:     42
    .sgpr_spill_count: 0
    .symbol:         _ZL30rocblas_trsm_small_left_deviceILi64ELi32ELb1EddPKdPdEv13rocblas_fill_18rocblas_operation_17rocblas_diagonal_iiT3_T4_lilT5_lili.kd
    .uniform_work_group_size: 1
    .uses_dynamic_stack: false
    .vgpr_count:     195
    .vgpr_spill_count: 0
    .wavefront_size: 64
  - .args:
      - .offset:         0
        .size:           4
        .value_kind:     by_value
      - .offset:         4
        .size:           4
        .value_kind:     by_value
      - .offset:         8
        .size:           4
        .value_kind:     by_value
      - .offset:         12
        .size:           4
        .value_kind:     by_value
      - .offset:         16
        .size:           4
        .value_kind:     by_value
      - .offset:         24
        .size:           8
        .value_kind:     by_value
      - .address_space:  global
        .offset:         32
        .size:           8
        .value_kind:     global_buffer
      - .offset:         40
        .size:           8
        .value_kind:     by_value
      - .offset:         48
        .size:           4
        .value_kind:     by_value
      - .offset:         56
        .size:           8
        .value_kind:     by_value
      - .address_space:  global
        .offset:         64
        .size:           8
        .value_kind:     global_buffer
      - .offset:         72
        .size:           8
        .value_kind:     by_value
      - .offset:         80
        .size:           4
        .value_kind:     by_value
      - .offset:         88
        .size:           8
        .value_kind:     by_value
      - .offset:         96
        .size:           4
        .value_kind:     by_value
      - .offset:         104
        .size:           4
        .value_kind:     hidden_block_count_x
      - .offset:         108
        .size:           4
        .value_kind:     hidden_block_count_y
      - .offset:         112
        .size:           4
        .value_kind:     hidden_block_count_z
      - .offset:         116
        .size:           2
        .value_kind:     hidden_group_size_x
      - .offset:         118
        .size:           2
        .value_kind:     hidden_group_size_y
      - .offset:         120
        .size:           2
        .value_kind:     hidden_group_size_z
      - .offset:         122
        .size:           2
        .value_kind:     hidden_remainder_x
      - .offset:         124
        .size:           2
        .value_kind:     hidden_remainder_y
      - .offset:         126
        .size:           2
        .value_kind:     hidden_remainder_z
      - .offset:         144
        .size:           8
        .value_kind:     hidden_global_offset_x
      - .offset:         152
        .size:           8
        .value_kind:     hidden_global_offset_y
      - .offset:         160
        .size:           8
        .value_kind:     hidden_global_offset_z
      - .offset:         168
        .size:           2
        .value_kind:     hidden_grid_dims
    .group_segment_fixed_size: 65536
    .kernarg_segment_align: 8
    .kernarg_segment_size: 360
    .language:       OpenCL C
    .language_version:
      - 2
      - 0
    .max_flat_workgroup_size: 64
    .name:           _ZL31rocblas_trsm_small_right_deviceIddPKdPdLi64EEv13rocblas_fill_18rocblas_operation_17rocblas_diagonal_iiT0_T1_lilT2_lili
    .private_segment_fixed_size: 0
    .sgpr_count:     30
    .sgpr_spill_count: 0
    .symbol:         _ZL31rocblas_trsm_small_right_deviceIddPKdPdLi64EEv13rocblas_fill_18rocblas_operation_17rocblas_diagonal_iiT0_T1_lilT2_lili.kd
    .uniform_work_group_size: 1
    .uses_dynamic_stack: false
    .vgpr_count:     36
    .vgpr_spill_count: 0
    .wavefront_size: 64
  - .args:
      - .offset:         0
        .size:           4
        .value_kind:     by_value
      - .offset:         8
        .size:           8
        .value_kind:     by_value
      - .offset:         16
        .size:           8
        .value_kind:     by_value
      - .offset:         24
        .size:           8
        .value_kind:     by_value
      - .address_space:  global
        .offset:         32
        .size:           8
        .value_kind:     global_buffer
      - .offset:         40
        .size:           8
        .value_kind:     by_value
      - .offset:         48
        .size:           8
        .value_kind:     by_value
      - .offset:         56
        .size:           8
        .value_kind:     by_value
      - .address_space:  global
        .offset:         64
        .size:           8
        .value_kind:     global_buffer
      - .offset:         72
        .size:           8
        .value_kind:     by_value
      - .offset:         80
        .size:           8
        .value_kind:     by_value
      - .offset:         88
        .size:           8
        .value_kind:     by_value
      - .offset:         96
        .size:           4
        .value_kind:     by_value
      - .offset:         100
        .size:           1
        .value_kind:     by_value
      - .offset:         104
        .size:           4
        .value_kind:     hidden_block_count_x
      - .offset:         108
        .size:           4
        .value_kind:     hidden_block_count_y
      - .offset:         112
        .size:           4
        .value_kind:     hidden_block_count_z
      - .offset:         116
        .size:           2
        .value_kind:     hidden_group_size_x
      - .offset:         118
        .size:           2
        .value_kind:     hidden_group_size_y
      - .offset:         120
        .size:           2
        .value_kind:     hidden_group_size_z
      - .offset:         122
        .size:           2
        .value_kind:     hidden_remainder_x
      - .offset:         124
        .size:           2
        .value_kind:     hidden_remainder_y
      - .offset:         126
        .size:           2
        .value_kind:     hidden_remainder_z
      - .offset:         144
        .size:           8
        .value_kind:     hidden_global_offset_x
      - .offset:         152
        .size:           8
        .value_kind:     hidden_global_offset_y
      - .offset:         160
        .size:           8
        .value_kind:     hidden_global_offset_z
      - .offset:         168
        .size:           2
        .value_kind:     hidden_grid_dims
      - .offset:         224
        .size:           4
        .value_kind:     hidden_dynamic_lds_size
    .group_segment_fixed_size: 0
    .kernarg_segment_align: 8
    .kernarg_segment_size: 360
    .language:       OpenCL C
    .language_version:
      - 2
      - 0
    .max_flat_workgroup_size: 1024
    .name:           _ZL39rocblas_trsm_block_forward_substitutionIddPKdPdLb0ELb0ELb0EEv18rocblas_operation_llT0_T1_lllT2_lllib
    .private_segment_fixed_size: 0
    .sgpr_count:     40
    .sgpr_spill_count: 0
    .symbol:         _ZL39rocblas_trsm_block_forward_substitutionIddPKdPdLb0ELb0ELb0EEv18rocblas_operation_llT0_T1_lllT2_lllib.kd
    .uniform_work_group_size: 1
    .uses_dynamic_stack: false
    .vgpr_count:     21
    .vgpr_spill_count: 0
    .wavefront_size: 64
  - .args:
      - .offset:         0
        .size:           4
        .value_kind:     by_value
      - .offset:         8
        .size:           8
        .value_kind:     by_value
      - .offset:         16
        .size:           8
        .value_kind:     by_value
      - .offset:         24
        .size:           8
        .value_kind:     by_value
      - .address_space:  global
        .offset:         32
        .size:           8
        .value_kind:     global_buffer
      - .offset:         40
        .size:           8
        .value_kind:     by_value
      - .offset:         48
        .size:           8
        .value_kind:     by_value
      - .offset:         56
        .size:           8
        .value_kind:     by_value
      - .address_space:  global
        .offset:         64
        .size:           8
        .value_kind:     global_buffer
      - .offset:         72
        .size:           8
        .value_kind:     by_value
      - .offset:         80
        .size:           8
        .value_kind:     by_value
      - .offset:         88
        .size:           8
        .value_kind:     by_value
      - .offset:         96
        .size:           4
        .value_kind:     by_value
      - .offset:         100
        .size:           1
        .value_kind:     by_value
      - .offset:         104
        .size:           4
        .value_kind:     hidden_block_count_x
      - .offset:         108
        .size:           4
        .value_kind:     hidden_block_count_y
      - .offset:         112
        .size:           4
        .value_kind:     hidden_block_count_z
      - .offset:         116
        .size:           2
        .value_kind:     hidden_group_size_x
      - .offset:         118
        .size:           2
        .value_kind:     hidden_group_size_y
      - .offset:         120
        .size:           2
        .value_kind:     hidden_group_size_z
      - .offset:         122
        .size:           2
        .value_kind:     hidden_remainder_x
      - .offset:         124
        .size:           2
        .value_kind:     hidden_remainder_y
      - .offset:         126
        .size:           2
        .value_kind:     hidden_remainder_z
      - .offset:         144
        .size:           8
        .value_kind:     hidden_global_offset_x
      - .offset:         152
        .size:           8
        .value_kind:     hidden_global_offset_y
      - .offset:         160
        .size:           8
        .value_kind:     hidden_global_offset_z
      - .offset:         168
        .size:           2
        .value_kind:     hidden_grid_dims
      - .offset:         224
        .size:           4
        .value_kind:     hidden_dynamic_lds_size
    .group_segment_fixed_size: 0
    .kernarg_segment_align: 8
    .kernarg_segment_size: 360
    .language:       OpenCL C
    .language_version:
      - 2
      - 0
    .max_flat_workgroup_size: 1024
    .name:           _ZL40rocblas_trsm_block_backward_substitutionIddPKdPdLb0ELb0ELb0EEv18rocblas_operation_llT0_T1_lllT2_lllib
    .private_segment_fixed_size: 0
    .sgpr_count:     44
    .sgpr_spill_count: 0
    .symbol:         _ZL40rocblas_trsm_block_backward_substitutionIddPKdPdLb0ELb0ELb0EEv18rocblas_operation_llT0_T1_lllT2_lllib.kd
    .uniform_work_group_size: 1
    .uses_dynamic_stack: false
    .vgpr_count:     21
    .vgpr_spill_count: 0
    .wavefront_size: 64
  - .args:
      - .offset:         0
        .size:           4
        .value_kind:     by_value
      - .offset:         8
        .size:           8
        .value_kind:     by_value
      - .offset:         16
        .size:           8
        .value_kind:     by_value
      - .offset:         24
        .size:           8
        .value_kind:     by_value
      - .address_space:  global
        .offset:         32
        .size:           8
        .value_kind:     global_buffer
      - .offset:         40
        .size:           8
        .value_kind:     by_value
      - .offset:         48
        .size:           8
        .value_kind:     by_value
      - .offset:         56
        .size:           8
        .value_kind:     by_value
      - .address_space:  global
        .offset:         64
        .size:           8
        .value_kind:     global_buffer
      - .offset:         72
        .size:           8
        .value_kind:     by_value
      - .offset:         80
        .size:           8
        .value_kind:     by_value
      - .offset:         88
        .size:           8
        .value_kind:     by_value
      - .offset:         96
        .size:           4
        .value_kind:     by_value
      - .offset:         100
        .size:           1
        .value_kind:     by_value
      - .offset:         104
        .size:           4
        .value_kind:     hidden_block_count_x
      - .offset:         108
        .size:           4
        .value_kind:     hidden_block_count_y
      - .offset:         112
        .size:           4
        .value_kind:     hidden_block_count_z
      - .offset:         116
        .size:           2
        .value_kind:     hidden_group_size_x
      - .offset:         118
        .size:           2
        .value_kind:     hidden_group_size_y
      - .offset:         120
        .size:           2
        .value_kind:     hidden_group_size_z
      - .offset:         122
        .size:           2
        .value_kind:     hidden_remainder_x
      - .offset:         124
        .size:           2
        .value_kind:     hidden_remainder_y
      - .offset:         126
        .size:           2
        .value_kind:     hidden_remainder_z
      - .offset:         144
        .size:           8
        .value_kind:     hidden_global_offset_x
      - .offset:         152
        .size:           8
        .value_kind:     hidden_global_offset_y
      - .offset:         160
        .size:           8
        .value_kind:     hidden_global_offset_z
      - .offset:         168
        .size:           2
        .value_kind:     hidden_grid_dims
      - .offset:         224
        .size:           4
        .value_kind:     hidden_dynamic_lds_size
    .group_segment_fixed_size: 0
    .kernarg_segment_align: 8
    .kernarg_segment_size: 360
    .language:       OpenCL C
    .language_version:
      - 2
      - 0
    .max_flat_workgroup_size: 1024
    .name:           _ZL39rocblas_trsm_block_forward_substitutionIddPKdPdLb0ELb0ELb1EEv18rocblas_operation_llT0_T1_lllT2_lllib
    .private_segment_fixed_size: 0
    .sgpr_count:     36
    .sgpr_spill_count: 0
    .symbol:         _ZL39rocblas_trsm_block_forward_substitutionIddPKdPdLb0ELb0ELb1EEv18rocblas_operation_llT0_T1_lllT2_lllib.kd
    .uniform_work_group_size: 1
    .uses_dynamic_stack: false
    .vgpr_count:     14
    .vgpr_spill_count: 0
    .wavefront_size: 64
  - .args:
      - .offset:         0
        .size:           4
        .value_kind:     by_value
      - .offset:         8
        .size:           8
        .value_kind:     by_value
      - .offset:         16
        .size:           8
        .value_kind:     by_value
      - .offset:         24
        .size:           8
        .value_kind:     by_value
      - .address_space:  global
        .offset:         32
        .size:           8
        .value_kind:     global_buffer
      - .offset:         40
        .size:           8
        .value_kind:     by_value
      - .offset:         48
        .size:           8
        .value_kind:     by_value
      - .offset:         56
        .size:           8
        .value_kind:     by_value
      - .address_space:  global
        .offset:         64
        .size:           8
        .value_kind:     global_buffer
      - .offset:         72
        .size:           8
        .value_kind:     by_value
      - .offset:         80
        .size:           8
        .value_kind:     by_value
      - .offset:         88
        .size:           8
        .value_kind:     by_value
      - .offset:         96
        .size:           4
        .value_kind:     by_value
      - .offset:         100
        .size:           1
        .value_kind:     by_value
      - .offset:         104
        .size:           4
        .value_kind:     hidden_block_count_x
      - .offset:         108
        .size:           4
        .value_kind:     hidden_block_count_y
      - .offset:         112
        .size:           4
        .value_kind:     hidden_block_count_z
      - .offset:         116
        .size:           2
        .value_kind:     hidden_group_size_x
      - .offset:         118
        .size:           2
        .value_kind:     hidden_group_size_y
      - .offset:         120
        .size:           2
        .value_kind:     hidden_group_size_z
      - .offset:         122
        .size:           2
        .value_kind:     hidden_remainder_x
      - .offset:         124
        .size:           2
        .value_kind:     hidden_remainder_y
      - .offset:         126
        .size:           2
        .value_kind:     hidden_remainder_z
      - .offset:         144
        .size:           8
        .value_kind:     hidden_global_offset_x
      - .offset:         152
        .size:           8
        .value_kind:     hidden_global_offset_y
      - .offset:         160
        .size:           8
        .value_kind:     hidden_global_offset_z
      - .offset:         168
        .size:           2
        .value_kind:     hidden_grid_dims
      - .offset:         224
        .size:           4
        .value_kind:     hidden_dynamic_lds_size
    .group_segment_fixed_size: 0
    .kernarg_segment_align: 8
    .kernarg_segment_size: 360
    .language:       OpenCL C
    .language_version:
      - 2
      - 0
    .max_flat_workgroup_size: 1024
    .name:           _ZL40rocblas_trsm_block_backward_substitutionIddPKdPdLb0ELb0ELb1EEv18rocblas_operation_llT0_T1_lllT2_lllib
    .private_segment_fixed_size: 0
    .sgpr_count:     32
    .sgpr_spill_count: 0
    .symbol:         _ZL40rocblas_trsm_block_backward_substitutionIddPKdPdLb0ELb0ELb1EEv18rocblas_operation_llT0_T1_lllT2_lllib.kd
    .uniform_work_group_size: 1
    .uses_dynamic_stack: false
    .vgpr_count:     13
    .vgpr_spill_count: 0
    .wavefront_size: 64
  - .args:
      - .offset:         0
        .size:           4
        .value_kind:     by_value
      - .offset:         8
        .size:           8
        .value_kind:     by_value
      - .offset:         16
        .size:           8
        .value_kind:     by_value
      - .offset:         24
        .size:           8
        .value_kind:     by_value
      - .address_space:  global
        .offset:         32
        .size:           8
        .value_kind:     global_buffer
      - .offset:         40
        .size:           8
        .value_kind:     by_value
      - .offset:         48
        .size:           8
        .value_kind:     by_value
      - .offset:         56
        .size:           8
        .value_kind:     by_value
      - .address_space:  global
        .offset:         64
        .size:           8
        .value_kind:     global_buffer
      - .offset:         72
        .size:           8
        .value_kind:     by_value
      - .offset:         80
        .size:           8
        .value_kind:     by_value
      - .offset:         88
        .size:           8
        .value_kind:     by_value
      - .offset:         96
        .size:           4
        .value_kind:     by_value
      - .offset:         100
        .size:           1
        .value_kind:     by_value
      - .offset:         104
        .size:           4
        .value_kind:     hidden_block_count_x
      - .offset:         108
        .size:           4
        .value_kind:     hidden_block_count_y
      - .offset:         112
        .size:           4
        .value_kind:     hidden_block_count_z
      - .offset:         116
        .size:           2
        .value_kind:     hidden_group_size_x
      - .offset:         118
        .size:           2
        .value_kind:     hidden_group_size_y
      - .offset:         120
        .size:           2
        .value_kind:     hidden_group_size_z
      - .offset:         122
        .size:           2
        .value_kind:     hidden_remainder_x
      - .offset:         124
        .size:           2
        .value_kind:     hidden_remainder_y
      - .offset:         126
        .size:           2
        .value_kind:     hidden_remainder_z
      - .offset:         144
        .size:           8
        .value_kind:     hidden_global_offset_x
      - .offset:         152
        .size:           8
        .value_kind:     hidden_global_offset_y
      - .offset:         160
        .size:           8
        .value_kind:     hidden_global_offset_z
      - .offset:         168
        .size:           2
        .value_kind:     hidden_grid_dims
      - .offset:         224
        .size:           4
        .value_kind:     hidden_dynamic_lds_size
    .group_segment_fixed_size: 0
    .kernarg_segment_align: 8
    .kernarg_segment_size: 360
    .language:       OpenCL C
    .language_version:
      - 2
      - 0
    .max_flat_workgroup_size: 1024
    .name:           _ZL39rocblas_trsm_block_forward_substitutionIddPKdPdLb0ELb1ELb0EEv18rocblas_operation_llT0_T1_lllT2_lllib
    .private_segment_fixed_size: 0
    .sgpr_count:     40
    .sgpr_spill_count: 0
    .symbol:         _ZL39rocblas_trsm_block_forward_substitutionIddPKdPdLb0ELb1ELb0EEv18rocblas_operation_llT0_T1_lllT2_lllib.kd
    .uniform_work_group_size: 1
    .uses_dynamic_stack: false
    .vgpr_count:     21
    .vgpr_spill_count: 0
    .wavefront_size: 64
  - .args:
      - .offset:         0
        .size:           4
        .value_kind:     by_value
      - .offset:         8
        .size:           8
        .value_kind:     by_value
      - .offset:         16
        .size:           8
        .value_kind:     by_value
      - .offset:         24
        .size:           8
        .value_kind:     by_value
      - .address_space:  global
        .offset:         32
        .size:           8
        .value_kind:     global_buffer
      - .offset:         40
        .size:           8
        .value_kind:     by_value
      - .offset:         48
        .size:           8
        .value_kind:     by_value
      - .offset:         56
        .size:           8
        .value_kind:     by_value
      - .address_space:  global
        .offset:         64
        .size:           8
        .value_kind:     global_buffer
      - .offset:         72
        .size:           8
        .value_kind:     by_value
      - .offset:         80
        .size:           8
        .value_kind:     by_value
      - .offset:         88
        .size:           8
        .value_kind:     by_value
      - .offset:         96
        .size:           4
        .value_kind:     by_value
      - .offset:         100
        .size:           1
        .value_kind:     by_value
      - .offset:         104
        .size:           4
        .value_kind:     hidden_block_count_x
      - .offset:         108
        .size:           4
        .value_kind:     hidden_block_count_y
      - .offset:         112
        .size:           4
        .value_kind:     hidden_block_count_z
      - .offset:         116
        .size:           2
        .value_kind:     hidden_group_size_x
      - .offset:         118
        .size:           2
        .value_kind:     hidden_group_size_y
      - .offset:         120
        .size:           2
        .value_kind:     hidden_group_size_z
      - .offset:         122
        .size:           2
        .value_kind:     hidden_remainder_x
      - .offset:         124
        .size:           2
        .value_kind:     hidden_remainder_y
      - .offset:         126
        .size:           2
        .value_kind:     hidden_remainder_z
      - .offset:         144
        .size:           8
        .value_kind:     hidden_global_offset_x
      - .offset:         152
        .size:           8
        .value_kind:     hidden_global_offset_y
      - .offset:         160
        .size:           8
        .value_kind:     hidden_global_offset_z
      - .offset:         168
        .size:           2
        .value_kind:     hidden_grid_dims
      - .offset:         224
        .size:           4
        .value_kind:     hidden_dynamic_lds_size
    .group_segment_fixed_size: 0
    .kernarg_segment_align: 8
    .kernarg_segment_size: 360
    .language:       OpenCL C
    .language_version:
      - 2
      - 0
    .max_flat_workgroup_size: 1024
    .name:           _ZL40rocblas_trsm_block_backward_substitutionIddPKdPdLb0ELb1ELb0EEv18rocblas_operation_llT0_T1_lllT2_lllib
    .private_segment_fixed_size: 0
    .sgpr_count:     44
    .sgpr_spill_count: 0
    .symbol:         _ZL40rocblas_trsm_block_backward_substitutionIddPKdPdLb0ELb1ELb0EEv18rocblas_operation_llT0_T1_lllT2_lllib.kd
    .uniform_work_group_size: 1
    .uses_dynamic_stack: false
    .vgpr_count:     21
    .vgpr_spill_count: 0
    .wavefront_size: 64
  - .args:
      - .offset:         0
        .size:           4
        .value_kind:     by_value
      - .offset:         8
        .size:           8
        .value_kind:     by_value
      - .offset:         16
        .size:           8
        .value_kind:     by_value
      - .offset:         24
        .size:           8
        .value_kind:     by_value
      - .address_space:  global
        .offset:         32
        .size:           8
        .value_kind:     global_buffer
      - .offset:         40
        .size:           8
        .value_kind:     by_value
      - .offset:         48
        .size:           8
        .value_kind:     by_value
      - .offset:         56
        .size:           8
        .value_kind:     by_value
      - .address_space:  global
        .offset:         64
        .size:           8
        .value_kind:     global_buffer
      - .offset:         72
        .size:           8
        .value_kind:     by_value
      - .offset:         80
        .size:           8
        .value_kind:     by_value
      - .offset:         88
        .size:           8
        .value_kind:     by_value
      - .offset:         96
        .size:           4
        .value_kind:     by_value
      - .offset:         100
        .size:           1
        .value_kind:     by_value
      - .offset:         104
        .size:           4
        .value_kind:     hidden_block_count_x
      - .offset:         108
        .size:           4
        .value_kind:     hidden_block_count_y
      - .offset:         112
        .size:           4
        .value_kind:     hidden_block_count_z
      - .offset:         116
        .size:           2
        .value_kind:     hidden_group_size_x
      - .offset:         118
        .size:           2
        .value_kind:     hidden_group_size_y
      - .offset:         120
        .size:           2
        .value_kind:     hidden_group_size_z
      - .offset:         122
        .size:           2
        .value_kind:     hidden_remainder_x
      - .offset:         124
        .size:           2
        .value_kind:     hidden_remainder_y
      - .offset:         126
        .size:           2
        .value_kind:     hidden_remainder_z
      - .offset:         144
        .size:           8
        .value_kind:     hidden_global_offset_x
      - .offset:         152
        .size:           8
        .value_kind:     hidden_global_offset_y
      - .offset:         160
        .size:           8
        .value_kind:     hidden_global_offset_z
      - .offset:         168
        .size:           2
        .value_kind:     hidden_grid_dims
      - .offset:         224
        .size:           4
        .value_kind:     hidden_dynamic_lds_size
    .group_segment_fixed_size: 0
    .kernarg_segment_align: 8
    .kernarg_segment_size: 360
    .language:       OpenCL C
    .language_version:
      - 2
      - 0
    .max_flat_workgroup_size: 1024
    .name:           _ZL39rocblas_trsm_block_forward_substitutionIddPKdPdLb0ELb1ELb1EEv18rocblas_operation_llT0_T1_lllT2_lllib
    .private_segment_fixed_size: 0
    .sgpr_count:     36
    .sgpr_spill_count: 0
    .symbol:         _ZL39rocblas_trsm_block_forward_substitutionIddPKdPdLb0ELb1ELb1EEv18rocblas_operation_llT0_T1_lllT2_lllib.kd
    .uniform_work_group_size: 1
    .uses_dynamic_stack: false
    .vgpr_count:     14
    .vgpr_spill_count: 0
    .wavefront_size: 64
  - .args:
      - .offset:         0
        .size:           4
        .value_kind:     by_value
      - .offset:         8
        .size:           8
        .value_kind:     by_value
      - .offset:         16
        .size:           8
        .value_kind:     by_value
      - .offset:         24
        .size:           8
        .value_kind:     by_value
      - .address_space:  global
        .offset:         32
        .size:           8
        .value_kind:     global_buffer
      - .offset:         40
        .size:           8
        .value_kind:     by_value
      - .offset:         48
        .size:           8
        .value_kind:     by_value
      - .offset:         56
        .size:           8
        .value_kind:     by_value
      - .address_space:  global
        .offset:         64
        .size:           8
        .value_kind:     global_buffer
      - .offset:         72
        .size:           8
        .value_kind:     by_value
      - .offset:         80
        .size:           8
        .value_kind:     by_value
      - .offset:         88
        .size:           8
        .value_kind:     by_value
      - .offset:         96
        .size:           4
        .value_kind:     by_value
      - .offset:         100
        .size:           1
        .value_kind:     by_value
      - .offset:         104
        .size:           4
        .value_kind:     hidden_block_count_x
      - .offset:         108
        .size:           4
        .value_kind:     hidden_block_count_y
      - .offset:         112
        .size:           4
        .value_kind:     hidden_block_count_z
      - .offset:         116
        .size:           2
        .value_kind:     hidden_group_size_x
      - .offset:         118
        .size:           2
        .value_kind:     hidden_group_size_y
      - .offset:         120
        .size:           2
        .value_kind:     hidden_group_size_z
      - .offset:         122
        .size:           2
        .value_kind:     hidden_remainder_x
      - .offset:         124
        .size:           2
        .value_kind:     hidden_remainder_y
      - .offset:         126
        .size:           2
        .value_kind:     hidden_remainder_z
      - .offset:         144
        .size:           8
        .value_kind:     hidden_global_offset_x
      - .offset:         152
        .size:           8
        .value_kind:     hidden_global_offset_y
      - .offset:         160
        .size:           8
        .value_kind:     hidden_global_offset_z
      - .offset:         168
        .size:           2
        .value_kind:     hidden_grid_dims
      - .offset:         224
        .size:           4
        .value_kind:     hidden_dynamic_lds_size
    .group_segment_fixed_size: 0
    .kernarg_segment_align: 8
    .kernarg_segment_size: 360
    .language:       OpenCL C
    .language_version:
      - 2
      - 0
    .max_flat_workgroup_size: 1024
    .name:           _ZL40rocblas_trsm_block_backward_substitutionIddPKdPdLb0ELb1ELb1EEv18rocblas_operation_llT0_T1_lllT2_lllib
    .private_segment_fixed_size: 0
    .sgpr_count:     32
    .sgpr_spill_count: 0
    .symbol:         _ZL40rocblas_trsm_block_backward_substitutionIddPKdPdLb0ELb1ELb1EEv18rocblas_operation_llT0_T1_lllT2_lllib.kd
    .uniform_work_group_size: 1
    .uses_dynamic_stack: false
    .vgpr_count:     14
    .vgpr_spill_count: 0
    .wavefront_size: 64
  - .args:
      - .offset:         0
        .size:           4
        .value_kind:     by_value
      - .offset:         8
        .size:           8
        .value_kind:     by_value
      - .offset:         16
        .size:           8
        .value_kind:     by_value
      - .offset:         24
        .size:           8
        .value_kind:     by_value
      - .address_space:  global
        .offset:         32
        .size:           8
        .value_kind:     global_buffer
      - .offset:         40
        .size:           8
        .value_kind:     by_value
      - .offset:         48
        .size:           8
        .value_kind:     by_value
      - .offset:         56
        .size:           8
        .value_kind:     by_value
      - .address_space:  global
        .offset:         64
        .size:           8
        .value_kind:     global_buffer
      - .offset:         72
        .size:           8
        .value_kind:     by_value
      - .offset:         80
        .size:           8
        .value_kind:     by_value
      - .offset:         88
        .size:           8
        .value_kind:     by_value
      - .offset:         96
        .size:           4
        .value_kind:     by_value
      - .offset:         100
        .size:           1
        .value_kind:     by_value
      - .offset:         104
        .size:           4
        .value_kind:     hidden_block_count_x
      - .offset:         108
        .size:           4
        .value_kind:     hidden_block_count_y
      - .offset:         112
        .size:           4
        .value_kind:     hidden_block_count_z
      - .offset:         116
        .size:           2
        .value_kind:     hidden_group_size_x
      - .offset:         118
        .size:           2
        .value_kind:     hidden_group_size_y
      - .offset:         120
        .size:           2
        .value_kind:     hidden_group_size_z
      - .offset:         122
        .size:           2
        .value_kind:     hidden_remainder_x
      - .offset:         124
        .size:           2
        .value_kind:     hidden_remainder_y
      - .offset:         126
        .size:           2
        .value_kind:     hidden_remainder_z
      - .offset:         144
        .size:           8
        .value_kind:     hidden_global_offset_x
      - .offset:         152
        .size:           8
        .value_kind:     hidden_global_offset_y
      - .offset:         160
        .size:           8
        .value_kind:     hidden_global_offset_z
      - .offset:         168
        .size:           2
        .value_kind:     hidden_grid_dims
      - .offset:         224
        .size:           4
        .value_kind:     hidden_dynamic_lds_size
    .group_segment_fixed_size: 0
    .kernarg_segment_align: 8
    .kernarg_segment_size: 360
    .language:       OpenCL C
    .language_version:
      - 2
      - 0
    .max_flat_workgroup_size: 1024
    .name:           _ZL39rocblas_trsm_block_forward_substitutionIddPKdPdLb1ELb1ELb0EEv18rocblas_operation_llT0_T1_lllT2_lllib
    .private_segment_fixed_size: 0
    .sgpr_count:     40
    .sgpr_spill_count: 0
    .symbol:         _ZL39rocblas_trsm_block_forward_substitutionIddPKdPdLb1ELb1ELb0EEv18rocblas_operation_llT0_T1_lllT2_lllib.kd
    .uniform_work_group_size: 1
    .uses_dynamic_stack: false
    .vgpr_count:     21
    .vgpr_spill_count: 0
    .wavefront_size: 64
  - .args:
      - .offset:         0
        .size:           4
        .value_kind:     by_value
      - .offset:         8
        .size:           8
        .value_kind:     by_value
      - .offset:         16
        .size:           8
        .value_kind:     by_value
      - .offset:         24
        .size:           8
        .value_kind:     by_value
      - .address_space:  global
        .offset:         32
        .size:           8
        .value_kind:     global_buffer
      - .offset:         40
        .size:           8
        .value_kind:     by_value
      - .offset:         48
        .size:           8
        .value_kind:     by_value
      - .offset:         56
        .size:           8
        .value_kind:     by_value
      - .address_space:  global
        .offset:         64
        .size:           8
        .value_kind:     global_buffer
      - .offset:         72
        .size:           8
        .value_kind:     by_value
      - .offset:         80
        .size:           8
        .value_kind:     by_value
      - .offset:         88
        .size:           8
        .value_kind:     by_value
      - .offset:         96
        .size:           4
        .value_kind:     by_value
      - .offset:         100
        .size:           1
        .value_kind:     by_value
      - .offset:         104
        .size:           4
        .value_kind:     hidden_block_count_x
      - .offset:         108
        .size:           4
        .value_kind:     hidden_block_count_y
      - .offset:         112
        .size:           4
        .value_kind:     hidden_block_count_z
      - .offset:         116
        .size:           2
        .value_kind:     hidden_group_size_x
      - .offset:         118
        .size:           2
        .value_kind:     hidden_group_size_y
      - .offset:         120
        .size:           2
        .value_kind:     hidden_group_size_z
      - .offset:         122
        .size:           2
        .value_kind:     hidden_remainder_x
      - .offset:         124
        .size:           2
        .value_kind:     hidden_remainder_y
      - .offset:         126
        .size:           2
        .value_kind:     hidden_remainder_z
      - .offset:         144
        .size:           8
        .value_kind:     hidden_global_offset_x
      - .offset:         152
        .size:           8
        .value_kind:     hidden_global_offset_y
      - .offset:         160
        .size:           8
        .value_kind:     hidden_global_offset_z
      - .offset:         168
        .size:           2
        .value_kind:     hidden_grid_dims
      - .offset:         224
        .size:           4
        .value_kind:     hidden_dynamic_lds_size
    .group_segment_fixed_size: 0
    .kernarg_segment_align: 8
    .kernarg_segment_size: 360
    .language:       OpenCL C
    .language_version:
      - 2
      - 0
    .max_flat_workgroup_size: 1024
    .name:           _ZL40rocblas_trsm_block_backward_substitutionIddPKdPdLb1ELb1ELb0EEv18rocblas_operation_llT0_T1_lllT2_lllib
    .private_segment_fixed_size: 0
    .sgpr_count:     44
    .sgpr_spill_count: 0
    .symbol:         _ZL40rocblas_trsm_block_backward_substitutionIddPKdPdLb1ELb1ELb0EEv18rocblas_operation_llT0_T1_lllT2_lllib.kd
    .uniform_work_group_size: 1
    .uses_dynamic_stack: false
    .vgpr_count:     21
    .vgpr_spill_count: 0
    .wavefront_size: 64
  - .args:
      - .offset:         0
        .size:           4
        .value_kind:     by_value
      - .offset:         8
        .size:           8
        .value_kind:     by_value
      - .offset:         16
        .size:           8
        .value_kind:     by_value
      - .offset:         24
        .size:           8
        .value_kind:     by_value
      - .address_space:  global
        .offset:         32
        .size:           8
        .value_kind:     global_buffer
      - .offset:         40
        .size:           8
        .value_kind:     by_value
      - .offset:         48
        .size:           8
        .value_kind:     by_value
      - .offset:         56
        .size:           8
        .value_kind:     by_value
      - .address_space:  global
        .offset:         64
        .size:           8
        .value_kind:     global_buffer
      - .offset:         72
        .size:           8
        .value_kind:     by_value
      - .offset:         80
        .size:           8
        .value_kind:     by_value
      - .offset:         88
        .size:           8
        .value_kind:     by_value
      - .offset:         96
        .size:           4
        .value_kind:     by_value
      - .offset:         100
        .size:           1
        .value_kind:     by_value
      - .offset:         104
        .size:           4
        .value_kind:     hidden_block_count_x
      - .offset:         108
        .size:           4
        .value_kind:     hidden_block_count_y
      - .offset:         112
        .size:           4
        .value_kind:     hidden_block_count_z
      - .offset:         116
        .size:           2
        .value_kind:     hidden_group_size_x
      - .offset:         118
        .size:           2
        .value_kind:     hidden_group_size_y
      - .offset:         120
        .size:           2
        .value_kind:     hidden_group_size_z
      - .offset:         122
        .size:           2
        .value_kind:     hidden_remainder_x
      - .offset:         124
        .size:           2
        .value_kind:     hidden_remainder_y
      - .offset:         126
        .size:           2
        .value_kind:     hidden_remainder_z
      - .offset:         144
        .size:           8
        .value_kind:     hidden_global_offset_x
      - .offset:         152
        .size:           8
        .value_kind:     hidden_global_offset_y
      - .offset:         160
        .size:           8
        .value_kind:     hidden_global_offset_z
      - .offset:         168
        .size:           2
        .value_kind:     hidden_grid_dims
      - .offset:         224
        .size:           4
        .value_kind:     hidden_dynamic_lds_size
    .group_segment_fixed_size: 0
    .kernarg_segment_align: 8
    .kernarg_segment_size: 360
    .language:       OpenCL C
    .language_version:
      - 2
      - 0
    .max_flat_workgroup_size: 1024
    .name:           _ZL39rocblas_trsm_block_forward_substitutionIddPKdPdLb1ELb1ELb1EEv18rocblas_operation_llT0_T1_lllT2_lllib
    .private_segment_fixed_size: 0
    .sgpr_count:     32
    .sgpr_spill_count: 0
    .symbol:         _ZL39rocblas_trsm_block_forward_substitutionIddPKdPdLb1ELb1ELb1EEv18rocblas_operation_llT0_T1_lllT2_lllib.kd
    .uniform_work_group_size: 1
    .uses_dynamic_stack: false
    .vgpr_count:     13
    .vgpr_spill_count: 0
    .wavefront_size: 64
  - .args:
      - .offset:         0
        .size:           4
        .value_kind:     by_value
      - .offset:         8
        .size:           8
        .value_kind:     by_value
      - .offset:         16
        .size:           8
        .value_kind:     by_value
      - .offset:         24
        .size:           8
        .value_kind:     by_value
      - .address_space:  global
        .offset:         32
        .size:           8
        .value_kind:     global_buffer
      - .offset:         40
        .size:           8
        .value_kind:     by_value
      - .offset:         48
        .size:           8
        .value_kind:     by_value
      - .offset:         56
        .size:           8
        .value_kind:     by_value
      - .address_space:  global
        .offset:         64
        .size:           8
        .value_kind:     global_buffer
      - .offset:         72
        .size:           8
        .value_kind:     by_value
      - .offset:         80
        .size:           8
        .value_kind:     by_value
      - .offset:         88
        .size:           8
        .value_kind:     by_value
      - .offset:         96
        .size:           4
        .value_kind:     by_value
      - .offset:         100
        .size:           1
        .value_kind:     by_value
      - .offset:         104
        .size:           4
        .value_kind:     hidden_block_count_x
      - .offset:         108
        .size:           4
        .value_kind:     hidden_block_count_y
      - .offset:         112
        .size:           4
        .value_kind:     hidden_block_count_z
      - .offset:         116
        .size:           2
        .value_kind:     hidden_group_size_x
      - .offset:         118
        .size:           2
        .value_kind:     hidden_group_size_y
      - .offset:         120
        .size:           2
        .value_kind:     hidden_group_size_z
      - .offset:         122
        .size:           2
        .value_kind:     hidden_remainder_x
      - .offset:         124
        .size:           2
        .value_kind:     hidden_remainder_y
      - .offset:         126
        .size:           2
        .value_kind:     hidden_remainder_z
      - .offset:         144
        .size:           8
        .value_kind:     hidden_global_offset_x
      - .offset:         152
        .size:           8
        .value_kind:     hidden_global_offset_y
      - .offset:         160
        .size:           8
        .value_kind:     hidden_global_offset_z
      - .offset:         168
        .size:           2
        .value_kind:     hidden_grid_dims
      - .offset:         224
        .size:           4
        .value_kind:     hidden_dynamic_lds_size
    .group_segment_fixed_size: 0
    .kernarg_segment_align: 8
    .kernarg_segment_size: 360
    .language:       OpenCL C
    .language_version:
      - 2
      - 0
    .max_flat_workgroup_size: 1024
    .name:           _ZL40rocblas_trsm_block_backward_substitutionIddPKdPdLb1ELb1ELb1EEv18rocblas_operation_llT0_T1_lllT2_lllib
    .private_segment_fixed_size: 0
    .sgpr_count:     36
    .sgpr_spill_count: 0
    .symbol:         _ZL40rocblas_trsm_block_backward_substitutionIddPKdPdLb1ELb1ELb1EEv18rocblas_operation_llT0_T1_lllT2_lllib.kd
    .uniform_work_group_size: 1
    .uses_dynamic_stack: false
    .vgpr_count:     14
    .vgpr_spill_count: 0
    .wavefront_size: 64
  - .args:
      - .offset:         0
        .size:           4
        .value_kind:     by_value
      - .offset:         8
        .size:           8
        .value_kind:     by_value
      - .offset:         16
        .size:           8
        .value_kind:     by_value
      - .offset:         24
        .size:           8
        .value_kind:     by_value
      - .address_space:  global
        .offset:         32
        .size:           8
        .value_kind:     global_buffer
      - .offset:         40
        .size:           8
        .value_kind:     by_value
      - .offset:         48
        .size:           8
        .value_kind:     by_value
      - .offset:         56
        .size:           8
        .value_kind:     by_value
      - .address_space:  global
        .offset:         64
        .size:           8
        .value_kind:     global_buffer
      - .offset:         72
        .size:           8
        .value_kind:     by_value
      - .offset:         80
        .size:           8
        .value_kind:     by_value
      - .offset:         88
        .size:           8
        .value_kind:     by_value
      - .offset:         96
        .size:           4
        .value_kind:     by_value
      - .offset:         100
        .size:           1
        .value_kind:     by_value
      - .offset:         104
        .size:           4
        .value_kind:     hidden_block_count_x
      - .offset:         108
        .size:           4
        .value_kind:     hidden_block_count_y
      - .offset:         112
        .size:           4
        .value_kind:     hidden_block_count_z
      - .offset:         116
        .size:           2
        .value_kind:     hidden_group_size_x
      - .offset:         118
        .size:           2
        .value_kind:     hidden_group_size_y
      - .offset:         120
        .size:           2
        .value_kind:     hidden_group_size_z
      - .offset:         122
        .size:           2
        .value_kind:     hidden_remainder_x
      - .offset:         124
        .size:           2
        .value_kind:     hidden_remainder_y
      - .offset:         126
        .size:           2
        .value_kind:     hidden_remainder_z
      - .offset:         144
        .size:           8
        .value_kind:     hidden_global_offset_x
      - .offset:         152
        .size:           8
        .value_kind:     hidden_global_offset_y
      - .offset:         160
        .size:           8
        .value_kind:     hidden_global_offset_z
      - .offset:         168
        .size:           2
        .value_kind:     hidden_grid_dims
      - .offset:         224
        .size:           4
        .value_kind:     hidden_dynamic_lds_size
    .group_segment_fixed_size: 0
    .kernarg_segment_align: 8
    .kernarg_segment_size: 360
    .language:       OpenCL C
    .language_version:
      - 2
      - 0
    .max_flat_workgroup_size: 1024
    .name:           _ZL39rocblas_trsm_block_forward_substitutionIddPKdPdLb1ELb0ELb0EEv18rocblas_operation_llT0_T1_lllT2_lllib
    .private_segment_fixed_size: 0
    .sgpr_count:     40
    .sgpr_spill_count: 0
    .symbol:         _ZL39rocblas_trsm_block_forward_substitutionIddPKdPdLb1ELb0ELb0EEv18rocblas_operation_llT0_T1_lllT2_lllib.kd
    .uniform_work_group_size: 1
    .uses_dynamic_stack: false
    .vgpr_count:     21
    .vgpr_spill_count: 0
    .wavefront_size: 64
  - .args:
      - .offset:         0
        .size:           4
        .value_kind:     by_value
      - .offset:         8
        .size:           8
        .value_kind:     by_value
      - .offset:         16
        .size:           8
        .value_kind:     by_value
      - .offset:         24
        .size:           8
        .value_kind:     by_value
      - .address_space:  global
        .offset:         32
        .size:           8
        .value_kind:     global_buffer
      - .offset:         40
        .size:           8
        .value_kind:     by_value
      - .offset:         48
        .size:           8
        .value_kind:     by_value
      - .offset:         56
        .size:           8
        .value_kind:     by_value
      - .address_space:  global
        .offset:         64
        .size:           8
        .value_kind:     global_buffer
      - .offset:         72
        .size:           8
        .value_kind:     by_value
      - .offset:         80
        .size:           8
        .value_kind:     by_value
      - .offset:         88
        .size:           8
        .value_kind:     by_value
      - .offset:         96
        .size:           4
        .value_kind:     by_value
      - .offset:         100
        .size:           1
        .value_kind:     by_value
      - .offset:         104
        .size:           4
        .value_kind:     hidden_block_count_x
      - .offset:         108
        .size:           4
        .value_kind:     hidden_block_count_y
      - .offset:         112
        .size:           4
        .value_kind:     hidden_block_count_z
      - .offset:         116
        .size:           2
        .value_kind:     hidden_group_size_x
      - .offset:         118
        .size:           2
        .value_kind:     hidden_group_size_y
      - .offset:         120
        .size:           2
        .value_kind:     hidden_group_size_z
      - .offset:         122
        .size:           2
        .value_kind:     hidden_remainder_x
      - .offset:         124
        .size:           2
        .value_kind:     hidden_remainder_y
      - .offset:         126
        .size:           2
        .value_kind:     hidden_remainder_z
      - .offset:         144
        .size:           8
        .value_kind:     hidden_global_offset_x
      - .offset:         152
        .size:           8
        .value_kind:     hidden_global_offset_y
      - .offset:         160
        .size:           8
        .value_kind:     hidden_global_offset_z
      - .offset:         168
        .size:           2
        .value_kind:     hidden_grid_dims
      - .offset:         224
        .size:           4
        .value_kind:     hidden_dynamic_lds_size
    .group_segment_fixed_size: 0
    .kernarg_segment_align: 8
    .kernarg_segment_size: 360
    .language:       OpenCL C
    .language_version:
      - 2
      - 0
    .max_flat_workgroup_size: 1024
    .name:           _ZL40rocblas_trsm_block_backward_substitutionIddPKdPdLb1ELb0ELb0EEv18rocblas_operation_llT0_T1_lllT2_lllib
    .private_segment_fixed_size: 0
    .sgpr_count:     44
    .sgpr_spill_count: 0
    .symbol:         _ZL40rocblas_trsm_block_backward_substitutionIddPKdPdLb1ELb0ELb0EEv18rocblas_operation_llT0_T1_lllT2_lllib.kd
    .uniform_work_group_size: 1
    .uses_dynamic_stack: false
    .vgpr_count:     21
    .vgpr_spill_count: 0
    .wavefront_size: 64
  - .args:
      - .offset:         0
        .size:           4
        .value_kind:     by_value
      - .offset:         8
        .size:           8
        .value_kind:     by_value
      - .offset:         16
        .size:           8
        .value_kind:     by_value
      - .offset:         24
        .size:           8
        .value_kind:     by_value
      - .address_space:  global
        .offset:         32
        .size:           8
        .value_kind:     global_buffer
      - .offset:         40
        .size:           8
        .value_kind:     by_value
      - .offset:         48
        .size:           8
        .value_kind:     by_value
      - .offset:         56
        .size:           8
        .value_kind:     by_value
      - .address_space:  global
        .offset:         64
        .size:           8
        .value_kind:     global_buffer
      - .offset:         72
        .size:           8
        .value_kind:     by_value
      - .offset:         80
        .size:           8
        .value_kind:     by_value
      - .offset:         88
        .size:           8
        .value_kind:     by_value
      - .offset:         96
        .size:           4
        .value_kind:     by_value
      - .offset:         100
        .size:           1
        .value_kind:     by_value
      - .offset:         104
        .size:           4
        .value_kind:     hidden_block_count_x
      - .offset:         108
        .size:           4
        .value_kind:     hidden_block_count_y
      - .offset:         112
        .size:           4
        .value_kind:     hidden_block_count_z
      - .offset:         116
        .size:           2
        .value_kind:     hidden_group_size_x
      - .offset:         118
        .size:           2
        .value_kind:     hidden_group_size_y
      - .offset:         120
        .size:           2
        .value_kind:     hidden_group_size_z
      - .offset:         122
        .size:           2
        .value_kind:     hidden_remainder_x
      - .offset:         124
        .size:           2
        .value_kind:     hidden_remainder_y
      - .offset:         126
        .size:           2
        .value_kind:     hidden_remainder_z
      - .offset:         144
        .size:           8
        .value_kind:     hidden_global_offset_x
      - .offset:         152
        .size:           8
        .value_kind:     hidden_global_offset_y
      - .offset:         160
        .size:           8
        .value_kind:     hidden_global_offset_z
      - .offset:         168
        .size:           2
        .value_kind:     hidden_grid_dims
      - .offset:         224
        .size:           4
        .value_kind:     hidden_dynamic_lds_size
    .group_segment_fixed_size: 0
    .kernarg_segment_align: 8
    .kernarg_segment_size: 360
    .language:       OpenCL C
    .language_version:
      - 2
      - 0
    .max_flat_workgroup_size: 1024
    .name:           _ZL39rocblas_trsm_block_forward_substitutionIddPKdPdLb1ELb0ELb1EEv18rocblas_operation_llT0_T1_lllT2_lllib
    .private_segment_fixed_size: 0
    .sgpr_count:     32
    .sgpr_spill_count: 0
    .symbol:         _ZL39rocblas_trsm_block_forward_substitutionIddPKdPdLb1ELb0ELb1EEv18rocblas_operation_llT0_T1_lllT2_lllib.kd
    .uniform_work_group_size: 1
    .uses_dynamic_stack: false
    .vgpr_count:     13
    .vgpr_spill_count: 0
    .wavefront_size: 64
  - .args:
      - .offset:         0
        .size:           4
        .value_kind:     by_value
      - .offset:         8
        .size:           8
        .value_kind:     by_value
      - .offset:         16
        .size:           8
        .value_kind:     by_value
      - .offset:         24
        .size:           8
        .value_kind:     by_value
      - .address_space:  global
        .offset:         32
        .size:           8
        .value_kind:     global_buffer
      - .offset:         40
        .size:           8
        .value_kind:     by_value
      - .offset:         48
        .size:           8
        .value_kind:     by_value
      - .offset:         56
        .size:           8
        .value_kind:     by_value
      - .address_space:  global
        .offset:         64
        .size:           8
        .value_kind:     global_buffer
      - .offset:         72
        .size:           8
        .value_kind:     by_value
      - .offset:         80
        .size:           8
        .value_kind:     by_value
      - .offset:         88
        .size:           8
        .value_kind:     by_value
      - .offset:         96
        .size:           4
        .value_kind:     by_value
      - .offset:         100
        .size:           1
        .value_kind:     by_value
      - .offset:         104
        .size:           4
        .value_kind:     hidden_block_count_x
      - .offset:         108
        .size:           4
        .value_kind:     hidden_block_count_y
      - .offset:         112
        .size:           4
        .value_kind:     hidden_block_count_z
      - .offset:         116
        .size:           2
        .value_kind:     hidden_group_size_x
      - .offset:         118
        .size:           2
        .value_kind:     hidden_group_size_y
      - .offset:         120
        .size:           2
        .value_kind:     hidden_group_size_z
      - .offset:         122
        .size:           2
        .value_kind:     hidden_remainder_x
      - .offset:         124
        .size:           2
        .value_kind:     hidden_remainder_y
      - .offset:         126
        .size:           2
        .value_kind:     hidden_remainder_z
      - .offset:         144
        .size:           8
        .value_kind:     hidden_global_offset_x
      - .offset:         152
        .size:           8
        .value_kind:     hidden_global_offset_y
      - .offset:         160
        .size:           8
        .value_kind:     hidden_global_offset_z
      - .offset:         168
        .size:           2
        .value_kind:     hidden_grid_dims
      - .offset:         224
        .size:           4
        .value_kind:     hidden_dynamic_lds_size
    .group_segment_fixed_size: 0
    .kernarg_segment_align: 8
    .kernarg_segment_size: 360
    .language:       OpenCL C
    .language_version:
      - 2
      - 0
    .max_flat_workgroup_size: 1024
    .name:           _ZL40rocblas_trsm_block_backward_substitutionIddPKdPdLb1ELb0ELb1EEv18rocblas_operation_llT0_T1_lllT2_lllib
    .private_segment_fixed_size: 0
    .sgpr_count:     36
    .sgpr_spill_count: 0
    .symbol:         _ZL40rocblas_trsm_block_backward_substitutionIddPKdPdLb1ELb0ELb1EEv18rocblas_operation_llT0_T1_lllT2_lllib.kd
    .uniform_work_group_size: 1
    .uses_dynamic_stack: false
    .vgpr_count:     14
    .vgpr_spill_count: 0
    .wavefront_size: 64
  - .args:
      - .address_space:  global
        .offset:         0
        .size:           8
        .value_kind:     global_buffer
      - .offset:         8
        .size:           8
        .value_kind:     by_value
      - .address_space:  global
        .offset:         16
        .size:           8
        .value_kind:     global_buffer
    .group_segment_fixed_size: 0
    .kernarg_segment_align: 8
    .kernarg_segment_size: 24
    .language:       OpenCL C
    .language_version:
      - 2
      - 0
    .max_flat_workgroup_size: 128
    .name:           _ZL26setup_batched_array_kernelILi128EdEvPT0_lPS1_
    .private_segment_fixed_size: 0
    .sgpr_count:     13
    .sgpr_spill_count: 0
    .symbol:         _ZL26setup_batched_array_kernelILi128EdEvPT0_lPS1_.kd
    .uniform_work_group_size: 1
    .uses_dynamic_stack: false
    .vgpr_count:     3
    .vgpr_spill_count: 0
    .wavefront_size: 64
  - .args:
      - .offset:         0
        .size:           4
        .value_kind:     by_value
      - .offset:         4
        .size:           4
        .value_kind:     by_value
      - .address_space:  global
        .offset:         8
        .size:           8
        .value_kind:     global_buffer
      - .offset:         16
        .size:           8
        .value_kind:     by_value
      - .offset:         24
        .size:           4
        .value_kind:     by_value
      - .offset:         32
        .size:           8
        .value_kind:     by_value
      - .address_space:  global
        .offset:         40
        .size:           8
        .value_kind:     global_buffer
      - .offset:         48
        .size:           8
        .value_kind:     by_value
      - .offset:         56
        .size:           8
        .value_kind:     by_value
      - .offset:         64
        .size:           4
        .value_kind:     by_value
    .group_segment_fixed_size: 8192
    .kernarg_segment_align: 8
    .kernarg_segment_size: 68
    .language:       OpenCL C
    .language_version:
      - 2
      - 0
    .max_flat_workgroup_size: 256
    .name:           _ZL25rocblas_trtri_trsm_kernelILi128ELi16ELi8EdPKdPdEv13rocblas_fill_17rocblas_diagonal_T3_lilT4_lli
    .private_segment_fixed_size: 0
    .sgpr_count:     36
    .sgpr_spill_count: 0
    .symbol:         _ZL25rocblas_trtri_trsm_kernelILi128ELi16ELi8EdPKdPdEv13rocblas_fill_17rocblas_diagonal_T3_lilT4_lli.kd
    .uniform_work_group_size: 1
    .uses_dynamic_stack: false
    .vgpr_count:     32
    .vgpr_spill_count: 0
    .wavefront_size: 64
  - .args:
      - .address_space:  global
        .offset:         0
        .size:           8
        .value_kind:     global_buffer
      - .offset:         8
        .size:           4
        .value_kind:     by_value
      - .offset:         12
        .size:           4
        .value_kind:     by_value
      - .offset:         16
        .size:           8
        .value_kind:     by_value
      - .offset:         24
        .size:           4
        .value_kind:     by_value
      - .offset:         32
        .size:           8
        .value_kind:     by_value
      - .address_space:  global
        .offset:         40
        .size:           8
        .value_kind:     global_buffer
      - .offset:         48
        .size:           8
        .value_kind:     by_value
      - .offset:         56
        .size:           8
        .value_kind:     by_value
      - .offset:         64
        .size:           4
        .value_kind:     by_value
      - .offset:         68
        .size:           4
        .value_kind:     by_value
      - .offset:         72
        .size:           4
        .value_kind:     hidden_block_count_x
      - .offset:         76
        .size:           4
        .value_kind:     hidden_block_count_y
      - .offset:         80
        .size:           4
        .value_kind:     hidden_block_count_z
      - .offset:         84
        .size:           2
        .value_kind:     hidden_group_size_x
      - .offset:         86
        .size:           2
        .value_kind:     hidden_group_size_y
      - .offset:         88
        .size:           2
        .value_kind:     hidden_group_size_z
      - .offset:         90
        .size:           2
        .value_kind:     hidden_remainder_x
      - .offset:         92
        .size:           2
        .value_kind:     hidden_remainder_y
      - .offset:         94
        .size:           2
        .value_kind:     hidden_remainder_z
      - .offset:         112
        .size:           8
        .value_kind:     hidden_global_offset_x
      - .offset:         120
        .size:           8
        .value_kind:     hidden_global_offset_y
      - .offset:         128
        .size:           8
        .value_kind:     hidden_global_offset_z
      - .offset:         136
        .size:           2
        .value_kind:     hidden_grid_dims
    .group_segment_fixed_size: 0
    .kernarg_segment_align: 8
    .kernarg_segment_size: 328
    .language:       OpenCL C
    .language_version:
      - 2
      - 0
    .max_flat_workgroup_size: 128
    .name:           _ZL18rocblas_trtri_fillILi128EdPdEvP15_rocblas_handle13rocblas_fill_ililT1_llii
    .private_segment_fixed_size: 0
    .sgpr_count:     43
    .sgpr_spill_count: 0
    .symbol:         _ZL18rocblas_trtri_fillILi128EdPdEvP15_rocblas_handle13rocblas_fill_ililT1_llii.kd
    .uniform_work_group_size: 1
    .uses_dynamic_stack: false
    .vgpr_count:     28
    .vgpr_spill_count: 0
    .wavefront_size: 64
  - .args:
      - .offset:         0
        .size:           4
        .value_kind:     by_value
      - .offset:         4
        .size:           4
        .value_kind:     by_value
      - .offset:         8
        .size:           4
        .value_kind:     by_value
      - .address_space:  global
        .offset:         16
        .size:           8
        .value_kind:     global_buffer
      - .offset:         24
        .size:           4
        .value_kind:     by_value
      - .offset:         32
        .size:           8
        .value_kind:     by_value
      - .address_space:  global
        .offset:         40
        .size:           8
        .value_kind:     global_buffer
      - .offset:         48
        .size:           4
        .value_kind:     by_value
      - .offset:         56
        .size:           8
        .value_kind:     by_value
      - .offset:         64
        .size:           8
        .value_kind:     by_value
      - .offset:         72
        .size:           8
        .value_kind:     by_value
      - .offset:         80
        .size:           4
        .value_kind:     by_value
      - .offset:         88
        .size:           4
        .value_kind:     hidden_block_count_x
      - .offset:         92
        .size:           4
        .value_kind:     hidden_block_count_y
      - .offset:         96
        .size:           4
        .value_kind:     hidden_block_count_z
      - .offset:         100
        .size:           2
        .value_kind:     hidden_group_size_x
      - .offset:         102
        .size:           2
        .value_kind:     hidden_group_size_y
      - .offset:         104
        .size:           2
        .value_kind:     hidden_group_size_z
      - .offset:         106
        .size:           2
        .value_kind:     hidden_remainder_x
      - .offset:         108
        .size:           2
        .value_kind:     hidden_remainder_y
      - .offset:         110
        .size:           2
        .value_kind:     hidden_remainder_z
      - .offset:         128
        .size:           8
        .value_kind:     hidden_global_offset_x
      - .offset:         136
        .size:           8
        .value_kind:     hidden_global_offset_y
      - .offset:         144
        .size:           8
        .value_kind:     hidden_global_offset_z
      - .offset:         152
        .size:           2
        .value_kind:     hidden_grid_dims
    .group_segment_fixed_size: 0
    .kernarg_segment_align: 8
    .kernarg_segment_size: 344
    .language:       OpenCL C
    .language_version:
      - 2
      - 0
    .max_flat_workgroup_size: 1024
    .name:           _ZL24rocblas_copy_matrix_trsmILi128ELi8EdPKdPdEviiiT2_ilT3_illli
    .private_segment_fixed_size: 0
    .sgpr_count:     27
    .sgpr_spill_count: 0
    .symbol:         _ZL24rocblas_copy_matrix_trsmILi128ELi8EdPKdPdEviiiT2_ilT3_illli.kd
    .uniform_work_group_size: 1
    .uses_dynamic_stack: false
    .vgpr_count:     10
    .vgpr_spill_count: 0
    .wavefront_size: 64
  - .args:
      - .offset:         0
        .size:           8
        .value_kind:     by_value
      - .offset:         8
        .size:           8
        .value_kind:     by_value
      - .offset:         16
        .size:           4
        .value_kind:     by_value
      - .address_space:  global
        .offset:         24
        .size:           8
        .value_kind:     global_buffer
      - .offset:         32
        .size:           8
        .value_kind:     by_value
      - .offset:         40
        .size:           8
        .value_kind:     by_value
      - .offset:         48
        .size:           8
        .value_kind:     by_value
      - .offset:         56
        .size:           8
        .value_kind:     by_value
      - .offset:         64
        .size:           4
        .value_kind:     by_value
    .group_segment_fixed_size: 0
    .kernarg_segment_align: 8
    .kernarg_segment_size: 68
    .language:       OpenCL C
    .language_version:
      - 2
      - 0
    .max_flat_workgroup_size: 1024
    .name:           _ZL23rocblas_set_matrix_trsmILi128ELi8E19rocblas_complex_numIfEPS1_EvlliT2_llT1_li
    .private_segment_fixed_size: 0
    .sgpr_count:     16
    .sgpr_spill_count: 0
    .symbol:         _ZL23rocblas_set_matrix_trsmILi128ELi8E19rocblas_complex_numIfEPS1_EvlliT2_llT1_li.kd
    .uniform_work_group_size: 1
    .uses_dynamic_stack: false
    .vgpr_count:     6
    .vgpr_spill_count: 0
    .wavefront_size: 64
  - .args:
      - .offset:         0
        .size:           4
        .value_kind:     by_value
      - .offset:         4
        .size:           4
        .value_kind:     by_value
      - .offset:         8
        .size:           4
        .value_kind:     by_value
      - .offset:         12
        .size:           4
        .value_kind:     by_value
      - .offset:         16
        .size:           4
        .value_kind:     by_value
      - .offset:         20
        .size:           8
        .value_kind:     by_value
      - .address_space:  global
        .offset:         32
        .size:           8
        .value_kind:     global_buffer
      - .offset:         40
        .size:           8
        .value_kind:     by_value
      - .offset:         48
        .size:           4
        .value_kind:     by_value
      - .offset:         56
        .size:           8
        .value_kind:     by_value
      - .address_space:  global
        .offset:         64
        .size:           8
        .value_kind:     global_buffer
      - .offset:         72
        .size:           8
        .value_kind:     by_value
      - .offset:         80
        .size:           4
        .value_kind:     by_value
      - .offset:         88
        .size:           8
        .value_kind:     by_value
      - .offset:         96
        .size:           4
        .value_kind:     by_value
      - .offset:         104
        .size:           4
        .value_kind:     hidden_block_count_x
      - .offset:         108
        .size:           4
        .value_kind:     hidden_block_count_y
      - .offset:         112
        .size:           4
        .value_kind:     hidden_block_count_z
      - .offset:         116
        .size:           2
        .value_kind:     hidden_group_size_x
      - .offset:         118
        .size:           2
        .value_kind:     hidden_group_size_y
      - .offset:         120
        .size:           2
        .value_kind:     hidden_group_size_z
      - .offset:         122
        .size:           2
        .value_kind:     hidden_remainder_x
      - .offset:         124
        .size:           2
        .value_kind:     hidden_remainder_y
      - .offset:         126
        .size:           2
        .value_kind:     hidden_remainder_z
      - .offset:         144
        .size:           8
        .value_kind:     hidden_global_offset_x
      - .offset:         152
        .size:           8
        .value_kind:     hidden_global_offset_y
      - .offset:         160
        .size:           8
        .value_kind:     hidden_global_offset_z
      - .offset:         168
        .size:           2
        .value_kind:     hidden_grid_dims
    .group_segment_fixed_size: 384
    .kernarg_segment_align: 8
    .kernarg_segment_size: 360
    .language:       OpenCL C
    .language_version:
      - 2
      - 0
    .max_flat_workgroup_size: 4
    .name:           _ZL38rocblas_trsm_small_left_device_sharedBILi4ELi4ELb0E19rocblas_complex_numIfES1_PKS1_PS1_Ev13rocblas_fill_18rocblas_operation_17rocblas_diagonal_iiT3_T4_lilT5_lili
    .private_segment_fixed_size: 0
    .sgpr_count:     36
    .sgpr_spill_count: 0
    .symbol:         _ZL38rocblas_trsm_small_left_device_sharedBILi4ELi4ELb0E19rocblas_complex_numIfES1_PKS1_PS1_Ev13rocblas_fill_18rocblas_operation_17rocblas_diagonal_iiT3_T4_lilT5_lili.kd
    .uniform_work_group_size: 1
    .uses_dynamic_stack: false
    .vgpr_count:     23
    .vgpr_spill_count: 0
    .wavefront_size: 64
  - .args:
      - .offset:         0
        .size:           4
        .value_kind:     by_value
      - .offset:         4
        .size:           4
        .value_kind:     by_value
      - .offset:         8
        .size:           4
        .value_kind:     by_value
      - .offset:         12
        .size:           4
        .value_kind:     by_value
      - .offset:         16
        .size:           4
        .value_kind:     by_value
      - .offset:         20
        .size:           8
        .value_kind:     by_value
      - .address_space:  global
        .offset:         32
        .size:           8
        .value_kind:     global_buffer
      - .offset:         40
        .size:           8
        .value_kind:     by_value
      - .offset:         48
        .size:           4
        .value_kind:     by_value
      - .offset:         56
        .size:           8
        .value_kind:     by_value
      - .address_space:  global
        .offset:         64
        .size:           8
        .value_kind:     global_buffer
      - .offset:         72
        .size:           8
        .value_kind:     by_value
      - .offset:         80
        .size:           4
        .value_kind:     by_value
      - .offset:         88
        .size:           8
        .value_kind:     by_value
      - .offset:         96
        .size:           4
        .value_kind:     by_value
      - .offset:         104
        .size:           4
        .value_kind:     hidden_block_count_x
      - .offset:         108
        .size:           4
        .value_kind:     hidden_block_count_y
      - .offset:         112
        .size:           4
        .value_kind:     hidden_block_count_z
      - .offset:         116
        .size:           2
        .value_kind:     hidden_group_size_x
      - .offset:         118
        .size:           2
        .value_kind:     hidden_group_size_y
      - .offset:         120
        .size:           2
        .value_kind:     hidden_group_size_z
      - .offset:         122
        .size:           2
        .value_kind:     hidden_remainder_x
      - .offset:         124
        .size:           2
        .value_kind:     hidden_remainder_y
      - .offset:         126
        .size:           2
        .value_kind:     hidden_remainder_z
      - .offset:         144
        .size:           8
        .value_kind:     hidden_global_offset_x
      - .offset:         152
        .size:           8
        .value_kind:     hidden_global_offset_y
      - .offset:         160
        .size:           8
        .value_kind:     hidden_global_offset_z
      - .offset:         168
        .size:           2
        .value_kind:     hidden_grid_dims
    .group_segment_fixed_size: 256
    .kernarg_segment_align: 8
    .kernarg_segment_size: 360
    .language:       OpenCL C
    .language_version:
      - 2
      - 0
    .max_flat_workgroup_size: 4
    .name:           _ZL30rocblas_trsm_small_left_deviceILi4ELi4ELb0E19rocblas_complex_numIfES1_PKS1_PS1_Ev13rocblas_fill_18rocblas_operation_17rocblas_diagonal_iiT3_T4_lilT5_lili
    .private_segment_fixed_size: 0
    .sgpr_count:     36
    .sgpr_spill_count: 0
    .symbol:         _ZL30rocblas_trsm_small_left_deviceILi4ELi4ELb0E19rocblas_complex_numIfES1_PKS1_PS1_Ev13rocblas_fill_18rocblas_operation_17rocblas_diagonal_iiT3_T4_lilT5_lili.kd
    .uniform_work_group_size: 1
    .uses_dynamic_stack: false
    .vgpr_count:     18
    .vgpr_spill_count: 0
    .wavefront_size: 64
  - .args:
      - .offset:         0
        .size:           4
        .value_kind:     by_value
      - .offset:         4
        .size:           4
        .value_kind:     by_value
      - .offset:         8
        .size:           4
        .value_kind:     by_value
      - .offset:         12
        .size:           4
        .value_kind:     by_value
      - .offset:         16
        .size:           4
        .value_kind:     by_value
      - .offset:         20
        .size:           8
        .value_kind:     by_value
      - .address_space:  global
        .offset:         32
        .size:           8
        .value_kind:     global_buffer
      - .offset:         40
        .size:           8
        .value_kind:     by_value
      - .offset:         48
        .size:           4
        .value_kind:     by_value
      - .offset:         56
        .size:           8
        .value_kind:     by_value
      - .address_space:  global
        .offset:         64
        .size:           8
        .value_kind:     global_buffer
      - .offset:         72
        .size:           8
        .value_kind:     by_value
      - .offset:         80
        .size:           4
        .value_kind:     by_value
      - .offset:         88
        .size:           8
        .value_kind:     by_value
      - .offset:         96
        .size:           4
        .value_kind:     by_value
      - .offset:         104
        .size:           4
        .value_kind:     hidden_block_count_x
      - .offset:         108
        .size:           4
        .value_kind:     hidden_block_count_y
      - .offset:         112
        .size:           4
        .value_kind:     hidden_block_count_z
      - .offset:         116
        .size:           2
        .value_kind:     hidden_group_size_x
      - .offset:         118
        .size:           2
        .value_kind:     hidden_group_size_y
      - .offset:         120
        .size:           2
        .value_kind:     hidden_group_size_z
      - .offset:         122
        .size:           2
        .value_kind:     hidden_remainder_x
      - .offset:         124
        .size:           2
        .value_kind:     hidden_remainder_y
      - .offset:         126
        .size:           2
        .value_kind:     hidden_remainder_z
      - .offset:         144
        .size:           8
        .value_kind:     hidden_global_offset_x
      - .offset:         152
        .size:           8
        .value_kind:     hidden_global_offset_y
      - .offset:         160
        .size:           8
        .value_kind:     hidden_global_offset_z
      - .offset:         168
        .size:           2
        .value_kind:     hidden_grid_dims
    .group_segment_fixed_size: 384
    .kernarg_segment_align: 8
    .kernarg_segment_size: 360
    .language:       OpenCL C
    .language_version:
      - 2
      - 0
    .max_flat_workgroup_size: 4
    .name:           _ZL38rocblas_trsm_small_left_device_sharedBILi4ELi4ELb1E19rocblas_complex_numIfES1_PKS1_PS1_Ev13rocblas_fill_18rocblas_operation_17rocblas_diagonal_iiT3_T4_lilT5_lili
    .private_segment_fixed_size: 0
    .sgpr_count:     36
    .sgpr_spill_count: 0
    .symbol:         _ZL38rocblas_trsm_small_left_device_sharedBILi4ELi4ELb1E19rocblas_complex_numIfES1_PKS1_PS1_Ev13rocblas_fill_18rocblas_operation_17rocblas_diagonal_iiT3_T4_lilT5_lili.kd
    .uniform_work_group_size: 1
    .uses_dynamic_stack: false
    .vgpr_count:     24
    .vgpr_spill_count: 0
    .wavefront_size: 64
  - .args:
      - .offset:         0
        .size:           4
        .value_kind:     by_value
      - .offset:         4
        .size:           4
        .value_kind:     by_value
      - .offset:         8
        .size:           4
        .value_kind:     by_value
      - .offset:         12
        .size:           4
        .value_kind:     by_value
      - .offset:         16
        .size:           4
        .value_kind:     by_value
      - .offset:         20
        .size:           8
        .value_kind:     by_value
      - .address_space:  global
        .offset:         32
        .size:           8
        .value_kind:     global_buffer
      - .offset:         40
        .size:           8
        .value_kind:     by_value
      - .offset:         48
        .size:           4
        .value_kind:     by_value
      - .offset:         56
        .size:           8
        .value_kind:     by_value
      - .address_space:  global
        .offset:         64
        .size:           8
        .value_kind:     global_buffer
      - .offset:         72
        .size:           8
        .value_kind:     by_value
      - .offset:         80
        .size:           4
        .value_kind:     by_value
      - .offset:         88
        .size:           8
        .value_kind:     by_value
      - .offset:         96
        .size:           4
        .value_kind:     by_value
      - .offset:         104
        .size:           4
        .value_kind:     hidden_block_count_x
      - .offset:         108
        .size:           4
        .value_kind:     hidden_block_count_y
      - .offset:         112
        .size:           4
        .value_kind:     hidden_block_count_z
      - .offset:         116
        .size:           2
        .value_kind:     hidden_group_size_x
      - .offset:         118
        .size:           2
        .value_kind:     hidden_group_size_y
      - .offset:         120
        .size:           2
        .value_kind:     hidden_group_size_z
      - .offset:         122
        .size:           2
        .value_kind:     hidden_remainder_x
      - .offset:         124
        .size:           2
        .value_kind:     hidden_remainder_y
      - .offset:         126
        .size:           2
        .value_kind:     hidden_remainder_z
      - .offset:         144
        .size:           8
        .value_kind:     hidden_global_offset_x
      - .offset:         152
        .size:           8
        .value_kind:     hidden_global_offset_y
      - .offset:         160
        .size:           8
        .value_kind:     hidden_global_offset_z
      - .offset:         168
        .size:           2
        .value_kind:     hidden_grid_dims
    .group_segment_fixed_size: 256
    .kernarg_segment_align: 8
    .kernarg_segment_size: 360
    .language:       OpenCL C
    .language_version:
      - 2
      - 0
    .max_flat_workgroup_size: 4
    .name:           _ZL30rocblas_trsm_small_left_deviceILi4ELi4ELb1E19rocblas_complex_numIfES1_PKS1_PS1_Ev13rocblas_fill_18rocblas_operation_17rocblas_diagonal_iiT3_T4_lilT5_lili
    .private_segment_fixed_size: 0
    .sgpr_count:     36
    .sgpr_spill_count: 0
    .symbol:         _ZL30rocblas_trsm_small_left_deviceILi4ELi4ELb1E19rocblas_complex_numIfES1_PKS1_PS1_Ev13rocblas_fill_18rocblas_operation_17rocblas_diagonal_iiT3_T4_lilT5_lili.kd
    .uniform_work_group_size: 1
    .uses_dynamic_stack: false
    .vgpr_count:     16
    .vgpr_spill_count: 0
    .wavefront_size: 64
  - .args:
      - .offset:         0
        .size:           4
        .value_kind:     by_value
      - .offset:         4
        .size:           4
        .value_kind:     by_value
      - .offset:         8
        .size:           4
        .value_kind:     by_value
      - .offset:         12
        .size:           4
        .value_kind:     by_value
      - .offset:         16
        .size:           4
        .value_kind:     by_value
      - .offset:         20
        .size:           8
        .value_kind:     by_value
      - .address_space:  global
        .offset:         32
        .size:           8
        .value_kind:     global_buffer
      - .offset:         40
        .size:           8
        .value_kind:     by_value
      - .offset:         48
        .size:           4
        .value_kind:     by_value
      - .offset:         56
        .size:           8
        .value_kind:     by_value
      - .address_space:  global
        .offset:         64
        .size:           8
        .value_kind:     global_buffer
      - .offset:         72
        .size:           8
        .value_kind:     by_value
      - .offset:         80
        .size:           4
        .value_kind:     by_value
      - .offset:         88
        .size:           8
        .value_kind:     by_value
      - .offset:         96
        .size:           4
        .value_kind:     by_value
      - .offset:         104
        .size:           4
        .value_kind:     hidden_block_count_x
      - .offset:         108
        .size:           4
        .value_kind:     hidden_block_count_y
      - .offset:         112
        .size:           4
        .value_kind:     hidden_block_count_z
      - .offset:         116
        .size:           2
        .value_kind:     hidden_group_size_x
      - .offset:         118
        .size:           2
        .value_kind:     hidden_group_size_y
      - .offset:         120
        .size:           2
        .value_kind:     hidden_group_size_z
      - .offset:         122
        .size:           2
        .value_kind:     hidden_remainder_x
      - .offset:         124
        .size:           2
        .value_kind:     hidden_remainder_y
      - .offset:         126
        .size:           2
        .value_kind:     hidden_remainder_z
      - .offset:         144
        .size:           8
        .value_kind:     hidden_global_offset_x
      - .offset:         152
        .size:           8
        .value_kind:     hidden_global_offset_y
      - .offset:         160
        .size:           8
        .value_kind:     hidden_global_offset_z
      - .offset:         168
        .size:           2
        .value_kind:     hidden_grid_dims
    .group_segment_fixed_size: 256
    .kernarg_segment_align: 8
    .kernarg_segment_size: 360
    .language:       OpenCL C
    .language_version:
      - 2
      - 0
    .max_flat_workgroup_size: 4
    .name:           _ZL31rocblas_trsm_small_right_deviceI19rocblas_complex_numIfES1_PKS1_PS1_Li4EEv13rocblas_fill_18rocblas_operation_17rocblas_diagonal_iiT0_T1_lilT2_lili
    .private_segment_fixed_size: 0
    .sgpr_count:     36
    .sgpr_spill_count: 0
    .symbol:         _ZL31rocblas_trsm_small_right_deviceI19rocblas_complex_numIfES1_PKS1_PS1_Li4EEv13rocblas_fill_18rocblas_operation_17rocblas_diagonal_iiT0_T1_lilT2_lili.kd
    .uniform_work_group_size: 1
    .uses_dynamic_stack: false
    .vgpr_count:     23
    .vgpr_spill_count: 0
    .wavefront_size: 64
  - .args:
      - .offset:         0
        .size:           4
        .value_kind:     by_value
      - .offset:         4
        .size:           4
        .value_kind:     by_value
      - .offset:         8
        .size:           4
        .value_kind:     by_value
      - .offset:         12
        .size:           4
        .value_kind:     by_value
      - .offset:         16
        .size:           4
        .value_kind:     by_value
      - .offset:         20
        .size:           8
        .value_kind:     by_value
      - .address_space:  global
        .offset:         32
        .size:           8
        .value_kind:     global_buffer
      - .offset:         40
        .size:           8
        .value_kind:     by_value
      - .offset:         48
        .size:           4
        .value_kind:     by_value
      - .offset:         56
        .size:           8
        .value_kind:     by_value
      - .address_space:  global
        .offset:         64
        .size:           8
        .value_kind:     global_buffer
      - .offset:         72
        .size:           8
        .value_kind:     by_value
      - .offset:         80
        .size:           4
        .value_kind:     by_value
      - .offset:         88
        .size:           8
        .value_kind:     by_value
      - .offset:         96
        .size:           4
        .value_kind:     by_value
      - .offset:         104
        .size:           4
        .value_kind:     hidden_block_count_x
      - .offset:         108
        .size:           4
        .value_kind:     hidden_block_count_y
      - .offset:         112
        .size:           4
        .value_kind:     hidden_block_count_z
      - .offset:         116
        .size:           2
        .value_kind:     hidden_group_size_x
      - .offset:         118
        .size:           2
        .value_kind:     hidden_group_size_y
      - .offset:         120
        .size:           2
        .value_kind:     hidden_group_size_z
      - .offset:         122
        .size:           2
        .value_kind:     hidden_remainder_x
      - .offset:         124
        .size:           2
        .value_kind:     hidden_remainder_y
      - .offset:         126
        .size:           2
        .value_kind:     hidden_remainder_z
      - .offset:         144
        .size:           8
        .value_kind:     hidden_global_offset_x
      - .offset:         152
        .size:           8
        .value_kind:     hidden_global_offset_y
      - .offset:         160
        .size:           8
        .value_kind:     hidden_global_offset_z
      - .offset:         168
        .size:           2
        .value_kind:     hidden_grid_dims
    .group_segment_fixed_size: 1536
    .kernarg_segment_align: 8
    .kernarg_segment_size: 360
    .language:       OpenCL C
    .language_version:
      - 2
      - 0
    .max_flat_workgroup_size: 8
    .name:           _ZL38rocblas_trsm_small_left_device_sharedBILi8ELi8ELb0E19rocblas_complex_numIfES1_PKS1_PS1_Ev13rocblas_fill_18rocblas_operation_17rocblas_diagonal_iiT3_T4_lilT5_lili
    .private_segment_fixed_size: 0
    .sgpr_count:     36
    .sgpr_spill_count: 0
    .symbol:         _ZL38rocblas_trsm_small_left_device_sharedBILi8ELi8ELb0E19rocblas_complex_numIfES1_PKS1_PS1_Ev13rocblas_fill_18rocblas_operation_17rocblas_diagonal_iiT3_T4_lilT5_lili.kd
    .uniform_work_group_size: 1
    .uses_dynamic_stack: false
    .vgpr_count:     43
    .vgpr_spill_count: 0
    .wavefront_size: 64
  - .args:
      - .offset:         0
        .size:           4
        .value_kind:     by_value
      - .offset:         4
        .size:           4
        .value_kind:     by_value
      - .offset:         8
        .size:           4
        .value_kind:     by_value
      - .offset:         12
        .size:           4
        .value_kind:     by_value
      - .offset:         16
        .size:           4
        .value_kind:     by_value
      - .offset:         20
        .size:           8
        .value_kind:     by_value
      - .address_space:  global
        .offset:         32
        .size:           8
        .value_kind:     global_buffer
      - .offset:         40
        .size:           8
        .value_kind:     by_value
      - .offset:         48
        .size:           4
        .value_kind:     by_value
      - .offset:         56
        .size:           8
        .value_kind:     by_value
      - .address_space:  global
        .offset:         64
        .size:           8
        .value_kind:     global_buffer
      - .offset:         72
        .size:           8
        .value_kind:     by_value
      - .offset:         80
        .size:           4
        .value_kind:     by_value
      - .offset:         88
        .size:           8
        .value_kind:     by_value
      - .offset:         96
        .size:           4
        .value_kind:     by_value
      - .offset:         104
        .size:           4
        .value_kind:     hidden_block_count_x
      - .offset:         108
        .size:           4
        .value_kind:     hidden_block_count_y
      - .offset:         112
        .size:           4
        .value_kind:     hidden_block_count_z
      - .offset:         116
        .size:           2
        .value_kind:     hidden_group_size_x
      - .offset:         118
        .size:           2
        .value_kind:     hidden_group_size_y
      - .offset:         120
        .size:           2
        .value_kind:     hidden_group_size_z
      - .offset:         122
        .size:           2
        .value_kind:     hidden_remainder_x
      - .offset:         124
        .size:           2
        .value_kind:     hidden_remainder_y
      - .offset:         126
        .size:           2
        .value_kind:     hidden_remainder_z
      - .offset:         144
        .size:           8
        .value_kind:     hidden_global_offset_x
      - .offset:         152
        .size:           8
        .value_kind:     hidden_global_offset_y
      - .offset:         160
        .size:           8
        .value_kind:     hidden_global_offset_z
      - .offset:         168
        .size:           2
        .value_kind:     hidden_grid_dims
    .group_segment_fixed_size: 1024
    .kernarg_segment_align: 8
    .kernarg_segment_size: 360
    .language:       OpenCL C
    .language_version:
      - 2
      - 0
    .max_flat_workgroup_size: 8
    .name:           _ZL30rocblas_trsm_small_left_deviceILi8ELi8ELb0E19rocblas_complex_numIfES1_PKS1_PS1_Ev13rocblas_fill_18rocblas_operation_17rocblas_diagonal_iiT3_T4_lilT5_lili
    .private_segment_fixed_size: 0
    .sgpr_count:     36
    .sgpr_spill_count: 0
    .symbol:         _ZL30rocblas_trsm_small_left_deviceILi8ELi8ELb0E19rocblas_complex_numIfES1_PKS1_PS1_Ev13rocblas_fill_18rocblas_operation_17rocblas_diagonal_iiT3_T4_lilT5_lili.kd
    .uniform_work_group_size: 1
    .uses_dynamic_stack: false
    .vgpr_count:     18
    .vgpr_spill_count: 0
    .wavefront_size: 64
  - .args:
      - .offset:         0
        .size:           4
        .value_kind:     by_value
      - .offset:         4
        .size:           4
        .value_kind:     by_value
      - .offset:         8
        .size:           4
        .value_kind:     by_value
      - .offset:         12
        .size:           4
        .value_kind:     by_value
      - .offset:         16
        .size:           4
        .value_kind:     by_value
      - .offset:         20
        .size:           8
        .value_kind:     by_value
      - .address_space:  global
        .offset:         32
        .size:           8
        .value_kind:     global_buffer
      - .offset:         40
        .size:           8
        .value_kind:     by_value
      - .offset:         48
        .size:           4
        .value_kind:     by_value
      - .offset:         56
        .size:           8
        .value_kind:     by_value
      - .address_space:  global
        .offset:         64
        .size:           8
        .value_kind:     global_buffer
      - .offset:         72
        .size:           8
        .value_kind:     by_value
      - .offset:         80
        .size:           4
        .value_kind:     by_value
      - .offset:         88
        .size:           8
        .value_kind:     by_value
      - .offset:         96
        .size:           4
        .value_kind:     by_value
      - .offset:         104
        .size:           4
        .value_kind:     hidden_block_count_x
      - .offset:         108
        .size:           4
        .value_kind:     hidden_block_count_y
      - .offset:         112
        .size:           4
        .value_kind:     hidden_block_count_z
      - .offset:         116
        .size:           2
        .value_kind:     hidden_group_size_x
      - .offset:         118
        .size:           2
        .value_kind:     hidden_group_size_y
      - .offset:         120
        .size:           2
        .value_kind:     hidden_group_size_z
      - .offset:         122
        .size:           2
        .value_kind:     hidden_remainder_x
      - .offset:         124
        .size:           2
        .value_kind:     hidden_remainder_y
      - .offset:         126
        .size:           2
        .value_kind:     hidden_remainder_z
      - .offset:         144
        .size:           8
        .value_kind:     hidden_global_offset_x
      - .offset:         152
        .size:           8
        .value_kind:     hidden_global_offset_y
      - .offset:         160
        .size:           8
        .value_kind:     hidden_global_offset_z
      - .offset:         168
        .size:           2
        .value_kind:     hidden_grid_dims
    .group_segment_fixed_size: 1536
    .kernarg_segment_align: 8
    .kernarg_segment_size: 360
    .language:       OpenCL C
    .language_version:
      - 2
      - 0
    .max_flat_workgroup_size: 8
    .name:           _ZL38rocblas_trsm_small_left_device_sharedBILi8ELi8ELb1E19rocblas_complex_numIfES1_PKS1_PS1_Ev13rocblas_fill_18rocblas_operation_17rocblas_diagonal_iiT3_T4_lilT5_lili
    .private_segment_fixed_size: 0
    .sgpr_count:     36
    .sgpr_spill_count: 0
    .symbol:         _ZL38rocblas_trsm_small_left_device_sharedBILi8ELi8ELb1E19rocblas_complex_numIfES1_PKS1_PS1_Ev13rocblas_fill_18rocblas_operation_17rocblas_diagonal_iiT3_T4_lilT5_lili.kd
    .uniform_work_group_size: 1
    .uses_dynamic_stack: false
    .vgpr_count:     35
    .vgpr_spill_count: 0
    .wavefront_size: 64
  - .args:
      - .offset:         0
        .size:           4
        .value_kind:     by_value
      - .offset:         4
        .size:           4
        .value_kind:     by_value
      - .offset:         8
        .size:           4
        .value_kind:     by_value
      - .offset:         12
        .size:           4
        .value_kind:     by_value
      - .offset:         16
        .size:           4
        .value_kind:     by_value
      - .offset:         20
        .size:           8
        .value_kind:     by_value
      - .address_space:  global
        .offset:         32
        .size:           8
        .value_kind:     global_buffer
      - .offset:         40
        .size:           8
        .value_kind:     by_value
      - .offset:         48
        .size:           4
        .value_kind:     by_value
      - .offset:         56
        .size:           8
        .value_kind:     by_value
      - .address_space:  global
        .offset:         64
        .size:           8
        .value_kind:     global_buffer
      - .offset:         72
        .size:           8
        .value_kind:     by_value
      - .offset:         80
        .size:           4
        .value_kind:     by_value
      - .offset:         88
        .size:           8
        .value_kind:     by_value
      - .offset:         96
        .size:           4
        .value_kind:     by_value
      - .offset:         104
        .size:           4
        .value_kind:     hidden_block_count_x
      - .offset:         108
        .size:           4
        .value_kind:     hidden_block_count_y
      - .offset:         112
        .size:           4
        .value_kind:     hidden_block_count_z
      - .offset:         116
        .size:           2
        .value_kind:     hidden_group_size_x
      - .offset:         118
        .size:           2
        .value_kind:     hidden_group_size_y
      - .offset:         120
        .size:           2
        .value_kind:     hidden_group_size_z
      - .offset:         122
        .size:           2
        .value_kind:     hidden_remainder_x
      - .offset:         124
        .size:           2
        .value_kind:     hidden_remainder_y
      - .offset:         126
        .size:           2
        .value_kind:     hidden_remainder_z
      - .offset:         144
        .size:           8
        .value_kind:     hidden_global_offset_x
      - .offset:         152
        .size:           8
        .value_kind:     hidden_global_offset_y
      - .offset:         160
        .size:           8
        .value_kind:     hidden_global_offset_z
      - .offset:         168
        .size:           2
        .value_kind:     hidden_grid_dims
    .group_segment_fixed_size: 1024
    .kernarg_segment_align: 8
    .kernarg_segment_size: 360
    .language:       OpenCL C
    .language_version:
      - 2
      - 0
    .max_flat_workgroup_size: 8
    .name:           _ZL30rocblas_trsm_small_left_deviceILi8ELi8ELb1E19rocblas_complex_numIfES1_PKS1_PS1_Ev13rocblas_fill_18rocblas_operation_17rocblas_diagonal_iiT3_T4_lilT5_lili
    .private_segment_fixed_size: 0
    .sgpr_count:     36
    .sgpr_spill_count: 0
    .symbol:         _ZL30rocblas_trsm_small_left_deviceILi8ELi8ELb1E19rocblas_complex_numIfES1_PKS1_PS1_Ev13rocblas_fill_18rocblas_operation_17rocblas_diagonal_iiT3_T4_lilT5_lili.kd
    .uniform_work_group_size: 1
    .uses_dynamic_stack: false
    .vgpr_count:     16
    .vgpr_spill_count: 0
    .wavefront_size: 64
  - .args:
      - .offset:         0
        .size:           4
        .value_kind:     by_value
      - .offset:         4
        .size:           4
        .value_kind:     by_value
      - .offset:         8
        .size:           4
        .value_kind:     by_value
      - .offset:         12
        .size:           4
        .value_kind:     by_value
      - .offset:         16
        .size:           4
        .value_kind:     by_value
      - .offset:         20
        .size:           8
        .value_kind:     by_value
      - .address_space:  global
        .offset:         32
        .size:           8
        .value_kind:     global_buffer
      - .offset:         40
        .size:           8
        .value_kind:     by_value
      - .offset:         48
        .size:           4
        .value_kind:     by_value
      - .offset:         56
        .size:           8
        .value_kind:     by_value
      - .address_space:  global
        .offset:         64
        .size:           8
        .value_kind:     global_buffer
      - .offset:         72
        .size:           8
        .value_kind:     by_value
      - .offset:         80
        .size:           4
        .value_kind:     by_value
      - .offset:         88
        .size:           8
        .value_kind:     by_value
      - .offset:         96
        .size:           4
        .value_kind:     by_value
      - .offset:         104
        .size:           4
        .value_kind:     hidden_block_count_x
      - .offset:         108
        .size:           4
        .value_kind:     hidden_block_count_y
      - .offset:         112
        .size:           4
        .value_kind:     hidden_block_count_z
      - .offset:         116
        .size:           2
        .value_kind:     hidden_group_size_x
      - .offset:         118
        .size:           2
        .value_kind:     hidden_group_size_y
      - .offset:         120
        .size:           2
        .value_kind:     hidden_group_size_z
      - .offset:         122
        .size:           2
        .value_kind:     hidden_remainder_x
      - .offset:         124
        .size:           2
        .value_kind:     hidden_remainder_y
      - .offset:         126
        .size:           2
        .value_kind:     hidden_remainder_z
      - .offset:         144
        .size:           8
        .value_kind:     hidden_global_offset_x
      - .offset:         152
        .size:           8
        .value_kind:     hidden_global_offset_y
      - .offset:         160
        .size:           8
        .value_kind:     hidden_global_offset_z
      - .offset:         168
        .size:           2
        .value_kind:     hidden_grid_dims
    .group_segment_fixed_size: 1024
    .kernarg_segment_align: 8
    .kernarg_segment_size: 360
    .language:       OpenCL C
    .language_version:
      - 2
      - 0
    .max_flat_workgroup_size: 8
    .name:           _ZL31rocblas_trsm_small_right_deviceI19rocblas_complex_numIfES1_PKS1_PS1_Li8EEv13rocblas_fill_18rocblas_operation_17rocblas_diagonal_iiT0_T1_lilT2_lili
    .private_segment_fixed_size: 0
    .sgpr_count:     36
    .sgpr_spill_count: 0
    .symbol:         _ZL31rocblas_trsm_small_right_deviceI19rocblas_complex_numIfES1_PKS1_PS1_Li8EEv13rocblas_fill_18rocblas_operation_17rocblas_diagonal_iiT0_T1_lilT2_lili.kd
    .uniform_work_group_size: 1
    .uses_dynamic_stack: false
    .vgpr_count:     27
    .vgpr_spill_count: 0
    .wavefront_size: 64
  - .args:
      - .offset:         0
        .size:           4
        .value_kind:     by_value
      - .offset:         4
        .size:           4
        .value_kind:     by_value
      - .offset:         8
        .size:           4
        .value_kind:     by_value
      - .offset:         12
        .size:           4
        .value_kind:     by_value
      - .offset:         16
        .size:           4
        .value_kind:     by_value
      - .offset:         20
        .size:           8
        .value_kind:     by_value
      - .address_space:  global
        .offset:         32
        .size:           8
        .value_kind:     global_buffer
      - .offset:         40
        .size:           8
        .value_kind:     by_value
      - .offset:         48
        .size:           4
        .value_kind:     by_value
      - .offset:         56
        .size:           8
        .value_kind:     by_value
      - .address_space:  global
        .offset:         64
        .size:           8
        .value_kind:     global_buffer
      - .offset:         72
        .size:           8
        .value_kind:     by_value
      - .offset:         80
        .size:           4
        .value_kind:     by_value
      - .offset:         88
        .size:           8
        .value_kind:     by_value
      - .offset:         96
        .size:           4
        .value_kind:     by_value
      - .offset:         104
        .size:           4
        .value_kind:     hidden_block_count_x
      - .offset:         108
        .size:           4
        .value_kind:     hidden_block_count_y
      - .offset:         112
        .size:           4
        .value_kind:     hidden_block_count_z
      - .offset:         116
        .size:           2
        .value_kind:     hidden_group_size_x
      - .offset:         118
        .size:           2
        .value_kind:     hidden_group_size_y
      - .offset:         120
        .size:           2
        .value_kind:     hidden_group_size_z
      - .offset:         122
        .size:           2
        .value_kind:     hidden_remainder_x
      - .offset:         124
        .size:           2
        .value_kind:     hidden_remainder_y
      - .offset:         126
        .size:           2
        .value_kind:     hidden_remainder_z
      - .offset:         144
        .size:           8
        .value_kind:     hidden_global_offset_x
      - .offset:         152
        .size:           8
        .value_kind:     hidden_global_offset_y
      - .offset:         160
        .size:           8
        .value_kind:     hidden_global_offset_z
      - .offset:         168
        .size:           2
        .value_kind:     hidden_grid_dims
    .group_segment_fixed_size: 2304
    .kernarg_segment_align: 8
    .kernarg_segment_size: 360
    .language:       OpenCL C
    .language_version:
      - 2
      - 0
    .max_flat_workgroup_size: 12
    .name:           _ZL38rocblas_trsm_small_left_device_sharedBILi12ELi12ELb0E19rocblas_complex_numIfES1_PKS1_PS1_Ev13rocblas_fill_18rocblas_operation_17rocblas_diagonal_iiT3_T4_lilT5_lili
    .private_segment_fixed_size: 112
    .sgpr_count:     41
    .sgpr_spill_count: 0
    .symbol:         _ZL38rocblas_trsm_small_left_device_sharedBILi12ELi12ELb0E19rocblas_complex_numIfES1_PKS1_PS1_Ev13rocblas_fill_18rocblas_operation_17rocblas_diagonal_iiT3_T4_lilT5_lili.kd
    .uniform_work_group_size: 1
    .uses_dynamic_stack: false
    .vgpr_count:     12
    .vgpr_spill_count: 0
    .wavefront_size: 64
  - .args:
      - .offset:         0
        .size:           4
        .value_kind:     by_value
      - .offset:         4
        .size:           4
        .value_kind:     by_value
      - .offset:         8
        .size:           4
        .value_kind:     by_value
      - .offset:         12
        .size:           4
        .value_kind:     by_value
      - .offset:         16
        .size:           4
        .value_kind:     by_value
      - .offset:         20
        .size:           8
        .value_kind:     by_value
      - .address_space:  global
        .offset:         32
        .size:           8
        .value_kind:     global_buffer
      - .offset:         40
        .size:           8
        .value_kind:     by_value
      - .offset:         48
        .size:           4
        .value_kind:     by_value
      - .offset:         56
        .size:           8
        .value_kind:     by_value
      - .address_space:  global
        .offset:         64
        .size:           8
        .value_kind:     global_buffer
      - .offset:         72
        .size:           8
        .value_kind:     by_value
      - .offset:         80
        .size:           4
        .value_kind:     by_value
      - .offset:         88
        .size:           8
        .value_kind:     by_value
      - .offset:         96
        .size:           4
        .value_kind:     by_value
      - .offset:         104
        .size:           4
        .value_kind:     hidden_block_count_x
      - .offset:         108
        .size:           4
        .value_kind:     hidden_block_count_y
      - .offset:         112
        .size:           4
        .value_kind:     hidden_block_count_z
      - .offset:         116
        .size:           2
        .value_kind:     hidden_group_size_x
      - .offset:         118
        .size:           2
        .value_kind:     hidden_group_size_y
      - .offset:         120
        .size:           2
        .value_kind:     hidden_group_size_z
      - .offset:         122
        .size:           2
        .value_kind:     hidden_remainder_x
      - .offset:         124
        .size:           2
        .value_kind:     hidden_remainder_y
      - .offset:         126
        .size:           2
        .value_kind:     hidden_remainder_z
      - .offset:         144
        .size:           8
        .value_kind:     hidden_global_offset_x
      - .offset:         152
        .size:           8
        .value_kind:     hidden_global_offset_y
      - .offset:         160
        .size:           8
        .value_kind:     hidden_global_offset_z
      - .offset:         168
        .size:           2
        .value_kind:     hidden_grid_dims
    .group_segment_fixed_size: 1152
    .kernarg_segment_align: 8
    .kernarg_segment_size: 360
    .language:       OpenCL C
    .language_version:
      - 2
      - 0
    .max_flat_workgroup_size: 12
    .name:           _ZL30rocblas_trsm_small_left_deviceILi12ELi12ELb0E19rocblas_complex_numIfES1_PKS1_PS1_Ev13rocblas_fill_18rocblas_operation_17rocblas_diagonal_iiT3_T4_lilT5_lili
    .private_segment_fixed_size: 112
    .sgpr_count:     36
    .sgpr_spill_count: 0
    .symbol:         _ZL30rocblas_trsm_small_left_deviceILi12ELi12ELb0E19rocblas_complex_numIfES1_PKS1_PS1_Ev13rocblas_fill_18rocblas_operation_17rocblas_diagonal_iiT3_T4_lilT5_lili.kd
    .uniform_work_group_size: 1
    .uses_dynamic_stack: false
    .vgpr_count:     16
    .vgpr_spill_count: 0
    .wavefront_size: 64
  - .args:
      - .offset:         0
        .size:           4
        .value_kind:     by_value
      - .offset:         4
        .size:           4
        .value_kind:     by_value
      - .offset:         8
        .size:           4
        .value_kind:     by_value
      - .offset:         12
        .size:           4
        .value_kind:     by_value
      - .offset:         16
        .size:           4
        .value_kind:     by_value
      - .offset:         20
        .size:           8
        .value_kind:     by_value
      - .address_space:  global
        .offset:         32
        .size:           8
        .value_kind:     global_buffer
      - .offset:         40
        .size:           8
        .value_kind:     by_value
      - .offset:         48
        .size:           4
        .value_kind:     by_value
      - .offset:         56
        .size:           8
        .value_kind:     by_value
      - .address_space:  global
        .offset:         64
        .size:           8
        .value_kind:     global_buffer
      - .offset:         72
        .size:           8
        .value_kind:     by_value
      - .offset:         80
        .size:           4
        .value_kind:     by_value
      - .offset:         88
        .size:           8
        .value_kind:     by_value
      - .offset:         96
        .size:           4
        .value_kind:     by_value
      - .offset:         104
        .size:           4
        .value_kind:     hidden_block_count_x
      - .offset:         108
        .size:           4
        .value_kind:     hidden_block_count_y
      - .offset:         112
        .size:           4
        .value_kind:     hidden_block_count_z
      - .offset:         116
        .size:           2
        .value_kind:     hidden_group_size_x
      - .offset:         118
        .size:           2
        .value_kind:     hidden_group_size_y
      - .offset:         120
        .size:           2
        .value_kind:     hidden_group_size_z
      - .offset:         122
        .size:           2
        .value_kind:     hidden_remainder_x
      - .offset:         124
        .size:           2
        .value_kind:     hidden_remainder_y
      - .offset:         126
        .size:           2
        .value_kind:     hidden_remainder_z
      - .offset:         144
        .size:           8
        .value_kind:     hidden_global_offset_x
      - .offset:         152
        .size:           8
        .value_kind:     hidden_global_offset_y
      - .offset:         160
        .size:           8
        .value_kind:     hidden_global_offset_z
      - .offset:         168
        .size:           2
        .value_kind:     hidden_grid_dims
    .group_segment_fixed_size: 2304
    .kernarg_segment_align: 8
    .kernarg_segment_size: 360
    .language:       OpenCL C
    .language_version:
      - 2
      - 0
    .max_flat_workgroup_size: 12
    .name:           _ZL38rocblas_trsm_small_left_device_sharedBILi12ELi12ELb1E19rocblas_complex_numIfES1_PKS1_PS1_Ev13rocblas_fill_18rocblas_operation_17rocblas_diagonal_iiT3_T4_lilT5_lili
    .private_segment_fixed_size: 112
    .sgpr_count:     42
    .sgpr_spill_count: 0
    .symbol:         _ZL38rocblas_trsm_small_left_device_sharedBILi12ELi12ELb1E19rocblas_complex_numIfES1_PKS1_PS1_Ev13rocblas_fill_18rocblas_operation_17rocblas_diagonal_iiT3_T4_lilT5_lili.kd
    .uniform_work_group_size: 1
    .uses_dynamic_stack: false
    .vgpr_count:     12
    .vgpr_spill_count: 0
    .wavefront_size: 64
  - .args:
      - .offset:         0
        .size:           4
        .value_kind:     by_value
      - .offset:         4
        .size:           4
        .value_kind:     by_value
      - .offset:         8
        .size:           4
        .value_kind:     by_value
      - .offset:         12
        .size:           4
        .value_kind:     by_value
      - .offset:         16
        .size:           4
        .value_kind:     by_value
      - .offset:         20
        .size:           8
        .value_kind:     by_value
      - .address_space:  global
        .offset:         32
        .size:           8
        .value_kind:     global_buffer
      - .offset:         40
        .size:           8
        .value_kind:     by_value
      - .offset:         48
        .size:           4
        .value_kind:     by_value
      - .offset:         56
        .size:           8
        .value_kind:     by_value
      - .address_space:  global
        .offset:         64
        .size:           8
        .value_kind:     global_buffer
      - .offset:         72
        .size:           8
        .value_kind:     by_value
      - .offset:         80
        .size:           4
        .value_kind:     by_value
      - .offset:         88
        .size:           8
        .value_kind:     by_value
      - .offset:         96
        .size:           4
        .value_kind:     by_value
      - .offset:         104
        .size:           4
        .value_kind:     hidden_block_count_x
      - .offset:         108
        .size:           4
        .value_kind:     hidden_block_count_y
      - .offset:         112
        .size:           4
        .value_kind:     hidden_block_count_z
      - .offset:         116
        .size:           2
        .value_kind:     hidden_group_size_x
      - .offset:         118
        .size:           2
        .value_kind:     hidden_group_size_y
      - .offset:         120
        .size:           2
        .value_kind:     hidden_group_size_z
      - .offset:         122
        .size:           2
        .value_kind:     hidden_remainder_x
      - .offset:         124
        .size:           2
        .value_kind:     hidden_remainder_y
      - .offset:         126
        .size:           2
        .value_kind:     hidden_remainder_z
      - .offset:         144
        .size:           8
        .value_kind:     hidden_global_offset_x
      - .offset:         152
        .size:           8
        .value_kind:     hidden_global_offset_y
      - .offset:         160
        .size:           8
        .value_kind:     hidden_global_offset_z
      - .offset:         168
        .size:           2
        .value_kind:     hidden_grid_dims
    .group_segment_fixed_size: 1152
    .kernarg_segment_align: 8
    .kernarg_segment_size: 360
    .language:       OpenCL C
    .language_version:
      - 2
      - 0
    .max_flat_workgroup_size: 12
    .name:           _ZL30rocblas_trsm_small_left_deviceILi12ELi12ELb1E19rocblas_complex_numIfES1_PKS1_PS1_Ev13rocblas_fill_18rocblas_operation_17rocblas_diagonal_iiT3_T4_lilT5_lili
    .private_segment_fixed_size: 112
    .sgpr_count:     39
    .sgpr_spill_count: 0
    .symbol:         _ZL30rocblas_trsm_small_left_deviceILi12ELi12ELb1E19rocblas_complex_numIfES1_PKS1_PS1_Ev13rocblas_fill_18rocblas_operation_17rocblas_diagonal_iiT3_T4_lilT5_lili.kd
    .uniform_work_group_size: 1
    .uses_dynamic_stack: false
    .vgpr_count:     14
    .vgpr_spill_count: 0
    .wavefront_size: 64
  - .args:
      - .offset:         0
        .size:           4
        .value_kind:     by_value
      - .offset:         4
        .size:           4
        .value_kind:     by_value
      - .offset:         8
        .size:           4
        .value_kind:     by_value
      - .offset:         12
        .size:           4
        .value_kind:     by_value
      - .offset:         16
        .size:           4
        .value_kind:     by_value
      - .offset:         20
        .size:           8
        .value_kind:     by_value
      - .address_space:  global
        .offset:         32
        .size:           8
        .value_kind:     global_buffer
      - .offset:         40
        .size:           8
        .value_kind:     by_value
      - .offset:         48
        .size:           4
        .value_kind:     by_value
      - .offset:         56
        .size:           8
        .value_kind:     by_value
      - .address_space:  global
        .offset:         64
        .size:           8
        .value_kind:     global_buffer
      - .offset:         72
        .size:           8
        .value_kind:     by_value
      - .offset:         80
        .size:           4
        .value_kind:     by_value
      - .offset:         88
        .size:           8
        .value_kind:     by_value
      - .offset:         96
        .size:           4
        .value_kind:     by_value
      - .offset:         104
        .size:           4
        .value_kind:     hidden_block_count_x
      - .offset:         108
        .size:           4
        .value_kind:     hidden_block_count_y
      - .offset:         112
        .size:           4
        .value_kind:     hidden_block_count_z
      - .offset:         116
        .size:           2
        .value_kind:     hidden_group_size_x
      - .offset:         118
        .size:           2
        .value_kind:     hidden_group_size_y
      - .offset:         120
        .size:           2
        .value_kind:     hidden_group_size_z
      - .offset:         122
        .size:           2
        .value_kind:     hidden_remainder_x
      - .offset:         124
        .size:           2
        .value_kind:     hidden_remainder_y
      - .offset:         126
        .size:           2
        .value_kind:     hidden_remainder_z
      - .offset:         144
        .size:           8
        .value_kind:     hidden_global_offset_x
      - .offset:         152
        .size:           8
        .value_kind:     hidden_global_offset_y
      - .offset:         160
        .size:           8
        .value_kind:     hidden_global_offset_z
      - .offset:         168
        .size:           2
        .value_kind:     hidden_grid_dims
    .group_segment_fixed_size: 2304
    .kernarg_segment_align: 8
    .kernarg_segment_size: 360
    .language:       OpenCL C
    .language_version:
      - 2
      - 0
    .max_flat_workgroup_size: 12
    .name:           _ZL31rocblas_trsm_small_right_deviceI19rocblas_complex_numIfES1_PKS1_PS1_Li12EEv13rocblas_fill_18rocblas_operation_17rocblas_diagonal_iiT0_T1_lilT2_lili
    .private_segment_fixed_size: 0
    .sgpr_count:     36
    .sgpr_spill_count: 0
    .symbol:         _ZL31rocblas_trsm_small_right_deviceI19rocblas_complex_numIfES1_PKS1_PS1_Li12EEv13rocblas_fill_18rocblas_operation_17rocblas_diagonal_iiT0_T1_lilT2_lili.kd
    .uniform_work_group_size: 1
    .uses_dynamic_stack: false
    .vgpr_count:     31
    .vgpr_spill_count: 0
    .wavefront_size: 64
  - .args:
      - .offset:         0
        .size:           4
        .value_kind:     by_value
      - .offset:         4
        .size:           4
        .value_kind:     by_value
      - .offset:         8
        .size:           4
        .value_kind:     by_value
      - .offset:         12
        .size:           4
        .value_kind:     by_value
      - .offset:         16
        .size:           4
        .value_kind:     by_value
      - .offset:         20
        .size:           8
        .value_kind:     by_value
      - .address_space:  global
        .offset:         32
        .size:           8
        .value_kind:     global_buffer
      - .offset:         40
        .size:           8
        .value_kind:     by_value
      - .offset:         48
        .size:           4
        .value_kind:     by_value
      - .offset:         56
        .size:           8
        .value_kind:     by_value
      - .address_space:  global
        .offset:         64
        .size:           8
        .value_kind:     global_buffer
      - .offset:         72
        .size:           8
        .value_kind:     by_value
      - .offset:         80
        .size:           4
        .value_kind:     by_value
      - .offset:         88
        .size:           8
        .value_kind:     by_value
      - .offset:         96
        .size:           4
        .value_kind:     by_value
      - .offset:         104
        .size:           4
        .value_kind:     hidden_block_count_x
      - .offset:         108
        .size:           4
        .value_kind:     hidden_block_count_y
      - .offset:         112
        .size:           4
        .value_kind:     hidden_block_count_z
      - .offset:         116
        .size:           2
        .value_kind:     hidden_group_size_x
      - .offset:         118
        .size:           2
        .value_kind:     hidden_group_size_y
      - .offset:         120
        .size:           2
        .value_kind:     hidden_group_size_z
      - .offset:         122
        .size:           2
        .value_kind:     hidden_remainder_x
      - .offset:         124
        .size:           2
        .value_kind:     hidden_remainder_y
      - .offset:         126
        .size:           2
        .value_kind:     hidden_remainder_z
      - .offset:         144
        .size:           8
        .value_kind:     hidden_global_offset_x
      - .offset:         152
        .size:           8
        .value_kind:     hidden_global_offset_y
      - .offset:         160
        .size:           8
        .value_kind:     hidden_global_offset_z
      - .offset:         168
        .size:           2
        .value_kind:     hidden_grid_dims
    .group_segment_fixed_size: 4096
    .kernarg_segment_align: 8
    .kernarg_segment_size: 360
    .language:       OpenCL C
    .language_version:
      - 2
      - 0
    .max_flat_workgroup_size: 16
    .name:           _ZL38rocblas_trsm_small_left_device_sharedBILi16ELi16ELb0E19rocblas_complex_numIfES1_PKS1_PS1_Ev13rocblas_fill_18rocblas_operation_17rocblas_diagonal_iiT3_T4_lilT5_lili
    .private_segment_fixed_size: 144
    .sgpr_count:     41
    .sgpr_spill_count: 0
    .symbol:         _ZL38rocblas_trsm_small_left_device_sharedBILi16ELi16ELb0E19rocblas_complex_numIfES1_PKS1_PS1_Ev13rocblas_fill_18rocblas_operation_17rocblas_diagonal_iiT3_T4_lilT5_lili.kd
    .uniform_work_group_size: 1
    .uses_dynamic_stack: false
    .vgpr_count:     58
    .vgpr_spill_count: 0
    .wavefront_size: 64
  - .args:
      - .offset:         0
        .size:           4
        .value_kind:     by_value
      - .offset:         4
        .size:           4
        .value_kind:     by_value
      - .offset:         8
        .size:           4
        .value_kind:     by_value
      - .offset:         12
        .size:           4
        .value_kind:     by_value
      - .offset:         16
        .size:           4
        .value_kind:     by_value
      - .offset:         20
        .size:           8
        .value_kind:     by_value
      - .address_space:  global
        .offset:         32
        .size:           8
        .value_kind:     global_buffer
      - .offset:         40
        .size:           8
        .value_kind:     by_value
      - .offset:         48
        .size:           4
        .value_kind:     by_value
      - .offset:         56
        .size:           8
        .value_kind:     by_value
      - .address_space:  global
        .offset:         64
        .size:           8
        .value_kind:     global_buffer
      - .offset:         72
        .size:           8
        .value_kind:     by_value
      - .offset:         80
        .size:           4
        .value_kind:     by_value
      - .offset:         88
        .size:           8
        .value_kind:     by_value
      - .offset:         96
        .size:           4
        .value_kind:     by_value
      - .offset:         104
        .size:           4
        .value_kind:     hidden_block_count_x
      - .offset:         108
        .size:           4
        .value_kind:     hidden_block_count_y
      - .offset:         112
        .size:           4
        .value_kind:     hidden_block_count_z
      - .offset:         116
        .size:           2
        .value_kind:     hidden_group_size_x
      - .offset:         118
        .size:           2
        .value_kind:     hidden_group_size_y
      - .offset:         120
        .size:           2
        .value_kind:     hidden_group_size_z
      - .offset:         122
        .size:           2
        .value_kind:     hidden_remainder_x
      - .offset:         124
        .size:           2
        .value_kind:     hidden_remainder_y
      - .offset:         126
        .size:           2
        .value_kind:     hidden_remainder_z
      - .offset:         144
        .size:           8
        .value_kind:     hidden_global_offset_x
      - .offset:         152
        .size:           8
        .value_kind:     hidden_global_offset_y
      - .offset:         160
        .size:           8
        .value_kind:     hidden_global_offset_z
      - .offset:         168
        .size:           2
        .value_kind:     hidden_grid_dims
    .group_segment_fixed_size: 2048
    .kernarg_segment_align: 8
    .kernarg_segment_size: 360
    .language:       OpenCL C
    .language_version:
      - 2
      - 0
    .max_flat_workgroup_size: 16
    .name:           _ZL30rocblas_trsm_small_left_deviceILi16ELi16ELb0E19rocblas_complex_numIfES1_PKS1_PS1_Ev13rocblas_fill_18rocblas_operation_17rocblas_diagonal_iiT3_T4_lilT5_lili
    .private_segment_fixed_size: 144
    .sgpr_count:     36
    .sgpr_spill_count: 0
    .symbol:         _ZL30rocblas_trsm_small_left_deviceILi16ELi16ELb0E19rocblas_complex_numIfES1_PKS1_PS1_Ev13rocblas_fill_18rocblas_operation_17rocblas_diagonal_iiT3_T4_lilT5_lili.kd
    .uniform_work_group_size: 1
    .uses_dynamic_stack: false
    .vgpr_count:     16
    .vgpr_spill_count: 0
    .wavefront_size: 64
  - .args:
      - .offset:         0
        .size:           4
        .value_kind:     by_value
      - .offset:         4
        .size:           4
        .value_kind:     by_value
      - .offset:         8
        .size:           4
        .value_kind:     by_value
      - .offset:         12
        .size:           4
        .value_kind:     by_value
      - .offset:         16
        .size:           4
        .value_kind:     by_value
      - .offset:         20
        .size:           8
        .value_kind:     by_value
      - .address_space:  global
        .offset:         32
        .size:           8
        .value_kind:     global_buffer
      - .offset:         40
        .size:           8
        .value_kind:     by_value
      - .offset:         48
        .size:           4
        .value_kind:     by_value
      - .offset:         56
        .size:           8
        .value_kind:     by_value
      - .address_space:  global
        .offset:         64
        .size:           8
        .value_kind:     global_buffer
      - .offset:         72
        .size:           8
        .value_kind:     by_value
      - .offset:         80
        .size:           4
        .value_kind:     by_value
      - .offset:         88
        .size:           8
        .value_kind:     by_value
      - .offset:         96
        .size:           4
        .value_kind:     by_value
      - .offset:         104
        .size:           4
        .value_kind:     hidden_block_count_x
      - .offset:         108
        .size:           4
        .value_kind:     hidden_block_count_y
      - .offset:         112
        .size:           4
        .value_kind:     hidden_block_count_z
      - .offset:         116
        .size:           2
        .value_kind:     hidden_group_size_x
      - .offset:         118
        .size:           2
        .value_kind:     hidden_group_size_y
      - .offset:         120
        .size:           2
        .value_kind:     hidden_group_size_z
      - .offset:         122
        .size:           2
        .value_kind:     hidden_remainder_x
      - .offset:         124
        .size:           2
        .value_kind:     hidden_remainder_y
      - .offset:         126
        .size:           2
        .value_kind:     hidden_remainder_z
      - .offset:         144
        .size:           8
        .value_kind:     hidden_global_offset_x
      - .offset:         152
        .size:           8
        .value_kind:     hidden_global_offset_y
      - .offset:         160
        .size:           8
        .value_kind:     hidden_global_offset_z
      - .offset:         168
        .size:           2
        .value_kind:     hidden_grid_dims
    .group_segment_fixed_size: 4096
    .kernarg_segment_align: 8
    .kernarg_segment_size: 360
    .language:       OpenCL C
    .language_version:
      - 2
      - 0
    .max_flat_workgroup_size: 16
    .name:           _ZL38rocblas_trsm_small_left_device_sharedBILi16ELi16ELb1E19rocblas_complex_numIfES1_PKS1_PS1_Ev13rocblas_fill_18rocblas_operation_17rocblas_diagonal_iiT3_T4_lilT5_lili
    .private_segment_fixed_size: 144
    .sgpr_count:     38
    .sgpr_spill_count: 0
    .symbol:         _ZL38rocblas_trsm_small_left_device_sharedBILi16ELi16ELb1E19rocblas_complex_numIfES1_PKS1_PS1_Ev13rocblas_fill_18rocblas_operation_17rocblas_diagonal_iiT3_T4_lilT5_lili.kd
    .uniform_work_group_size: 1
    .uses_dynamic_stack: false
    .vgpr_count:     58
    .vgpr_spill_count: 0
    .wavefront_size: 64
  - .args:
      - .offset:         0
        .size:           4
        .value_kind:     by_value
      - .offset:         4
        .size:           4
        .value_kind:     by_value
      - .offset:         8
        .size:           4
        .value_kind:     by_value
      - .offset:         12
        .size:           4
        .value_kind:     by_value
      - .offset:         16
        .size:           4
        .value_kind:     by_value
      - .offset:         20
        .size:           8
        .value_kind:     by_value
      - .address_space:  global
        .offset:         32
        .size:           8
        .value_kind:     global_buffer
      - .offset:         40
        .size:           8
        .value_kind:     by_value
      - .offset:         48
        .size:           4
        .value_kind:     by_value
      - .offset:         56
        .size:           8
        .value_kind:     by_value
      - .address_space:  global
        .offset:         64
        .size:           8
        .value_kind:     global_buffer
      - .offset:         72
        .size:           8
        .value_kind:     by_value
      - .offset:         80
        .size:           4
        .value_kind:     by_value
      - .offset:         88
        .size:           8
        .value_kind:     by_value
      - .offset:         96
        .size:           4
        .value_kind:     by_value
      - .offset:         104
        .size:           4
        .value_kind:     hidden_block_count_x
      - .offset:         108
        .size:           4
        .value_kind:     hidden_block_count_y
      - .offset:         112
        .size:           4
        .value_kind:     hidden_block_count_z
      - .offset:         116
        .size:           2
        .value_kind:     hidden_group_size_x
      - .offset:         118
        .size:           2
        .value_kind:     hidden_group_size_y
      - .offset:         120
        .size:           2
        .value_kind:     hidden_group_size_z
      - .offset:         122
        .size:           2
        .value_kind:     hidden_remainder_x
      - .offset:         124
        .size:           2
        .value_kind:     hidden_remainder_y
      - .offset:         126
        .size:           2
        .value_kind:     hidden_remainder_z
      - .offset:         144
        .size:           8
        .value_kind:     hidden_global_offset_x
      - .offset:         152
        .size:           8
        .value_kind:     hidden_global_offset_y
      - .offset:         160
        .size:           8
        .value_kind:     hidden_global_offset_z
      - .offset:         168
        .size:           2
        .value_kind:     hidden_grid_dims
    .group_segment_fixed_size: 2048
    .kernarg_segment_align: 8
    .kernarg_segment_size: 360
    .language:       OpenCL C
    .language_version:
      - 2
      - 0
    .max_flat_workgroup_size: 16
    .name:           _ZL30rocblas_trsm_small_left_deviceILi16ELi16ELb1E19rocblas_complex_numIfES1_PKS1_PS1_Ev13rocblas_fill_18rocblas_operation_17rocblas_diagonal_iiT3_T4_lilT5_lili
    .private_segment_fixed_size: 144
    .sgpr_count:     39
    .sgpr_spill_count: 0
    .symbol:         _ZL30rocblas_trsm_small_left_deviceILi16ELi16ELb1E19rocblas_complex_numIfES1_PKS1_PS1_Ev13rocblas_fill_18rocblas_operation_17rocblas_diagonal_iiT3_T4_lilT5_lili.kd
    .uniform_work_group_size: 1
    .uses_dynamic_stack: false
    .vgpr_count:     14
    .vgpr_spill_count: 0
    .wavefront_size: 64
  - .args:
      - .offset:         0
        .size:           4
        .value_kind:     by_value
      - .offset:         4
        .size:           4
        .value_kind:     by_value
      - .offset:         8
        .size:           4
        .value_kind:     by_value
      - .offset:         12
        .size:           4
        .value_kind:     by_value
      - .offset:         16
        .size:           4
        .value_kind:     by_value
      - .offset:         20
        .size:           8
        .value_kind:     by_value
      - .address_space:  global
        .offset:         32
        .size:           8
        .value_kind:     global_buffer
      - .offset:         40
        .size:           8
        .value_kind:     by_value
      - .offset:         48
        .size:           4
        .value_kind:     by_value
      - .offset:         56
        .size:           8
        .value_kind:     by_value
      - .address_space:  global
        .offset:         64
        .size:           8
        .value_kind:     global_buffer
      - .offset:         72
        .size:           8
        .value_kind:     by_value
      - .offset:         80
        .size:           4
        .value_kind:     by_value
      - .offset:         88
        .size:           8
        .value_kind:     by_value
      - .offset:         96
        .size:           4
        .value_kind:     by_value
      - .offset:         104
        .size:           4
        .value_kind:     hidden_block_count_x
      - .offset:         108
        .size:           4
        .value_kind:     hidden_block_count_y
      - .offset:         112
        .size:           4
        .value_kind:     hidden_block_count_z
      - .offset:         116
        .size:           2
        .value_kind:     hidden_group_size_x
      - .offset:         118
        .size:           2
        .value_kind:     hidden_group_size_y
      - .offset:         120
        .size:           2
        .value_kind:     hidden_group_size_z
      - .offset:         122
        .size:           2
        .value_kind:     hidden_remainder_x
      - .offset:         124
        .size:           2
        .value_kind:     hidden_remainder_y
      - .offset:         126
        .size:           2
        .value_kind:     hidden_remainder_z
      - .offset:         144
        .size:           8
        .value_kind:     hidden_global_offset_x
      - .offset:         152
        .size:           8
        .value_kind:     hidden_global_offset_y
      - .offset:         160
        .size:           8
        .value_kind:     hidden_global_offset_z
      - .offset:         168
        .size:           2
        .value_kind:     hidden_grid_dims
    .group_segment_fixed_size: 4096
    .kernarg_segment_align: 8
    .kernarg_segment_size: 360
    .language:       OpenCL C
    .language_version:
      - 2
      - 0
    .max_flat_workgroup_size: 16
    .name:           _ZL31rocblas_trsm_small_right_deviceI19rocblas_complex_numIfES1_PKS1_PS1_Li16EEv13rocblas_fill_18rocblas_operation_17rocblas_diagonal_iiT0_T1_lilT2_lili
    .private_segment_fixed_size: 0
    .sgpr_count:     36
    .sgpr_spill_count: 0
    .symbol:         _ZL31rocblas_trsm_small_right_deviceI19rocblas_complex_numIfES1_PKS1_PS1_Li16EEv13rocblas_fill_18rocblas_operation_17rocblas_diagonal_iiT0_T1_lilT2_lili.kd
    .uniform_work_group_size: 1
    .uses_dynamic_stack: false
    .vgpr_count:     31
    .vgpr_spill_count: 0
    .wavefront_size: 64
  - .args:
      - .offset:         0
        .size:           4
        .value_kind:     by_value
      - .offset:         4
        .size:           4
        .value_kind:     by_value
      - .offset:         8
        .size:           4
        .value_kind:     by_value
      - .offset:         12
        .size:           4
        .value_kind:     by_value
      - .offset:         16
        .size:           4
        .value_kind:     by_value
      - .offset:         20
        .size:           8
        .value_kind:     by_value
      - .address_space:  global
        .offset:         32
        .size:           8
        .value_kind:     global_buffer
      - .offset:         40
        .size:           8
        .value_kind:     by_value
      - .offset:         48
        .size:           4
        .value_kind:     by_value
      - .offset:         56
        .size:           8
        .value_kind:     by_value
      - .address_space:  global
        .offset:         64
        .size:           8
        .value_kind:     global_buffer
      - .offset:         72
        .size:           8
        .value_kind:     by_value
      - .offset:         80
        .size:           4
        .value_kind:     by_value
      - .offset:         88
        .size:           8
        .value_kind:     by_value
      - .offset:         96
        .size:           4
        .value_kind:     by_value
      - .offset:         104
        .size:           4
        .value_kind:     hidden_block_count_x
      - .offset:         108
        .size:           4
        .value_kind:     hidden_block_count_y
      - .offset:         112
        .size:           4
        .value_kind:     hidden_block_count_z
      - .offset:         116
        .size:           2
        .value_kind:     hidden_group_size_x
      - .offset:         118
        .size:           2
        .value_kind:     hidden_group_size_y
      - .offset:         120
        .size:           2
        .value_kind:     hidden_group_size_z
      - .offset:         122
        .size:           2
        .value_kind:     hidden_remainder_x
      - .offset:         124
        .size:           2
        .value_kind:     hidden_remainder_y
      - .offset:         126
        .size:           2
        .value_kind:     hidden_remainder_z
      - .offset:         144
        .size:           8
        .value_kind:     hidden_global_offset_x
      - .offset:         152
        .size:           8
        .value_kind:     hidden_global_offset_y
      - .offset:         160
        .size:           8
        .value_kind:     hidden_global_offset_z
      - .offset:         168
        .size:           2
        .value_kind:     hidden_grid_dims
    .group_segment_fixed_size: 6400
    .kernarg_segment_align: 8
    .kernarg_segment_size: 360
    .language:       OpenCL C
    .language_version:
      - 2
      - 0
    .max_flat_workgroup_size: 20
    .name:           _ZL38rocblas_trsm_small_left_device_sharedBILi20ELi20ELb0E19rocblas_complex_numIfES1_PKS1_PS1_Ev13rocblas_fill_18rocblas_operation_17rocblas_diagonal_iiT3_T4_lilT5_lili
    .private_segment_fixed_size: 176
    .sgpr_count:     41
    .sgpr_spill_count: 0
    .symbol:         _ZL38rocblas_trsm_small_left_device_sharedBILi20ELi20ELb0E19rocblas_complex_numIfES1_PKS1_PS1_Ev13rocblas_fill_18rocblas_operation_17rocblas_diagonal_iiT3_T4_lilT5_lili.kd
    .uniform_work_group_size: 1
    .uses_dynamic_stack: false
    .vgpr_count:     12
    .vgpr_spill_count: 0
    .wavefront_size: 64
  - .args:
      - .offset:         0
        .size:           4
        .value_kind:     by_value
      - .offset:         4
        .size:           4
        .value_kind:     by_value
      - .offset:         8
        .size:           4
        .value_kind:     by_value
      - .offset:         12
        .size:           4
        .value_kind:     by_value
      - .offset:         16
        .size:           4
        .value_kind:     by_value
      - .offset:         20
        .size:           8
        .value_kind:     by_value
      - .address_space:  global
        .offset:         32
        .size:           8
        .value_kind:     global_buffer
      - .offset:         40
        .size:           8
        .value_kind:     by_value
      - .offset:         48
        .size:           4
        .value_kind:     by_value
      - .offset:         56
        .size:           8
        .value_kind:     by_value
      - .address_space:  global
        .offset:         64
        .size:           8
        .value_kind:     global_buffer
      - .offset:         72
        .size:           8
        .value_kind:     by_value
      - .offset:         80
        .size:           4
        .value_kind:     by_value
      - .offset:         88
        .size:           8
        .value_kind:     by_value
      - .offset:         96
        .size:           4
        .value_kind:     by_value
      - .offset:         104
        .size:           4
        .value_kind:     hidden_block_count_x
      - .offset:         108
        .size:           4
        .value_kind:     hidden_block_count_y
      - .offset:         112
        .size:           4
        .value_kind:     hidden_block_count_z
      - .offset:         116
        .size:           2
        .value_kind:     hidden_group_size_x
      - .offset:         118
        .size:           2
        .value_kind:     hidden_group_size_y
      - .offset:         120
        .size:           2
        .value_kind:     hidden_group_size_z
      - .offset:         122
        .size:           2
        .value_kind:     hidden_remainder_x
      - .offset:         124
        .size:           2
        .value_kind:     hidden_remainder_y
      - .offset:         126
        .size:           2
        .value_kind:     hidden_remainder_z
      - .offset:         144
        .size:           8
        .value_kind:     hidden_global_offset_x
      - .offset:         152
        .size:           8
        .value_kind:     hidden_global_offset_y
      - .offset:         160
        .size:           8
        .value_kind:     hidden_global_offset_z
      - .offset:         168
        .size:           2
        .value_kind:     hidden_grid_dims
    .group_segment_fixed_size: 3200
    .kernarg_segment_align: 8
    .kernarg_segment_size: 360
    .language:       OpenCL C
    .language_version:
      - 2
      - 0
    .max_flat_workgroup_size: 20
    .name:           _ZL30rocblas_trsm_small_left_deviceILi20ELi20ELb0E19rocblas_complex_numIfES1_PKS1_PS1_Ev13rocblas_fill_18rocblas_operation_17rocblas_diagonal_iiT3_T4_lilT5_lili
    .private_segment_fixed_size: 176
    .sgpr_count:     36
    .sgpr_spill_count: 0
    .symbol:         _ZL30rocblas_trsm_small_left_deviceILi20ELi20ELb0E19rocblas_complex_numIfES1_PKS1_PS1_Ev13rocblas_fill_18rocblas_operation_17rocblas_diagonal_iiT3_T4_lilT5_lili.kd
    .uniform_work_group_size: 1
    .uses_dynamic_stack: false
    .vgpr_count:     16
    .vgpr_spill_count: 0
    .wavefront_size: 64
  - .args:
      - .offset:         0
        .size:           4
        .value_kind:     by_value
      - .offset:         4
        .size:           4
        .value_kind:     by_value
      - .offset:         8
        .size:           4
        .value_kind:     by_value
      - .offset:         12
        .size:           4
        .value_kind:     by_value
      - .offset:         16
        .size:           4
        .value_kind:     by_value
      - .offset:         20
        .size:           8
        .value_kind:     by_value
      - .address_space:  global
        .offset:         32
        .size:           8
        .value_kind:     global_buffer
      - .offset:         40
        .size:           8
        .value_kind:     by_value
      - .offset:         48
        .size:           4
        .value_kind:     by_value
      - .offset:         56
        .size:           8
        .value_kind:     by_value
      - .address_space:  global
        .offset:         64
        .size:           8
        .value_kind:     global_buffer
      - .offset:         72
        .size:           8
        .value_kind:     by_value
      - .offset:         80
        .size:           4
        .value_kind:     by_value
      - .offset:         88
        .size:           8
        .value_kind:     by_value
      - .offset:         96
        .size:           4
        .value_kind:     by_value
      - .offset:         104
        .size:           4
        .value_kind:     hidden_block_count_x
      - .offset:         108
        .size:           4
        .value_kind:     hidden_block_count_y
      - .offset:         112
        .size:           4
        .value_kind:     hidden_block_count_z
      - .offset:         116
        .size:           2
        .value_kind:     hidden_group_size_x
      - .offset:         118
        .size:           2
        .value_kind:     hidden_group_size_y
      - .offset:         120
        .size:           2
        .value_kind:     hidden_group_size_z
      - .offset:         122
        .size:           2
        .value_kind:     hidden_remainder_x
      - .offset:         124
        .size:           2
        .value_kind:     hidden_remainder_y
      - .offset:         126
        .size:           2
        .value_kind:     hidden_remainder_z
      - .offset:         144
        .size:           8
        .value_kind:     hidden_global_offset_x
      - .offset:         152
        .size:           8
        .value_kind:     hidden_global_offset_y
      - .offset:         160
        .size:           8
        .value_kind:     hidden_global_offset_z
      - .offset:         168
        .size:           2
        .value_kind:     hidden_grid_dims
    .group_segment_fixed_size: 6400
    .kernarg_segment_align: 8
    .kernarg_segment_size: 360
    .language:       OpenCL C
    .language_version:
      - 2
      - 0
    .max_flat_workgroup_size: 20
    .name:           _ZL38rocblas_trsm_small_left_device_sharedBILi20ELi20ELb1E19rocblas_complex_numIfES1_PKS1_PS1_Ev13rocblas_fill_18rocblas_operation_17rocblas_diagonal_iiT3_T4_lilT5_lili
    .private_segment_fixed_size: 176
    .sgpr_count:     42
    .sgpr_spill_count: 0
    .symbol:         _ZL38rocblas_trsm_small_left_device_sharedBILi20ELi20ELb1E19rocblas_complex_numIfES1_PKS1_PS1_Ev13rocblas_fill_18rocblas_operation_17rocblas_diagonal_iiT3_T4_lilT5_lili.kd
    .uniform_work_group_size: 1
    .uses_dynamic_stack: false
    .vgpr_count:     12
    .vgpr_spill_count: 0
    .wavefront_size: 64
  - .args:
      - .offset:         0
        .size:           4
        .value_kind:     by_value
      - .offset:         4
        .size:           4
        .value_kind:     by_value
      - .offset:         8
        .size:           4
        .value_kind:     by_value
      - .offset:         12
        .size:           4
        .value_kind:     by_value
      - .offset:         16
        .size:           4
        .value_kind:     by_value
      - .offset:         20
        .size:           8
        .value_kind:     by_value
      - .address_space:  global
        .offset:         32
        .size:           8
        .value_kind:     global_buffer
      - .offset:         40
        .size:           8
        .value_kind:     by_value
      - .offset:         48
        .size:           4
        .value_kind:     by_value
      - .offset:         56
        .size:           8
        .value_kind:     by_value
      - .address_space:  global
        .offset:         64
        .size:           8
        .value_kind:     global_buffer
      - .offset:         72
        .size:           8
        .value_kind:     by_value
      - .offset:         80
        .size:           4
        .value_kind:     by_value
      - .offset:         88
        .size:           8
        .value_kind:     by_value
      - .offset:         96
        .size:           4
        .value_kind:     by_value
      - .offset:         104
        .size:           4
        .value_kind:     hidden_block_count_x
      - .offset:         108
        .size:           4
        .value_kind:     hidden_block_count_y
      - .offset:         112
        .size:           4
        .value_kind:     hidden_block_count_z
      - .offset:         116
        .size:           2
        .value_kind:     hidden_group_size_x
      - .offset:         118
        .size:           2
        .value_kind:     hidden_group_size_y
      - .offset:         120
        .size:           2
        .value_kind:     hidden_group_size_z
      - .offset:         122
        .size:           2
        .value_kind:     hidden_remainder_x
      - .offset:         124
        .size:           2
        .value_kind:     hidden_remainder_y
      - .offset:         126
        .size:           2
        .value_kind:     hidden_remainder_z
      - .offset:         144
        .size:           8
        .value_kind:     hidden_global_offset_x
      - .offset:         152
        .size:           8
        .value_kind:     hidden_global_offset_y
      - .offset:         160
        .size:           8
        .value_kind:     hidden_global_offset_z
      - .offset:         168
        .size:           2
        .value_kind:     hidden_grid_dims
    .group_segment_fixed_size: 3200
    .kernarg_segment_align: 8
    .kernarg_segment_size: 360
    .language:       OpenCL C
    .language_version:
      - 2
      - 0
    .max_flat_workgroup_size: 20
    .name:           _ZL30rocblas_trsm_small_left_deviceILi20ELi20ELb1E19rocblas_complex_numIfES1_PKS1_PS1_Ev13rocblas_fill_18rocblas_operation_17rocblas_diagonal_iiT3_T4_lilT5_lili
    .private_segment_fixed_size: 176
    .sgpr_count:     39
    .sgpr_spill_count: 0
    .symbol:         _ZL30rocblas_trsm_small_left_deviceILi20ELi20ELb1E19rocblas_complex_numIfES1_PKS1_PS1_Ev13rocblas_fill_18rocblas_operation_17rocblas_diagonal_iiT3_T4_lilT5_lili.kd
    .uniform_work_group_size: 1
    .uses_dynamic_stack: false
    .vgpr_count:     15
    .vgpr_spill_count: 0
    .wavefront_size: 64
  - .args:
      - .offset:         0
        .size:           4
        .value_kind:     by_value
      - .offset:         4
        .size:           4
        .value_kind:     by_value
      - .offset:         8
        .size:           4
        .value_kind:     by_value
      - .offset:         12
        .size:           4
        .value_kind:     by_value
      - .offset:         16
        .size:           4
        .value_kind:     by_value
      - .offset:         20
        .size:           8
        .value_kind:     by_value
      - .address_space:  global
        .offset:         32
        .size:           8
        .value_kind:     global_buffer
      - .offset:         40
        .size:           8
        .value_kind:     by_value
      - .offset:         48
        .size:           4
        .value_kind:     by_value
      - .offset:         56
        .size:           8
        .value_kind:     by_value
      - .address_space:  global
        .offset:         64
        .size:           8
        .value_kind:     global_buffer
      - .offset:         72
        .size:           8
        .value_kind:     by_value
      - .offset:         80
        .size:           4
        .value_kind:     by_value
      - .offset:         88
        .size:           8
        .value_kind:     by_value
      - .offset:         96
        .size:           4
        .value_kind:     by_value
      - .offset:         104
        .size:           4
        .value_kind:     hidden_block_count_x
      - .offset:         108
        .size:           4
        .value_kind:     hidden_block_count_y
      - .offset:         112
        .size:           4
        .value_kind:     hidden_block_count_z
      - .offset:         116
        .size:           2
        .value_kind:     hidden_group_size_x
      - .offset:         118
        .size:           2
        .value_kind:     hidden_group_size_y
      - .offset:         120
        .size:           2
        .value_kind:     hidden_group_size_z
      - .offset:         122
        .size:           2
        .value_kind:     hidden_remainder_x
      - .offset:         124
        .size:           2
        .value_kind:     hidden_remainder_y
      - .offset:         126
        .size:           2
        .value_kind:     hidden_remainder_z
      - .offset:         144
        .size:           8
        .value_kind:     hidden_global_offset_x
      - .offset:         152
        .size:           8
        .value_kind:     hidden_global_offset_y
      - .offset:         160
        .size:           8
        .value_kind:     hidden_global_offset_z
      - .offset:         168
        .size:           2
        .value_kind:     hidden_grid_dims
    .group_segment_fixed_size: 6400
    .kernarg_segment_align: 8
    .kernarg_segment_size: 360
    .language:       OpenCL C
    .language_version:
      - 2
      - 0
    .max_flat_workgroup_size: 20
    .name:           _ZL31rocblas_trsm_small_right_deviceI19rocblas_complex_numIfES1_PKS1_PS1_Li20EEv13rocblas_fill_18rocblas_operation_17rocblas_diagonal_iiT0_T1_lilT2_lili
    .private_segment_fixed_size: 0
    .sgpr_count:     36
    .sgpr_spill_count: 0
    .symbol:         _ZL31rocblas_trsm_small_right_deviceI19rocblas_complex_numIfES1_PKS1_PS1_Li20EEv13rocblas_fill_18rocblas_operation_17rocblas_diagonal_iiT0_T1_lilT2_lili.kd
    .uniform_work_group_size: 1
    .uses_dynamic_stack: false
    .vgpr_count:     31
    .vgpr_spill_count: 0
    .wavefront_size: 64
  - .args:
      - .offset:         0
        .size:           4
        .value_kind:     by_value
      - .offset:         4
        .size:           4
        .value_kind:     by_value
      - .offset:         8
        .size:           4
        .value_kind:     by_value
      - .offset:         12
        .size:           4
        .value_kind:     by_value
      - .offset:         16
        .size:           4
        .value_kind:     by_value
      - .offset:         20
        .size:           8
        .value_kind:     by_value
      - .address_space:  global
        .offset:         32
        .size:           8
        .value_kind:     global_buffer
      - .offset:         40
        .size:           8
        .value_kind:     by_value
      - .offset:         48
        .size:           4
        .value_kind:     by_value
      - .offset:         56
        .size:           8
        .value_kind:     by_value
      - .address_space:  global
        .offset:         64
        .size:           8
        .value_kind:     global_buffer
      - .offset:         72
        .size:           8
        .value_kind:     by_value
      - .offset:         80
        .size:           4
        .value_kind:     by_value
      - .offset:         88
        .size:           8
        .value_kind:     by_value
      - .offset:         96
        .size:           4
        .value_kind:     by_value
      - .offset:         104
        .size:           4
        .value_kind:     hidden_block_count_x
      - .offset:         108
        .size:           4
        .value_kind:     hidden_block_count_y
      - .offset:         112
        .size:           4
        .value_kind:     hidden_block_count_z
      - .offset:         116
        .size:           2
        .value_kind:     hidden_group_size_x
      - .offset:         118
        .size:           2
        .value_kind:     hidden_group_size_y
      - .offset:         120
        .size:           2
        .value_kind:     hidden_group_size_z
      - .offset:         122
        .size:           2
        .value_kind:     hidden_remainder_x
      - .offset:         124
        .size:           2
        .value_kind:     hidden_remainder_y
      - .offset:         126
        .size:           2
        .value_kind:     hidden_remainder_z
      - .offset:         144
        .size:           8
        .value_kind:     hidden_global_offset_x
      - .offset:         152
        .size:           8
        .value_kind:     hidden_global_offset_y
      - .offset:         160
        .size:           8
        .value_kind:     hidden_global_offset_z
      - .offset:         168
        .size:           2
        .value_kind:     hidden_grid_dims
    .group_segment_fixed_size: 9216
    .kernarg_segment_align: 8
    .kernarg_segment_size: 360
    .language:       OpenCL C
    .language_version:
      - 2
      - 0
    .max_flat_workgroup_size: 24
    .name:           _ZL38rocblas_trsm_small_left_device_sharedBILi24ELi24ELb0E19rocblas_complex_numIfES1_PKS1_PS1_Ev13rocblas_fill_18rocblas_operation_17rocblas_diagonal_iiT3_T4_lilT5_lili
    .private_segment_fixed_size: 208
    .sgpr_count:     41
    .sgpr_spill_count: 0
    .symbol:         _ZL38rocblas_trsm_small_left_device_sharedBILi24ELi24ELb0E19rocblas_complex_numIfES1_PKS1_PS1_Ev13rocblas_fill_18rocblas_operation_17rocblas_diagonal_iiT3_T4_lilT5_lili.kd
    .uniform_work_group_size: 1
    .uses_dynamic_stack: false
    .vgpr_count:     12
    .vgpr_spill_count: 0
    .wavefront_size: 64
  - .args:
      - .offset:         0
        .size:           4
        .value_kind:     by_value
      - .offset:         4
        .size:           4
        .value_kind:     by_value
      - .offset:         8
        .size:           4
        .value_kind:     by_value
      - .offset:         12
        .size:           4
        .value_kind:     by_value
      - .offset:         16
        .size:           4
        .value_kind:     by_value
      - .offset:         20
        .size:           8
        .value_kind:     by_value
      - .address_space:  global
        .offset:         32
        .size:           8
        .value_kind:     global_buffer
      - .offset:         40
        .size:           8
        .value_kind:     by_value
      - .offset:         48
        .size:           4
        .value_kind:     by_value
      - .offset:         56
        .size:           8
        .value_kind:     by_value
      - .address_space:  global
        .offset:         64
        .size:           8
        .value_kind:     global_buffer
      - .offset:         72
        .size:           8
        .value_kind:     by_value
      - .offset:         80
        .size:           4
        .value_kind:     by_value
      - .offset:         88
        .size:           8
        .value_kind:     by_value
      - .offset:         96
        .size:           4
        .value_kind:     by_value
      - .offset:         104
        .size:           4
        .value_kind:     hidden_block_count_x
      - .offset:         108
        .size:           4
        .value_kind:     hidden_block_count_y
      - .offset:         112
        .size:           4
        .value_kind:     hidden_block_count_z
      - .offset:         116
        .size:           2
        .value_kind:     hidden_group_size_x
      - .offset:         118
        .size:           2
        .value_kind:     hidden_group_size_y
      - .offset:         120
        .size:           2
        .value_kind:     hidden_group_size_z
      - .offset:         122
        .size:           2
        .value_kind:     hidden_remainder_x
      - .offset:         124
        .size:           2
        .value_kind:     hidden_remainder_y
      - .offset:         126
        .size:           2
        .value_kind:     hidden_remainder_z
      - .offset:         144
        .size:           8
        .value_kind:     hidden_global_offset_x
      - .offset:         152
        .size:           8
        .value_kind:     hidden_global_offset_y
      - .offset:         160
        .size:           8
        .value_kind:     hidden_global_offset_z
      - .offset:         168
        .size:           2
        .value_kind:     hidden_grid_dims
    .group_segment_fixed_size: 4608
    .kernarg_segment_align: 8
    .kernarg_segment_size: 360
    .language:       OpenCL C
    .language_version:
      - 2
      - 0
    .max_flat_workgroup_size: 24
    .name:           _ZL30rocblas_trsm_small_left_deviceILi24ELi24ELb0E19rocblas_complex_numIfES1_PKS1_PS1_Ev13rocblas_fill_18rocblas_operation_17rocblas_diagonal_iiT3_T4_lilT5_lili
    .private_segment_fixed_size: 208
    .sgpr_count:     36
    .sgpr_spill_count: 0
    .symbol:         _ZL30rocblas_trsm_small_left_deviceILi24ELi24ELb0E19rocblas_complex_numIfES1_PKS1_PS1_Ev13rocblas_fill_18rocblas_operation_17rocblas_diagonal_iiT3_T4_lilT5_lili.kd
    .uniform_work_group_size: 1
    .uses_dynamic_stack: false
    .vgpr_count:     17
    .vgpr_spill_count: 0
    .wavefront_size: 64
  - .args:
      - .offset:         0
        .size:           4
        .value_kind:     by_value
      - .offset:         4
        .size:           4
        .value_kind:     by_value
      - .offset:         8
        .size:           4
        .value_kind:     by_value
      - .offset:         12
        .size:           4
        .value_kind:     by_value
      - .offset:         16
        .size:           4
        .value_kind:     by_value
      - .offset:         20
        .size:           8
        .value_kind:     by_value
      - .address_space:  global
        .offset:         32
        .size:           8
        .value_kind:     global_buffer
      - .offset:         40
        .size:           8
        .value_kind:     by_value
      - .offset:         48
        .size:           4
        .value_kind:     by_value
      - .offset:         56
        .size:           8
        .value_kind:     by_value
      - .address_space:  global
        .offset:         64
        .size:           8
        .value_kind:     global_buffer
      - .offset:         72
        .size:           8
        .value_kind:     by_value
      - .offset:         80
        .size:           4
        .value_kind:     by_value
      - .offset:         88
        .size:           8
        .value_kind:     by_value
      - .offset:         96
        .size:           4
        .value_kind:     by_value
      - .offset:         104
        .size:           4
        .value_kind:     hidden_block_count_x
      - .offset:         108
        .size:           4
        .value_kind:     hidden_block_count_y
      - .offset:         112
        .size:           4
        .value_kind:     hidden_block_count_z
      - .offset:         116
        .size:           2
        .value_kind:     hidden_group_size_x
      - .offset:         118
        .size:           2
        .value_kind:     hidden_group_size_y
      - .offset:         120
        .size:           2
        .value_kind:     hidden_group_size_z
      - .offset:         122
        .size:           2
        .value_kind:     hidden_remainder_x
      - .offset:         124
        .size:           2
        .value_kind:     hidden_remainder_y
      - .offset:         126
        .size:           2
        .value_kind:     hidden_remainder_z
      - .offset:         144
        .size:           8
        .value_kind:     hidden_global_offset_x
      - .offset:         152
        .size:           8
        .value_kind:     hidden_global_offset_y
      - .offset:         160
        .size:           8
        .value_kind:     hidden_global_offset_z
      - .offset:         168
        .size:           2
        .value_kind:     hidden_grid_dims
    .group_segment_fixed_size: 9216
    .kernarg_segment_align: 8
    .kernarg_segment_size: 360
    .language:       OpenCL C
    .language_version:
      - 2
      - 0
    .max_flat_workgroup_size: 24
    .name:           _ZL38rocblas_trsm_small_left_device_sharedBILi24ELi24ELb1E19rocblas_complex_numIfES1_PKS1_PS1_Ev13rocblas_fill_18rocblas_operation_17rocblas_diagonal_iiT3_T4_lilT5_lili
    .private_segment_fixed_size: 208
    .sgpr_count:     42
    .sgpr_spill_count: 0
    .symbol:         _ZL38rocblas_trsm_small_left_device_sharedBILi24ELi24ELb1E19rocblas_complex_numIfES1_PKS1_PS1_Ev13rocblas_fill_18rocblas_operation_17rocblas_diagonal_iiT3_T4_lilT5_lili.kd
    .uniform_work_group_size: 1
    .uses_dynamic_stack: false
    .vgpr_count:     12
    .vgpr_spill_count: 0
    .wavefront_size: 64
  - .args:
      - .offset:         0
        .size:           4
        .value_kind:     by_value
      - .offset:         4
        .size:           4
        .value_kind:     by_value
      - .offset:         8
        .size:           4
        .value_kind:     by_value
      - .offset:         12
        .size:           4
        .value_kind:     by_value
      - .offset:         16
        .size:           4
        .value_kind:     by_value
      - .offset:         20
        .size:           8
        .value_kind:     by_value
      - .address_space:  global
        .offset:         32
        .size:           8
        .value_kind:     global_buffer
      - .offset:         40
        .size:           8
        .value_kind:     by_value
      - .offset:         48
        .size:           4
        .value_kind:     by_value
      - .offset:         56
        .size:           8
        .value_kind:     by_value
      - .address_space:  global
        .offset:         64
        .size:           8
        .value_kind:     global_buffer
      - .offset:         72
        .size:           8
        .value_kind:     by_value
      - .offset:         80
        .size:           4
        .value_kind:     by_value
      - .offset:         88
        .size:           8
        .value_kind:     by_value
      - .offset:         96
        .size:           4
        .value_kind:     by_value
      - .offset:         104
        .size:           4
        .value_kind:     hidden_block_count_x
      - .offset:         108
        .size:           4
        .value_kind:     hidden_block_count_y
      - .offset:         112
        .size:           4
        .value_kind:     hidden_block_count_z
      - .offset:         116
        .size:           2
        .value_kind:     hidden_group_size_x
      - .offset:         118
        .size:           2
        .value_kind:     hidden_group_size_y
      - .offset:         120
        .size:           2
        .value_kind:     hidden_group_size_z
      - .offset:         122
        .size:           2
        .value_kind:     hidden_remainder_x
      - .offset:         124
        .size:           2
        .value_kind:     hidden_remainder_y
      - .offset:         126
        .size:           2
        .value_kind:     hidden_remainder_z
      - .offset:         144
        .size:           8
        .value_kind:     hidden_global_offset_x
      - .offset:         152
        .size:           8
        .value_kind:     hidden_global_offset_y
      - .offset:         160
        .size:           8
        .value_kind:     hidden_global_offset_z
      - .offset:         168
        .size:           2
        .value_kind:     hidden_grid_dims
    .group_segment_fixed_size: 4608
    .kernarg_segment_align: 8
    .kernarg_segment_size: 360
    .language:       OpenCL C
    .language_version:
      - 2
      - 0
    .max_flat_workgroup_size: 24
    .name:           _ZL30rocblas_trsm_small_left_deviceILi24ELi24ELb1E19rocblas_complex_numIfES1_PKS1_PS1_Ev13rocblas_fill_18rocblas_operation_17rocblas_diagonal_iiT3_T4_lilT5_lili
    .private_segment_fixed_size: 208
    .sgpr_count:     39
    .sgpr_spill_count: 0
    .symbol:         _ZL30rocblas_trsm_small_left_deviceILi24ELi24ELb1E19rocblas_complex_numIfES1_PKS1_PS1_Ev13rocblas_fill_18rocblas_operation_17rocblas_diagonal_iiT3_T4_lilT5_lili.kd
    .uniform_work_group_size: 1
    .uses_dynamic_stack: false
    .vgpr_count:     15
    .vgpr_spill_count: 0
    .wavefront_size: 64
  - .args:
      - .offset:         0
        .size:           4
        .value_kind:     by_value
      - .offset:         4
        .size:           4
        .value_kind:     by_value
      - .offset:         8
        .size:           4
        .value_kind:     by_value
      - .offset:         12
        .size:           4
        .value_kind:     by_value
      - .offset:         16
        .size:           4
        .value_kind:     by_value
      - .offset:         20
        .size:           8
        .value_kind:     by_value
      - .address_space:  global
        .offset:         32
        .size:           8
        .value_kind:     global_buffer
      - .offset:         40
        .size:           8
        .value_kind:     by_value
      - .offset:         48
        .size:           4
        .value_kind:     by_value
      - .offset:         56
        .size:           8
        .value_kind:     by_value
      - .address_space:  global
        .offset:         64
        .size:           8
        .value_kind:     global_buffer
      - .offset:         72
        .size:           8
        .value_kind:     by_value
      - .offset:         80
        .size:           4
        .value_kind:     by_value
      - .offset:         88
        .size:           8
        .value_kind:     by_value
      - .offset:         96
        .size:           4
        .value_kind:     by_value
      - .offset:         104
        .size:           4
        .value_kind:     hidden_block_count_x
      - .offset:         108
        .size:           4
        .value_kind:     hidden_block_count_y
      - .offset:         112
        .size:           4
        .value_kind:     hidden_block_count_z
      - .offset:         116
        .size:           2
        .value_kind:     hidden_group_size_x
      - .offset:         118
        .size:           2
        .value_kind:     hidden_group_size_y
      - .offset:         120
        .size:           2
        .value_kind:     hidden_group_size_z
      - .offset:         122
        .size:           2
        .value_kind:     hidden_remainder_x
      - .offset:         124
        .size:           2
        .value_kind:     hidden_remainder_y
      - .offset:         126
        .size:           2
        .value_kind:     hidden_remainder_z
      - .offset:         144
        .size:           8
        .value_kind:     hidden_global_offset_x
      - .offset:         152
        .size:           8
        .value_kind:     hidden_global_offset_y
      - .offset:         160
        .size:           8
        .value_kind:     hidden_global_offset_z
      - .offset:         168
        .size:           2
        .value_kind:     hidden_grid_dims
    .group_segment_fixed_size: 9216
    .kernarg_segment_align: 8
    .kernarg_segment_size: 360
    .language:       OpenCL C
    .language_version:
      - 2
      - 0
    .max_flat_workgroup_size: 24
    .name:           _ZL31rocblas_trsm_small_right_deviceI19rocblas_complex_numIfES1_PKS1_PS1_Li24EEv13rocblas_fill_18rocblas_operation_17rocblas_diagonal_iiT0_T1_lilT2_lili
    .private_segment_fixed_size: 0
    .sgpr_count:     36
    .sgpr_spill_count: 0
    .symbol:         _ZL31rocblas_trsm_small_right_deviceI19rocblas_complex_numIfES1_PKS1_PS1_Li24EEv13rocblas_fill_18rocblas_operation_17rocblas_diagonal_iiT0_T1_lilT2_lili.kd
    .uniform_work_group_size: 1
    .uses_dynamic_stack: false
    .vgpr_count:     31
    .vgpr_spill_count: 0
    .wavefront_size: 64
  - .args:
      - .offset:         0
        .size:           4
        .value_kind:     by_value
      - .offset:         4
        .size:           4
        .value_kind:     by_value
      - .offset:         8
        .size:           4
        .value_kind:     by_value
      - .offset:         12
        .size:           4
        .value_kind:     by_value
      - .offset:         16
        .size:           4
        .value_kind:     by_value
      - .offset:         20
        .size:           8
        .value_kind:     by_value
      - .address_space:  global
        .offset:         32
        .size:           8
        .value_kind:     global_buffer
      - .offset:         40
        .size:           8
        .value_kind:     by_value
      - .offset:         48
        .size:           4
        .value_kind:     by_value
      - .offset:         56
        .size:           8
        .value_kind:     by_value
      - .address_space:  global
        .offset:         64
        .size:           8
        .value_kind:     global_buffer
      - .offset:         72
        .size:           8
        .value_kind:     by_value
      - .offset:         80
        .size:           4
        .value_kind:     by_value
      - .offset:         88
        .size:           8
        .value_kind:     by_value
      - .offset:         96
        .size:           4
        .value_kind:     by_value
      - .offset:         104
        .size:           4
        .value_kind:     hidden_block_count_x
      - .offset:         108
        .size:           4
        .value_kind:     hidden_block_count_y
      - .offset:         112
        .size:           4
        .value_kind:     hidden_block_count_z
      - .offset:         116
        .size:           2
        .value_kind:     hidden_group_size_x
      - .offset:         118
        .size:           2
        .value_kind:     hidden_group_size_y
      - .offset:         120
        .size:           2
        .value_kind:     hidden_group_size_z
      - .offset:         122
        .size:           2
        .value_kind:     hidden_remainder_x
      - .offset:         124
        .size:           2
        .value_kind:     hidden_remainder_y
      - .offset:         126
        .size:           2
        .value_kind:     hidden_remainder_z
      - .offset:         144
        .size:           8
        .value_kind:     hidden_global_offset_x
      - .offset:         152
        .size:           8
        .value_kind:     hidden_global_offset_y
      - .offset:         160
        .size:           8
        .value_kind:     hidden_global_offset_z
      - .offset:         168
        .size:           2
        .value_kind:     hidden_grid_dims
    .group_segment_fixed_size: 12544
    .kernarg_segment_align: 8
    .kernarg_segment_size: 360
    .language:       OpenCL C
    .language_version:
      - 2
      - 0
    .max_flat_workgroup_size: 28
    .name:           _ZL38rocblas_trsm_small_left_device_sharedBILi28ELi28ELb0E19rocblas_complex_numIfES1_PKS1_PS1_Ev13rocblas_fill_18rocblas_operation_17rocblas_diagonal_iiT3_T4_lilT5_lili
    .private_segment_fixed_size: 240
    .sgpr_count:     41
    .sgpr_spill_count: 0
    .symbol:         _ZL38rocblas_trsm_small_left_device_sharedBILi28ELi28ELb0E19rocblas_complex_numIfES1_PKS1_PS1_Ev13rocblas_fill_18rocblas_operation_17rocblas_diagonal_iiT3_T4_lilT5_lili.kd
    .uniform_work_group_size: 1
    .uses_dynamic_stack: false
    .vgpr_count:     12
    .vgpr_spill_count: 0
    .wavefront_size: 64
  - .args:
      - .offset:         0
        .size:           4
        .value_kind:     by_value
      - .offset:         4
        .size:           4
        .value_kind:     by_value
      - .offset:         8
        .size:           4
        .value_kind:     by_value
      - .offset:         12
        .size:           4
        .value_kind:     by_value
      - .offset:         16
        .size:           4
        .value_kind:     by_value
      - .offset:         20
        .size:           8
        .value_kind:     by_value
      - .address_space:  global
        .offset:         32
        .size:           8
        .value_kind:     global_buffer
      - .offset:         40
        .size:           8
        .value_kind:     by_value
      - .offset:         48
        .size:           4
        .value_kind:     by_value
      - .offset:         56
        .size:           8
        .value_kind:     by_value
      - .address_space:  global
        .offset:         64
        .size:           8
        .value_kind:     global_buffer
      - .offset:         72
        .size:           8
        .value_kind:     by_value
      - .offset:         80
        .size:           4
        .value_kind:     by_value
      - .offset:         88
        .size:           8
        .value_kind:     by_value
      - .offset:         96
        .size:           4
        .value_kind:     by_value
      - .offset:         104
        .size:           4
        .value_kind:     hidden_block_count_x
      - .offset:         108
        .size:           4
        .value_kind:     hidden_block_count_y
      - .offset:         112
        .size:           4
        .value_kind:     hidden_block_count_z
      - .offset:         116
        .size:           2
        .value_kind:     hidden_group_size_x
      - .offset:         118
        .size:           2
        .value_kind:     hidden_group_size_y
      - .offset:         120
        .size:           2
        .value_kind:     hidden_group_size_z
      - .offset:         122
        .size:           2
        .value_kind:     hidden_remainder_x
      - .offset:         124
        .size:           2
        .value_kind:     hidden_remainder_y
      - .offset:         126
        .size:           2
        .value_kind:     hidden_remainder_z
      - .offset:         144
        .size:           8
        .value_kind:     hidden_global_offset_x
      - .offset:         152
        .size:           8
        .value_kind:     hidden_global_offset_y
      - .offset:         160
        .size:           8
        .value_kind:     hidden_global_offset_z
      - .offset:         168
        .size:           2
        .value_kind:     hidden_grid_dims
    .group_segment_fixed_size: 6272
    .kernarg_segment_align: 8
    .kernarg_segment_size: 360
    .language:       OpenCL C
    .language_version:
      - 2
      - 0
    .max_flat_workgroup_size: 28
    .name:           _ZL30rocblas_trsm_small_left_deviceILi28ELi28ELb0E19rocblas_complex_numIfES1_PKS1_PS1_Ev13rocblas_fill_18rocblas_operation_17rocblas_diagonal_iiT3_T4_lilT5_lili
    .private_segment_fixed_size: 240
    .sgpr_count:     36
    .sgpr_spill_count: 0
    .symbol:         _ZL30rocblas_trsm_small_left_deviceILi28ELi28ELb0E19rocblas_complex_numIfES1_PKS1_PS1_Ev13rocblas_fill_18rocblas_operation_17rocblas_diagonal_iiT3_T4_lilT5_lili.kd
    .uniform_work_group_size: 1
    .uses_dynamic_stack: false
    .vgpr_count:     17
    .vgpr_spill_count: 0
    .wavefront_size: 64
  - .args:
      - .offset:         0
        .size:           4
        .value_kind:     by_value
      - .offset:         4
        .size:           4
        .value_kind:     by_value
      - .offset:         8
        .size:           4
        .value_kind:     by_value
      - .offset:         12
        .size:           4
        .value_kind:     by_value
      - .offset:         16
        .size:           4
        .value_kind:     by_value
      - .offset:         20
        .size:           8
        .value_kind:     by_value
      - .address_space:  global
        .offset:         32
        .size:           8
        .value_kind:     global_buffer
      - .offset:         40
        .size:           8
        .value_kind:     by_value
      - .offset:         48
        .size:           4
        .value_kind:     by_value
      - .offset:         56
        .size:           8
        .value_kind:     by_value
      - .address_space:  global
        .offset:         64
        .size:           8
        .value_kind:     global_buffer
      - .offset:         72
        .size:           8
        .value_kind:     by_value
      - .offset:         80
        .size:           4
        .value_kind:     by_value
      - .offset:         88
        .size:           8
        .value_kind:     by_value
      - .offset:         96
        .size:           4
        .value_kind:     by_value
      - .offset:         104
        .size:           4
        .value_kind:     hidden_block_count_x
      - .offset:         108
        .size:           4
        .value_kind:     hidden_block_count_y
      - .offset:         112
        .size:           4
        .value_kind:     hidden_block_count_z
      - .offset:         116
        .size:           2
        .value_kind:     hidden_group_size_x
      - .offset:         118
        .size:           2
        .value_kind:     hidden_group_size_y
      - .offset:         120
        .size:           2
        .value_kind:     hidden_group_size_z
      - .offset:         122
        .size:           2
        .value_kind:     hidden_remainder_x
      - .offset:         124
        .size:           2
        .value_kind:     hidden_remainder_y
      - .offset:         126
        .size:           2
        .value_kind:     hidden_remainder_z
      - .offset:         144
        .size:           8
        .value_kind:     hidden_global_offset_x
      - .offset:         152
        .size:           8
        .value_kind:     hidden_global_offset_y
      - .offset:         160
        .size:           8
        .value_kind:     hidden_global_offset_z
      - .offset:         168
        .size:           2
        .value_kind:     hidden_grid_dims
    .group_segment_fixed_size: 12544
    .kernarg_segment_align: 8
    .kernarg_segment_size: 360
    .language:       OpenCL C
    .language_version:
      - 2
      - 0
    .max_flat_workgroup_size: 28
    .name:           _ZL38rocblas_trsm_small_left_device_sharedBILi28ELi28ELb1E19rocblas_complex_numIfES1_PKS1_PS1_Ev13rocblas_fill_18rocblas_operation_17rocblas_diagonal_iiT3_T4_lilT5_lili
    .private_segment_fixed_size: 240
    .sgpr_count:     42
    .sgpr_spill_count: 0
    .symbol:         _ZL38rocblas_trsm_small_left_device_sharedBILi28ELi28ELb1E19rocblas_complex_numIfES1_PKS1_PS1_Ev13rocblas_fill_18rocblas_operation_17rocblas_diagonal_iiT3_T4_lilT5_lili.kd
    .uniform_work_group_size: 1
    .uses_dynamic_stack: false
    .vgpr_count:     12
    .vgpr_spill_count: 0
    .wavefront_size: 64
  - .args:
      - .offset:         0
        .size:           4
        .value_kind:     by_value
      - .offset:         4
        .size:           4
        .value_kind:     by_value
      - .offset:         8
        .size:           4
        .value_kind:     by_value
      - .offset:         12
        .size:           4
        .value_kind:     by_value
      - .offset:         16
        .size:           4
        .value_kind:     by_value
      - .offset:         20
        .size:           8
        .value_kind:     by_value
      - .address_space:  global
        .offset:         32
        .size:           8
        .value_kind:     global_buffer
      - .offset:         40
        .size:           8
        .value_kind:     by_value
      - .offset:         48
        .size:           4
        .value_kind:     by_value
      - .offset:         56
        .size:           8
        .value_kind:     by_value
      - .address_space:  global
        .offset:         64
        .size:           8
        .value_kind:     global_buffer
      - .offset:         72
        .size:           8
        .value_kind:     by_value
      - .offset:         80
        .size:           4
        .value_kind:     by_value
      - .offset:         88
        .size:           8
        .value_kind:     by_value
      - .offset:         96
        .size:           4
        .value_kind:     by_value
      - .offset:         104
        .size:           4
        .value_kind:     hidden_block_count_x
      - .offset:         108
        .size:           4
        .value_kind:     hidden_block_count_y
      - .offset:         112
        .size:           4
        .value_kind:     hidden_block_count_z
      - .offset:         116
        .size:           2
        .value_kind:     hidden_group_size_x
      - .offset:         118
        .size:           2
        .value_kind:     hidden_group_size_y
      - .offset:         120
        .size:           2
        .value_kind:     hidden_group_size_z
      - .offset:         122
        .size:           2
        .value_kind:     hidden_remainder_x
      - .offset:         124
        .size:           2
        .value_kind:     hidden_remainder_y
      - .offset:         126
        .size:           2
        .value_kind:     hidden_remainder_z
      - .offset:         144
        .size:           8
        .value_kind:     hidden_global_offset_x
      - .offset:         152
        .size:           8
        .value_kind:     hidden_global_offset_y
      - .offset:         160
        .size:           8
        .value_kind:     hidden_global_offset_z
      - .offset:         168
        .size:           2
        .value_kind:     hidden_grid_dims
    .group_segment_fixed_size: 6272
    .kernarg_segment_align: 8
    .kernarg_segment_size: 360
    .language:       OpenCL C
    .language_version:
      - 2
      - 0
    .max_flat_workgroup_size: 28
    .name:           _ZL30rocblas_trsm_small_left_deviceILi28ELi28ELb1E19rocblas_complex_numIfES1_PKS1_PS1_Ev13rocblas_fill_18rocblas_operation_17rocblas_diagonal_iiT3_T4_lilT5_lili
    .private_segment_fixed_size: 240
    .sgpr_count:     39
    .sgpr_spill_count: 0
    .symbol:         _ZL30rocblas_trsm_small_left_deviceILi28ELi28ELb1E19rocblas_complex_numIfES1_PKS1_PS1_Ev13rocblas_fill_18rocblas_operation_17rocblas_diagonal_iiT3_T4_lilT5_lili.kd
    .uniform_work_group_size: 1
    .uses_dynamic_stack: false
    .vgpr_count:     15
    .vgpr_spill_count: 0
    .wavefront_size: 64
  - .args:
      - .offset:         0
        .size:           4
        .value_kind:     by_value
      - .offset:         4
        .size:           4
        .value_kind:     by_value
      - .offset:         8
        .size:           4
        .value_kind:     by_value
      - .offset:         12
        .size:           4
        .value_kind:     by_value
      - .offset:         16
        .size:           4
        .value_kind:     by_value
      - .offset:         20
        .size:           8
        .value_kind:     by_value
      - .address_space:  global
        .offset:         32
        .size:           8
        .value_kind:     global_buffer
      - .offset:         40
        .size:           8
        .value_kind:     by_value
      - .offset:         48
        .size:           4
        .value_kind:     by_value
      - .offset:         56
        .size:           8
        .value_kind:     by_value
      - .address_space:  global
        .offset:         64
        .size:           8
        .value_kind:     global_buffer
      - .offset:         72
        .size:           8
        .value_kind:     by_value
      - .offset:         80
        .size:           4
        .value_kind:     by_value
      - .offset:         88
        .size:           8
        .value_kind:     by_value
      - .offset:         96
        .size:           4
        .value_kind:     by_value
      - .offset:         104
        .size:           4
        .value_kind:     hidden_block_count_x
      - .offset:         108
        .size:           4
        .value_kind:     hidden_block_count_y
      - .offset:         112
        .size:           4
        .value_kind:     hidden_block_count_z
      - .offset:         116
        .size:           2
        .value_kind:     hidden_group_size_x
      - .offset:         118
        .size:           2
        .value_kind:     hidden_group_size_y
      - .offset:         120
        .size:           2
        .value_kind:     hidden_group_size_z
      - .offset:         122
        .size:           2
        .value_kind:     hidden_remainder_x
      - .offset:         124
        .size:           2
        .value_kind:     hidden_remainder_y
      - .offset:         126
        .size:           2
        .value_kind:     hidden_remainder_z
      - .offset:         144
        .size:           8
        .value_kind:     hidden_global_offset_x
      - .offset:         152
        .size:           8
        .value_kind:     hidden_global_offset_y
      - .offset:         160
        .size:           8
        .value_kind:     hidden_global_offset_z
      - .offset:         168
        .size:           2
        .value_kind:     hidden_grid_dims
    .group_segment_fixed_size: 12544
    .kernarg_segment_align: 8
    .kernarg_segment_size: 360
    .language:       OpenCL C
    .language_version:
      - 2
      - 0
    .max_flat_workgroup_size: 28
    .name:           _ZL31rocblas_trsm_small_right_deviceI19rocblas_complex_numIfES1_PKS1_PS1_Li28EEv13rocblas_fill_18rocblas_operation_17rocblas_diagonal_iiT0_T1_lilT2_lili
    .private_segment_fixed_size: 0
    .sgpr_count:     36
    .sgpr_spill_count: 0
    .symbol:         _ZL31rocblas_trsm_small_right_deviceI19rocblas_complex_numIfES1_PKS1_PS1_Li28EEv13rocblas_fill_18rocblas_operation_17rocblas_diagonal_iiT0_T1_lilT2_lili.kd
    .uniform_work_group_size: 1
    .uses_dynamic_stack: false
    .vgpr_count:     31
    .vgpr_spill_count: 0
    .wavefront_size: 64
  - .args:
      - .offset:         0
        .size:           4
        .value_kind:     by_value
      - .offset:         4
        .size:           4
        .value_kind:     by_value
      - .offset:         8
        .size:           4
        .value_kind:     by_value
      - .offset:         12
        .size:           4
        .value_kind:     by_value
      - .offset:         16
        .size:           4
        .value_kind:     by_value
      - .offset:         20
        .size:           8
        .value_kind:     by_value
      - .address_space:  global
        .offset:         32
        .size:           8
        .value_kind:     global_buffer
      - .offset:         40
        .size:           8
        .value_kind:     by_value
      - .offset:         48
        .size:           4
        .value_kind:     by_value
      - .offset:         56
        .size:           8
        .value_kind:     by_value
      - .address_space:  global
        .offset:         64
        .size:           8
        .value_kind:     global_buffer
      - .offset:         72
        .size:           8
        .value_kind:     by_value
      - .offset:         80
        .size:           4
        .value_kind:     by_value
      - .offset:         88
        .size:           8
        .value_kind:     by_value
      - .offset:         96
        .size:           4
        .value_kind:     by_value
      - .offset:         104
        .size:           4
        .value_kind:     hidden_block_count_x
      - .offset:         108
        .size:           4
        .value_kind:     hidden_block_count_y
      - .offset:         112
        .size:           4
        .value_kind:     hidden_block_count_z
      - .offset:         116
        .size:           2
        .value_kind:     hidden_group_size_x
      - .offset:         118
        .size:           2
        .value_kind:     hidden_group_size_y
      - .offset:         120
        .size:           2
        .value_kind:     hidden_group_size_z
      - .offset:         122
        .size:           2
        .value_kind:     hidden_remainder_x
      - .offset:         124
        .size:           2
        .value_kind:     hidden_remainder_y
      - .offset:         126
        .size:           2
        .value_kind:     hidden_remainder_z
      - .offset:         144
        .size:           8
        .value_kind:     hidden_global_offset_x
      - .offset:         152
        .size:           8
        .value_kind:     hidden_global_offset_y
      - .offset:         160
        .size:           8
        .value_kind:     hidden_global_offset_z
      - .offset:         168
        .size:           2
        .value_kind:     hidden_grid_dims
    .group_segment_fixed_size: 16384
    .kernarg_segment_align: 8
    .kernarg_segment_size: 360
    .language:       OpenCL C
    .language_version:
      - 2
      - 0
    .max_flat_workgroup_size: 32
    .name:           _ZL38rocblas_trsm_small_left_device_sharedBILi32ELi32ELb0E19rocblas_complex_numIfES1_PKS1_PS1_Ev13rocblas_fill_18rocblas_operation_17rocblas_diagonal_iiT3_T4_lilT5_lili
    .private_segment_fixed_size: 272
    .sgpr_count:     54
    .sgpr_spill_count: 0
    .symbol:         _ZL38rocblas_trsm_small_left_device_sharedBILi32ELi32ELb0E19rocblas_complex_numIfES1_PKS1_PS1_Ev13rocblas_fill_18rocblas_operation_17rocblas_diagonal_iiT3_T4_lilT5_lili.kd
    .uniform_work_group_size: 1
    .uses_dynamic_stack: false
    .vgpr_count:     245
    .vgpr_spill_count: 0
    .wavefront_size: 64
  - .args:
      - .offset:         0
        .size:           4
        .value_kind:     by_value
      - .offset:         4
        .size:           4
        .value_kind:     by_value
      - .offset:         8
        .size:           4
        .value_kind:     by_value
      - .offset:         12
        .size:           4
        .value_kind:     by_value
      - .offset:         16
        .size:           4
        .value_kind:     by_value
      - .offset:         20
        .size:           8
        .value_kind:     by_value
      - .address_space:  global
        .offset:         32
        .size:           8
        .value_kind:     global_buffer
      - .offset:         40
        .size:           8
        .value_kind:     by_value
      - .offset:         48
        .size:           4
        .value_kind:     by_value
      - .offset:         56
        .size:           8
        .value_kind:     by_value
      - .address_space:  global
        .offset:         64
        .size:           8
        .value_kind:     global_buffer
      - .offset:         72
        .size:           8
        .value_kind:     by_value
      - .offset:         80
        .size:           4
        .value_kind:     by_value
      - .offset:         88
        .size:           8
        .value_kind:     by_value
      - .offset:         96
        .size:           4
        .value_kind:     by_value
      - .offset:         104
        .size:           4
        .value_kind:     hidden_block_count_x
      - .offset:         108
        .size:           4
        .value_kind:     hidden_block_count_y
      - .offset:         112
        .size:           4
        .value_kind:     hidden_block_count_z
      - .offset:         116
        .size:           2
        .value_kind:     hidden_group_size_x
      - .offset:         118
        .size:           2
        .value_kind:     hidden_group_size_y
      - .offset:         120
        .size:           2
        .value_kind:     hidden_group_size_z
      - .offset:         122
        .size:           2
        .value_kind:     hidden_remainder_x
      - .offset:         124
        .size:           2
        .value_kind:     hidden_remainder_y
      - .offset:         126
        .size:           2
        .value_kind:     hidden_remainder_z
      - .offset:         144
        .size:           8
        .value_kind:     hidden_global_offset_x
      - .offset:         152
        .size:           8
        .value_kind:     hidden_global_offset_y
      - .offset:         160
        .size:           8
        .value_kind:     hidden_global_offset_z
      - .offset:         168
        .size:           2
        .value_kind:     hidden_grid_dims
    .group_segment_fixed_size: 8192
    .kernarg_segment_align: 8
    .kernarg_segment_size: 360
    .language:       OpenCL C
    .language_version:
      - 2
      - 0
    .max_flat_workgroup_size: 32
    .name:           _ZL30rocblas_trsm_small_left_deviceILi32ELi32ELb0E19rocblas_complex_numIfES1_PKS1_PS1_Ev13rocblas_fill_18rocblas_operation_17rocblas_diagonal_iiT3_T4_lilT5_lili
    .private_segment_fixed_size: 272
    .sgpr_count:     36
    .sgpr_spill_count: 0
    .symbol:         _ZL30rocblas_trsm_small_left_deviceILi32ELi32ELb0E19rocblas_complex_numIfES1_PKS1_PS1_Ev13rocblas_fill_18rocblas_operation_17rocblas_diagonal_iiT3_T4_lilT5_lili.kd
    .uniform_work_group_size: 1
    .uses_dynamic_stack: false
    .vgpr_count:     17
    .vgpr_spill_count: 0
    .wavefront_size: 64
  - .args:
      - .offset:         0
        .size:           4
        .value_kind:     by_value
      - .offset:         4
        .size:           4
        .value_kind:     by_value
      - .offset:         8
        .size:           4
        .value_kind:     by_value
      - .offset:         12
        .size:           4
        .value_kind:     by_value
      - .offset:         16
        .size:           4
        .value_kind:     by_value
      - .offset:         20
        .size:           8
        .value_kind:     by_value
      - .address_space:  global
        .offset:         32
        .size:           8
        .value_kind:     global_buffer
      - .offset:         40
        .size:           8
        .value_kind:     by_value
      - .offset:         48
        .size:           4
        .value_kind:     by_value
      - .offset:         56
        .size:           8
        .value_kind:     by_value
      - .address_space:  global
        .offset:         64
        .size:           8
        .value_kind:     global_buffer
      - .offset:         72
        .size:           8
        .value_kind:     by_value
      - .offset:         80
        .size:           4
        .value_kind:     by_value
      - .offset:         88
        .size:           8
        .value_kind:     by_value
      - .offset:         96
        .size:           4
        .value_kind:     by_value
      - .offset:         104
        .size:           4
        .value_kind:     hidden_block_count_x
      - .offset:         108
        .size:           4
        .value_kind:     hidden_block_count_y
      - .offset:         112
        .size:           4
        .value_kind:     hidden_block_count_z
      - .offset:         116
        .size:           2
        .value_kind:     hidden_group_size_x
      - .offset:         118
        .size:           2
        .value_kind:     hidden_group_size_y
      - .offset:         120
        .size:           2
        .value_kind:     hidden_group_size_z
      - .offset:         122
        .size:           2
        .value_kind:     hidden_remainder_x
      - .offset:         124
        .size:           2
        .value_kind:     hidden_remainder_y
      - .offset:         126
        .size:           2
        .value_kind:     hidden_remainder_z
      - .offset:         144
        .size:           8
        .value_kind:     hidden_global_offset_x
      - .offset:         152
        .size:           8
        .value_kind:     hidden_global_offset_y
      - .offset:         160
        .size:           8
        .value_kind:     hidden_global_offset_z
      - .offset:         168
        .size:           2
        .value_kind:     hidden_grid_dims
    .group_segment_fixed_size: 16384
    .kernarg_segment_align: 8
    .kernarg_segment_size: 360
    .language:       OpenCL C
    .language_version:
      - 2
      - 0
    .max_flat_workgroup_size: 32
    .name:           _ZL38rocblas_trsm_small_left_device_sharedBILi32ELi32ELb1E19rocblas_complex_numIfES1_PKS1_PS1_Ev13rocblas_fill_18rocblas_operation_17rocblas_diagonal_iiT3_T4_lilT5_lili
    .private_segment_fixed_size: 272
    .sgpr_count:     41
    .sgpr_spill_count: 0
    .symbol:         _ZL38rocblas_trsm_small_left_device_sharedBILi32ELi32ELb1E19rocblas_complex_numIfES1_PKS1_PS1_Ev13rocblas_fill_18rocblas_operation_17rocblas_diagonal_iiT3_T4_lilT5_lili.kd
    .uniform_work_group_size: 1
    .uses_dynamic_stack: false
    .vgpr_count:     256
    .vgpr_spill_count: 2
    .wavefront_size: 64
  - .args:
      - .offset:         0
        .size:           4
        .value_kind:     by_value
      - .offset:         4
        .size:           4
        .value_kind:     by_value
      - .offset:         8
        .size:           4
        .value_kind:     by_value
      - .offset:         12
        .size:           4
        .value_kind:     by_value
      - .offset:         16
        .size:           4
        .value_kind:     by_value
      - .offset:         20
        .size:           8
        .value_kind:     by_value
      - .address_space:  global
        .offset:         32
        .size:           8
        .value_kind:     global_buffer
      - .offset:         40
        .size:           8
        .value_kind:     by_value
      - .offset:         48
        .size:           4
        .value_kind:     by_value
      - .offset:         56
        .size:           8
        .value_kind:     by_value
      - .address_space:  global
        .offset:         64
        .size:           8
        .value_kind:     global_buffer
      - .offset:         72
        .size:           8
        .value_kind:     by_value
      - .offset:         80
        .size:           4
        .value_kind:     by_value
      - .offset:         88
        .size:           8
        .value_kind:     by_value
      - .offset:         96
        .size:           4
        .value_kind:     by_value
      - .offset:         104
        .size:           4
        .value_kind:     hidden_block_count_x
      - .offset:         108
        .size:           4
        .value_kind:     hidden_block_count_y
      - .offset:         112
        .size:           4
        .value_kind:     hidden_block_count_z
      - .offset:         116
        .size:           2
        .value_kind:     hidden_group_size_x
      - .offset:         118
        .size:           2
        .value_kind:     hidden_group_size_y
      - .offset:         120
        .size:           2
        .value_kind:     hidden_group_size_z
      - .offset:         122
        .size:           2
        .value_kind:     hidden_remainder_x
      - .offset:         124
        .size:           2
        .value_kind:     hidden_remainder_y
      - .offset:         126
        .size:           2
        .value_kind:     hidden_remainder_z
      - .offset:         144
        .size:           8
        .value_kind:     hidden_global_offset_x
      - .offset:         152
        .size:           8
        .value_kind:     hidden_global_offset_y
      - .offset:         160
        .size:           8
        .value_kind:     hidden_global_offset_z
      - .offset:         168
        .size:           2
        .value_kind:     hidden_grid_dims
    .group_segment_fixed_size: 8192
    .kernarg_segment_align: 8
    .kernarg_segment_size: 360
    .language:       OpenCL C
    .language_version:
      - 2
      - 0
    .max_flat_workgroup_size: 32
    .name:           _ZL30rocblas_trsm_small_left_deviceILi32ELi32ELb1E19rocblas_complex_numIfES1_PKS1_PS1_Ev13rocblas_fill_18rocblas_operation_17rocblas_diagonal_iiT3_T4_lilT5_lili
    .private_segment_fixed_size: 272
    .sgpr_count:     39
    .sgpr_spill_count: 0
    .symbol:         _ZL30rocblas_trsm_small_left_deviceILi32ELi32ELb1E19rocblas_complex_numIfES1_PKS1_PS1_Ev13rocblas_fill_18rocblas_operation_17rocblas_diagonal_iiT3_T4_lilT5_lili.kd
    .uniform_work_group_size: 1
    .uses_dynamic_stack: false
    .vgpr_count:     15
    .vgpr_spill_count: 0
    .wavefront_size: 64
  - .args:
      - .offset:         0
        .size:           4
        .value_kind:     by_value
      - .offset:         4
        .size:           4
        .value_kind:     by_value
      - .offset:         8
        .size:           4
        .value_kind:     by_value
      - .offset:         12
        .size:           4
        .value_kind:     by_value
      - .offset:         16
        .size:           4
        .value_kind:     by_value
      - .offset:         20
        .size:           8
        .value_kind:     by_value
      - .address_space:  global
        .offset:         32
        .size:           8
        .value_kind:     global_buffer
      - .offset:         40
        .size:           8
        .value_kind:     by_value
      - .offset:         48
        .size:           4
        .value_kind:     by_value
      - .offset:         56
        .size:           8
        .value_kind:     by_value
      - .address_space:  global
        .offset:         64
        .size:           8
        .value_kind:     global_buffer
      - .offset:         72
        .size:           8
        .value_kind:     by_value
      - .offset:         80
        .size:           4
        .value_kind:     by_value
      - .offset:         88
        .size:           8
        .value_kind:     by_value
      - .offset:         96
        .size:           4
        .value_kind:     by_value
      - .offset:         104
        .size:           4
        .value_kind:     hidden_block_count_x
      - .offset:         108
        .size:           4
        .value_kind:     hidden_block_count_y
      - .offset:         112
        .size:           4
        .value_kind:     hidden_block_count_z
      - .offset:         116
        .size:           2
        .value_kind:     hidden_group_size_x
      - .offset:         118
        .size:           2
        .value_kind:     hidden_group_size_y
      - .offset:         120
        .size:           2
        .value_kind:     hidden_group_size_z
      - .offset:         122
        .size:           2
        .value_kind:     hidden_remainder_x
      - .offset:         124
        .size:           2
        .value_kind:     hidden_remainder_y
      - .offset:         126
        .size:           2
        .value_kind:     hidden_remainder_z
      - .offset:         144
        .size:           8
        .value_kind:     hidden_global_offset_x
      - .offset:         152
        .size:           8
        .value_kind:     hidden_global_offset_y
      - .offset:         160
        .size:           8
        .value_kind:     hidden_global_offset_z
      - .offset:         168
        .size:           2
        .value_kind:     hidden_grid_dims
    .group_segment_fixed_size: 16384
    .kernarg_segment_align: 8
    .kernarg_segment_size: 360
    .language:       OpenCL C
    .language_version:
      - 2
      - 0
    .max_flat_workgroup_size: 32
    .name:           _ZL31rocblas_trsm_small_right_deviceI19rocblas_complex_numIfES1_PKS1_PS1_Li32EEv13rocblas_fill_18rocblas_operation_17rocblas_diagonal_iiT0_T1_lilT2_lili
    .private_segment_fixed_size: 0
    .sgpr_count:     36
    .sgpr_spill_count: 0
    .symbol:         _ZL31rocblas_trsm_small_right_deviceI19rocblas_complex_numIfES1_PKS1_PS1_Li32EEv13rocblas_fill_18rocblas_operation_17rocblas_diagonal_iiT0_T1_lilT2_lili.kd
    .uniform_work_group_size: 1
    .uses_dynamic_stack: false
    .vgpr_count:     31
    .vgpr_spill_count: 0
    .wavefront_size: 64
  - .args:
      - .offset:         0
        .size:           4
        .value_kind:     by_value
      - .offset:         4
        .size:           4
        .value_kind:     by_value
      - .offset:         8
        .size:           4
        .value_kind:     by_value
      - .offset:         12
        .size:           4
        .value_kind:     by_value
      - .offset:         16
        .size:           4
        .value_kind:     by_value
      - .offset:         20
        .size:           8
        .value_kind:     by_value
      - .address_space:  global
        .offset:         32
        .size:           8
        .value_kind:     global_buffer
      - .offset:         40
        .size:           8
        .value_kind:     by_value
      - .offset:         48
        .size:           4
        .value_kind:     by_value
      - .offset:         56
        .size:           8
        .value_kind:     by_value
      - .address_space:  global
        .offset:         64
        .size:           8
        .value_kind:     global_buffer
      - .offset:         72
        .size:           8
        .value_kind:     by_value
      - .offset:         80
        .size:           4
        .value_kind:     by_value
      - .offset:         88
        .size:           8
        .value_kind:     by_value
      - .offset:         96
        .size:           4
        .value_kind:     by_value
      - .offset:         104
        .size:           4
        .value_kind:     hidden_block_count_x
      - .offset:         108
        .size:           4
        .value_kind:     hidden_block_count_y
      - .offset:         112
        .size:           4
        .value_kind:     hidden_block_count_z
      - .offset:         116
        .size:           2
        .value_kind:     hidden_group_size_x
      - .offset:         118
        .size:           2
        .value_kind:     hidden_group_size_y
      - .offset:         120
        .size:           2
        .value_kind:     hidden_group_size_z
      - .offset:         122
        .size:           2
        .value_kind:     hidden_remainder_x
      - .offset:         124
        .size:           2
        .value_kind:     hidden_remainder_y
      - .offset:         126
        .size:           2
        .value_kind:     hidden_remainder_z
      - .offset:         144
        .size:           8
        .value_kind:     hidden_global_offset_x
      - .offset:         152
        .size:           8
        .value_kind:     hidden_global_offset_y
      - .offset:         160
        .size:           8
        .value_kind:     hidden_global_offset_z
      - .offset:         168
        .size:           2
        .value_kind:     hidden_grid_dims
    .group_segment_fixed_size: 65536
    .kernarg_segment_align: 8
    .kernarg_segment_size: 360
    .language:       OpenCL C
    .language_version:
      - 2
      - 0
    .max_flat_workgroup_size: 64
    .name:           _ZL38rocblas_trsm_small_left_device_sharedBILi64ELi32ELb0E19rocblas_complex_numIfES1_PKS1_PS1_Ev13rocblas_fill_18rocblas_operation_17rocblas_diagonal_iiT3_T4_lilT5_lili
    .private_segment_fixed_size: 272
    .sgpr_count:     59
    .sgpr_spill_count: 0
    .symbol:         _ZL38rocblas_trsm_small_left_device_sharedBILi64ELi32ELb0E19rocblas_complex_numIfES1_PKS1_PS1_Ev13rocblas_fill_18rocblas_operation_17rocblas_diagonal_iiT3_T4_lilT5_lili.kd
    .uniform_work_group_size: 1
    .uses_dynamic_stack: false
    .vgpr_count:     243
    .vgpr_spill_count: 0
    .wavefront_size: 64
  - .args:
      - .offset:         0
        .size:           4
        .value_kind:     by_value
      - .offset:         4
        .size:           4
        .value_kind:     by_value
      - .offset:         8
        .size:           4
        .value_kind:     by_value
      - .offset:         12
        .size:           4
        .value_kind:     by_value
      - .offset:         16
        .size:           4
        .value_kind:     by_value
      - .offset:         20
        .size:           8
        .value_kind:     by_value
      - .address_space:  global
        .offset:         32
        .size:           8
        .value_kind:     global_buffer
      - .offset:         40
        .size:           8
        .value_kind:     by_value
      - .offset:         48
        .size:           4
        .value_kind:     by_value
      - .offset:         56
        .size:           8
        .value_kind:     by_value
      - .address_space:  global
        .offset:         64
        .size:           8
        .value_kind:     global_buffer
      - .offset:         72
        .size:           8
        .value_kind:     by_value
      - .offset:         80
        .size:           4
        .value_kind:     by_value
      - .offset:         88
        .size:           8
        .value_kind:     by_value
      - .offset:         96
        .size:           4
        .value_kind:     by_value
      - .offset:         104
        .size:           4
        .value_kind:     hidden_block_count_x
      - .offset:         108
        .size:           4
        .value_kind:     hidden_block_count_y
      - .offset:         112
        .size:           4
        .value_kind:     hidden_block_count_z
      - .offset:         116
        .size:           2
        .value_kind:     hidden_group_size_x
      - .offset:         118
        .size:           2
        .value_kind:     hidden_group_size_y
      - .offset:         120
        .size:           2
        .value_kind:     hidden_group_size_z
      - .offset:         122
        .size:           2
        .value_kind:     hidden_remainder_x
      - .offset:         124
        .size:           2
        .value_kind:     hidden_remainder_y
      - .offset:         126
        .size:           2
        .value_kind:     hidden_remainder_z
      - .offset:         144
        .size:           8
        .value_kind:     hidden_global_offset_x
      - .offset:         152
        .size:           8
        .value_kind:     hidden_global_offset_y
      - .offset:         160
        .size:           8
        .value_kind:     hidden_global_offset_z
      - .offset:         168
        .size:           2
        .value_kind:     hidden_grid_dims
    .group_segment_fixed_size: 32768
    .kernarg_segment_align: 8
    .kernarg_segment_size: 360
    .language:       OpenCL C
    .language_version:
      - 2
      - 0
    .max_flat_workgroup_size: 64
    .name:           _ZL30rocblas_trsm_small_left_deviceILi64ELi32ELb0E19rocblas_complex_numIfES1_PKS1_PS1_Ev13rocblas_fill_18rocblas_operation_17rocblas_diagonal_iiT3_T4_lilT5_lili
    .private_segment_fixed_size: 272
    .sgpr_count:     36
    .sgpr_spill_count: 0
    .symbol:         _ZL30rocblas_trsm_small_left_deviceILi64ELi32ELb0E19rocblas_complex_numIfES1_PKS1_PS1_Ev13rocblas_fill_18rocblas_operation_17rocblas_diagonal_iiT3_T4_lilT5_lili.kd
    .uniform_work_group_size: 1
    .uses_dynamic_stack: false
    .vgpr_count:     17
    .vgpr_spill_count: 0
    .wavefront_size: 64
  - .args:
      - .offset:         0
        .size:           4
        .value_kind:     by_value
      - .offset:         4
        .size:           4
        .value_kind:     by_value
      - .offset:         8
        .size:           4
        .value_kind:     by_value
      - .offset:         12
        .size:           4
        .value_kind:     by_value
      - .offset:         16
        .size:           4
        .value_kind:     by_value
      - .offset:         20
        .size:           8
        .value_kind:     by_value
      - .address_space:  global
        .offset:         32
        .size:           8
        .value_kind:     global_buffer
      - .offset:         40
        .size:           8
        .value_kind:     by_value
      - .offset:         48
        .size:           4
        .value_kind:     by_value
      - .offset:         56
        .size:           8
        .value_kind:     by_value
      - .address_space:  global
        .offset:         64
        .size:           8
        .value_kind:     global_buffer
      - .offset:         72
        .size:           8
        .value_kind:     by_value
      - .offset:         80
        .size:           4
        .value_kind:     by_value
      - .offset:         88
        .size:           8
        .value_kind:     by_value
      - .offset:         96
        .size:           4
        .value_kind:     by_value
      - .offset:         104
        .size:           4
        .value_kind:     hidden_block_count_x
      - .offset:         108
        .size:           4
        .value_kind:     hidden_block_count_y
      - .offset:         112
        .size:           4
        .value_kind:     hidden_block_count_z
      - .offset:         116
        .size:           2
        .value_kind:     hidden_group_size_x
      - .offset:         118
        .size:           2
        .value_kind:     hidden_group_size_y
      - .offset:         120
        .size:           2
        .value_kind:     hidden_group_size_z
      - .offset:         122
        .size:           2
        .value_kind:     hidden_remainder_x
      - .offset:         124
        .size:           2
        .value_kind:     hidden_remainder_y
      - .offset:         126
        .size:           2
        .value_kind:     hidden_remainder_z
      - .offset:         144
        .size:           8
        .value_kind:     hidden_global_offset_x
      - .offset:         152
        .size:           8
        .value_kind:     hidden_global_offset_y
      - .offset:         160
        .size:           8
        .value_kind:     hidden_global_offset_z
      - .offset:         168
        .size:           2
        .value_kind:     hidden_grid_dims
    .group_segment_fixed_size: 65536
    .kernarg_segment_align: 8
    .kernarg_segment_size: 360
    .language:       OpenCL C
    .language_version:
      - 2
      - 0
    .max_flat_workgroup_size: 64
    .name:           _ZL38rocblas_trsm_small_left_device_sharedBILi64ELi32ELb1E19rocblas_complex_numIfES1_PKS1_PS1_Ev13rocblas_fill_18rocblas_operation_17rocblas_diagonal_iiT3_T4_lilT5_lili
    .private_segment_fixed_size: 288
    .sgpr_count:     48
    .sgpr_spill_count: 0
    .symbol:         _ZL38rocblas_trsm_small_left_device_sharedBILi64ELi32ELb1E19rocblas_complex_numIfES1_PKS1_PS1_Ev13rocblas_fill_18rocblas_operation_17rocblas_diagonal_iiT3_T4_lilT5_lili.kd
    .uniform_work_group_size: 1
    .uses_dynamic_stack: false
    .vgpr_count:     256
    .vgpr_spill_count: 4
    .wavefront_size: 64
  - .args:
      - .offset:         0
        .size:           4
        .value_kind:     by_value
      - .offset:         4
        .size:           4
        .value_kind:     by_value
      - .offset:         8
        .size:           4
        .value_kind:     by_value
      - .offset:         12
        .size:           4
        .value_kind:     by_value
      - .offset:         16
        .size:           4
        .value_kind:     by_value
      - .offset:         20
        .size:           8
        .value_kind:     by_value
      - .address_space:  global
        .offset:         32
        .size:           8
        .value_kind:     global_buffer
      - .offset:         40
        .size:           8
        .value_kind:     by_value
      - .offset:         48
        .size:           4
        .value_kind:     by_value
      - .offset:         56
        .size:           8
        .value_kind:     by_value
      - .address_space:  global
        .offset:         64
        .size:           8
        .value_kind:     global_buffer
      - .offset:         72
        .size:           8
        .value_kind:     by_value
      - .offset:         80
        .size:           4
        .value_kind:     by_value
      - .offset:         88
        .size:           8
        .value_kind:     by_value
      - .offset:         96
        .size:           4
        .value_kind:     by_value
      - .offset:         104
        .size:           4
        .value_kind:     hidden_block_count_x
      - .offset:         108
        .size:           4
        .value_kind:     hidden_block_count_y
      - .offset:         112
        .size:           4
        .value_kind:     hidden_block_count_z
      - .offset:         116
        .size:           2
        .value_kind:     hidden_group_size_x
      - .offset:         118
        .size:           2
        .value_kind:     hidden_group_size_y
      - .offset:         120
        .size:           2
        .value_kind:     hidden_group_size_z
      - .offset:         122
        .size:           2
        .value_kind:     hidden_remainder_x
      - .offset:         124
        .size:           2
        .value_kind:     hidden_remainder_y
      - .offset:         126
        .size:           2
        .value_kind:     hidden_remainder_z
      - .offset:         144
        .size:           8
        .value_kind:     hidden_global_offset_x
      - .offset:         152
        .size:           8
        .value_kind:     hidden_global_offset_y
      - .offset:         160
        .size:           8
        .value_kind:     hidden_global_offset_z
      - .offset:         168
        .size:           2
        .value_kind:     hidden_grid_dims
    .group_segment_fixed_size: 32768
    .kernarg_segment_align: 8
    .kernarg_segment_size: 360
    .language:       OpenCL C
    .language_version:
      - 2
      - 0
    .max_flat_workgroup_size: 64
    .name:           _ZL30rocblas_trsm_small_left_deviceILi64ELi32ELb1E19rocblas_complex_numIfES1_PKS1_PS1_Ev13rocblas_fill_18rocblas_operation_17rocblas_diagonal_iiT3_T4_lilT5_lili
    .private_segment_fixed_size: 272
    .sgpr_count:     39
    .sgpr_spill_count: 0
    .symbol:         _ZL30rocblas_trsm_small_left_deviceILi64ELi32ELb1E19rocblas_complex_numIfES1_PKS1_PS1_Ev13rocblas_fill_18rocblas_operation_17rocblas_diagonal_iiT3_T4_lilT5_lili.kd
    .uniform_work_group_size: 1
    .uses_dynamic_stack: false
    .vgpr_count:     15
    .vgpr_spill_count: 0
    .wavefront_size: 64
  - .args:
      - .offset:         0
        .size:           4
        .value_kind:     by_value
      - .offset:         4
        .size:           4
        .value_kind:     by_value
      - .offset:         8
        .size:           4
        .value_kind:     by_value
      - .offset:         12
        .size:           4
        .value_kind:     by_value
      - .offset:         16
        .size:           4
        .value_kind:     by_value
      - .offset:         20
        .size:           8
        .value_kind:     by_value
      - .address_space:  global
        .offset:         32
        .size:           8
        .value_kind:     global_buffer
      - .offset:         40
        .size:           8
        .value_kind:     by_value
      - .offset:         48
        .size:           4
        .value_kind:     by_value
      - .offset:         56
        .size:           8
        .value_kind:     by_value
      - .address_space:  global
        .offset:         64
        .size:           8
        .value_kind:     global_buffer
      - .offset:         72
        .size:           8
        .value_kind:     by_value
      - .offset:         80
        .size:           4
        .value_kind:     by_value
      - .offset:         88
        .size:           8
        .value_kind:     by_value
      - .offset:         96
        .size:           4
        .value_kind:     by_value
      - .offset:         104
        .size:           4
        .value_kind:     hidden_block_count_x
      - .offset:         108
        .size:           4
        .value_kind:     hidden_block_count_y
      - .offset:         112
        .size:           4
        .value_kind:     hidden_block_count_z
      - .offset:         116
        .size:           2
        .value_kind:     hidden_group_size_x
      - .offset:         118
        .size:           2
        .value_kind:     hidden_group_size_y
      - .offset:         120
        .size:           2
        .value_kind:     hidden_group_size_z
      - .offset:         122
        .size:           2
        .value_kind:     hidden_remainder_x
      - .offset:         124
        .size:           2
        .value_kind:     hidden_remainder_y
      - .offset:         126
        .size:           2
        .value_kind:     hidden_remainder_z
      - .offset:         144
        .size:           8
        .value_kind:     hidden_global_offset_x
      - .offset:         152
        .size:           8
        .value_kind:     hidden_global_offset_y
      - .offset:         160
        .size:           8
        .value_kind:     hidden_global_offset_z
      - .offset:         168
        .size:           2
        .value_kind:     hidden_grid_dims
    .group_segment_fixed_size: 65536
    .kernarg_segment_align: 8
    .kernarg_segment_size: 360
    .language:       OpenCL C
    .language_version:
      - 2
      - 0
    .max_flat_workgroup_size: 64
    .name:           _ZL31rocblas_trsm_small_right_deviceI19rocblas_complex_numIfES1_PKS1_PS1_Li64EEv13rocblas_fill_18rocblas_operation_17rocblas_diagonal_iiT0_T1_lilT2_lili
    .private_segment_fixed_size: 0
    .sgpr_count:     36
    .sgpr_spill_count: 0
    .symbol:         _ZL31rocblas_trsm_small_right_deviceI19rocblas_complex_numIfES1_PKS1_PS1_Li64EEv13rocblas_fill_18rocblas_operation_17rocblas_diagonal_iiT0_T1_lilT2_lili.kd
    .uniform_work_group_size: 1
    .uses_dynamic_stack: false
    .vgpr_count:     31
    .vgpr_spill_count: 0
    .wavefront_size: 64
  - .args:
      - .offset:         0
        .size:           4
        .value_kind:     by_value
      - .offset:         8
        .size:           8
        .value_kind:     by_value
      - .offset:         16
        .size:           8
        .value_kind:     by_value
      - .offset:         24
        .size:           8
        .value_kind:     by_value
      - .address_space:  global
        .offset:         32
        .size:           8
        .value_kind:     global_buffer
      - .offset:         40
        .size:           8
        .value_kind:     by_value
      - .offset:         48
        .size:           8
        .value_kind:     by_value
      - .offset:         56
        .size:           8
        .value_kind:     by_value
      - .address_space:  global
        .offset:         64
        .size:           8
        .value_kind:     global_buffer
      - .offset:         72
        .size:           8
        .value_kind:     by_value
      - .offset:         80
        .size:           8
        .value_kind:     by_value
      - .offset:         88
        .size:           8
        .value_kind:     by_value
      - .offset:         96
        .size:           4
        .value_kind:     by_value
      - .offset:         100
        .size:           1
        .value_kind:     by_value
      - .offset:         104
        .size:           4
        .value_kind:     hidden_block_count_x
      - .offset:         108
        .size:           4
        .value_kind:     hidden_block_count_y
      - .offset:         112
        .size:           4
        .value_kind:     hidden_block_count_z
      - .offset:         116
        .size:           2
        .value_kind:     hidden_group_size_x
      - .offset:         118
        .size:           2
        .value_kind:     hidden_group_size_y
      - .offset:         120
        .size:           2
        .value_kind:     hidden_group_size_z
      - .offset:         122
        .size:           2
        .value_kind:     hidden_remainder_x
      - .offset:         124
        .size:           2
        .value_kind:     hidden_remainder_y
      - .offset:         126
        .size:           2
        .value_kind:     hidden_remainder_z
      - .offset:         144
        .size:           8
        .value_kind:     hidden_global_offset_x
      - .offset:         152
        .size:           8
        .value_kind:     hidden_global_offset_y
      - .offset:         160
        .size:           8
        .value_kind:     hidden_global_offset_z
      - .offset:         168
        .size:           2
        .value_kind:     hidden_grid_dims
      - .offset:         224
        .size:           4
        .value_kind:     hidden_dynamic_lds_size
    .group_segment_fixed_size: 0
    .kernarg_segment_align: 8
    .kernarg_segment_size: 360
    .language:       OpenCL C
    .language_version:
      - 2
      - 0
    .max_flat_workgroup_size: 1024
    .name:           _ZL39rocblas_trsm_block_forward_substitutionI19rocblas_complex_numIfES1_PKS1_PS1_Lb0ELb0ELb0EEv18rocblas_operation_llT0_T1_lllT2_lllib
    .private_segment_fixed_size: 0
    .sgpr_count:     44
    .sgpr_spill_count: 0
    .symbol:         _ZL39rocblas_trsm_block_forward_substitutionI19rocblas_complex_numIfES1_PKS1_PS1_Lb0ELb0ELb0EEv18rocblas_operation_llT0_T1_lllT2_lllib.kd
    .uniform_work_group_size: 1
    .uses_dynamic_stack: false
    .vgpr_count:     18
    .vgpr_spill_count: 0
    .wavefront_size: 64
  - .args:
      - .offset:         0
        .size:           4
        .value_kind:     by_value
      - .offset:         8
        .size:           8
        .value_kind:     by_value
      - .offset:         16
        .size:           8
        .value_kind:     by_value
      - .offset:         24
        .size:           8
        .value_kind:     by_value
      - .address_space:  global
        .offset:         32
        .size:           8
        .value_kind:     global_buffer
      - .offset:         40
        .size:           8
        .value_kind:     by_value
      - .offset:         48
        .size:           8
        .value_kind:     by_value
      - .offset:         56
        .size:           8
        .value_kind:     by_value
      - .address_space:  global
        .offset:         64
        .size:           8
        .value_kind:     global_buffer
      - .offset:         72
        .size:           8
        .value_kind:     by_value
      - .offset:         80
        .size:           8
        .value_kind:     by_value
      - .offset:         88
        .size:           8
        .value_kind:     by_value
      - .offset:         96
        .size:           4
        .value_kind:     by_value
      - .offset:         100
        .size:           1
        .value_kind:     by_value
      - .offset:         104
        .size:           4
        .value_kind:     hidden_block_count_x
      - .offset:         108
        .size:           4
        .value_kind:     hidden_block_count_y
      - .offset:         112
        .size:           4
        .value_kind:     hidden_block_count_z
      - .offset:         116
        .size:           2
        .value_kind:     hidden_group_size_x
      - .offset:         118
        .size:           2
        .value_kind:     hidden_group_size_y
      - .offset:         120
        .size:           2
        .value_kind:     hidden_group_size_z
      - .offset:         122
        .size:           2
        .value_kind:     hidden_remainder_x
      - .offset:         124
        .size:           2
        .value_kind:     hidden_remainder_y
      - .offset:         126
        .size:           2
        .value_kind:     hidden_remainder_z
      - .offset:         144
        .size:           8
        .value_kind:     hidden_global_offset_x
      - .offset:         152
        .size:           8
        .value_kind:     hidden_global_offset_y
      - .offset:         160
        .size:           8
        .value_kind:     hidden_global_offset_z
      - .offset:         168
        .size:           2
        .value_kind:     hidden_grid_dims
      - .offset:         224
        .size:           4
        .value_kind:     hidden_dynamic_lds_size
    .group_segment_fixed_size: 0
    .kernarg_segment_align: 8
    .kernarg_segment_size: 360
    .language:       OpenCL C
    .language_version:
      - 2
      - 0
    .max_flat_workgroup_size: 1024
    .name:           _ZL40rocblas_trsm_block_backward_substitutionI19rocblas_complex_numIfES1_PKS1_PS1_Lb0ELb0ELb0EEv18rocblas_operation_llT0_T1_lllT2_lllib
    .private_segment_fixed_size: 0
    .sgpr_count:     48
    .sgpr_spill_count: 0
    .symbol:         _ZL40rocblas_trsm_block_backward_substitutionI19rocblas_complex_numIfES1_PKS1_PS1_Lb0ELb0ELb0EEv18rocblas_operation_llT0_T1_lllT2_lllib.kd
    .uniform_work_group_size: 1
    .uses_dynamic_stack: false
    .vgpr_count:     18
    .vgpr_spill_count: 0
    .wavefront_size: 64
  - .args:
      - .offset:         0
        .size:           4
        .value_kind:     by_value
      - .offset:         8
        .size:           8
        .value_kind:     by_value
      - .offset:         16
        .size:           8
        .value_kind:     by_value
      - .offset:         24
        .size:           8
        .value_kind:     by_value
      - .address_space:  global
        .offset:         32
        .size:           8
        .value_kind:     global_buffer
      - .offset:         40
        .size:           8
        .value_kind:     by_value
      - .offset:         48
        .size:           8
        .value_kind:     by_value
      - .offset:         56
        .size:           8
        .value_kind:     by_value
      - .address_space:  global
        .offset:         64
        .size:           8
        .value_kind:     global_buffer
      - .offset:         72
        .size:           8
        .value_kind:     by_value
      - .offset:         80
        .size:           8
        .value_kind:     by_value
      - .offset:         88
        .size:           8
        .value_kind:     by_value
      - .offset:         96
        .size:           4
        .value_kind:     by_value
      - .offset:         100
        .size:           1
        .value_kind:     by_value
      - .offset:         104
        .size:           4
        .value_kind:     hidden_block_count_x
      - .offset:         108
        .size:           4
        .value_kind:     hidden_block_count_y
      - .offset:         112
        .size:           4
        .value_kind:     hidden_block_count_z
      - .offset:         116
        .size:           2
        .value_kind:     hidden_group_size_x
      - .offset:         118
        .size:           2
        .value_kind:     hidden_group_size_y
      - .offset:         120
        .size:           2
        .value_kind:     hidden_group_size_z
      - .offset:         122
        .size:           2
        .value_kind:     hidden_remainder_x
      - .offset:         124
        .size:           2
        .value_kind:     hidden_remainder_y
      - .offset:         126
        .size:           2
        .value_kind:     hidden_remainder_z
      - .offset:         144
        .size:           8
        .value_kind:     hidden_global_offset_x
      - .offset:         152
        .size:           8
        .value_kind:     hidden_global_offset_y
      - .offset:         160
        .size:           8
        .value_kind:     hidden_global_offset_z
      - .offset:         168
        .size:           2
        .value_kind:     hidden_grid_dims
      - .offset:         224
        .size:           4
        .value_kind:     hidden_dynamic_lds_size
    .group_segment_fixed_size: 0
    .kernarg_segment_align: 8
    .kernarg_segment_size: 360
    .language:       OpenCL C
    .language_version:
      - 2
      - 0
    .max_flat_workgroup_size: 1024
    .name:           _ZL39rocblas_trsm_block_forward_substitutionI19rocblas_complex_numIfES1_PKS1_PS1_Lb0ELb0ELb1EEv18rocblas_operation_llT0_T1_lllT2_lllib
    .private_segment_fixed_size: 0
    .sgpr_count:     36
    .sgpr_spill_count: 0
    .symbol:         _ZL39rocblas_trsm_block_forward_substitutionI19rocblas_complex_numIfES1_PKS1_PS1_Lb0ELb0ELb1EEv18rocblas_operation_llT0_T1_lllT2_lllib.kd
    .uniform_work_group_size: 1
    .uses_dynamic_stack: false
    .vgpr_count:     14
    .vgpr_spill_count: 0
    .wavefront_size: 64
  - .args:
      - .offset:         0
        .size:           4
        .value_kind:     by_value
      - .offset:         8
        .size:           8
        .value_kind:     by_value
      - .offset:         16
        .size:           8
        .value_kind:     by_value
      - .offset:         24
        .size:           8
        .value_kind:     by_value
      - .address_space:  global
        .offset:         32
        .size:           8
        .value_kind:     global_buffer
      - .offset:         40
        .size:           8
        .value_kind:     by_value
      - .offset:         48
        .size:           8
        .value_kind:     by_value
      - .offset:         56
        .size:           8
        .value_kind:     by_value
      - .address_space:  global
        .offset:         64
        .size:           8
        .value_kind:     global_buffer
      - .offset:         72
        .size:           8
        .value_kind:     by_value
      - .offset:         80
        .size:           8
        .value_kind:     by_value
      - .offset:         88
        .size:           8
        .value_kind:     by_value
      - .offset:         96
        .size:           4
        .value_kind:     by_value
      - .offset:         100
        .size:           1
        .value_kind:     by_value
      - .offset:         104
        .size:           4
        .value_kind:     hidden_block_count_x
      - .offset:         108
        .size:           4
        .value_kind:     hidden_block_count_y
      - .offset:         112
        .size:           4
        .value_kind:     hidden_block_count_z
      - .offset:         116
        .size:           2
        .value_kind:     hidden_group_size_x
      - .offset:         118
        .size:           2
        .value_kind:     hidden_group_size_y
      - .offset:         120
        .size:           2
        .value_kind:     hidden_group_size_z
      - .offset:         122
        .size:           2
        .value_kind:     hidden_remainder_x
      - .offset:         124
        .size:           2
        .value_kind:     hidden_remainder_y
      - .offset:         126
        .size:           2
        .value_kind:     hidden_remainder_z
      - .offset:         144
        .size:           8
        .value_kind:     hidden_global_offset_x
      - .offset:         152
        .size:           8
        .value_kind:     hidden_global_offset_y
      - .offset:         160
        .size:           8
        .value_kind:     hidden_global_offset_z
      - .offset:         168
        .size:           2
        .value_kind:     hidden_grid_dims
      - .offset:         224
        .size:           4
        .value_kind:     hidden_dynamic_lds_size
    .group_segment_fixed_size: 0
    .kernarg_segment_align: 8
    .kernarg_segment_size: 360
    .language:       OpenCL C
    .language_version:
      - 2
      - 0
    .max_flat_workgroup_size: 1024
    .name:           _ZL40rocblas_trsm_block_backward_substitutionI19rocblas_complex_numIfES1_PKS1_PS1_Lb0ELb0ELb1EEv18rocblas_operation_llT0_T1_lllT2_lllib
    .private_segment_fixed_size: 0
    .sgpr_count:     40
    .sgpr_spill_count: 0
    .symbol:         _ZL40rocblas_trsm_block_backward_substitutionI19rocblas_complex_numIfES1_PKS1_PS1_Lb0ELb0ELb1EEv18rocblas_operation_llT0_T1_lllT2_lllib.kd
    .uniform_work_group_size: 1
    .uses_dynamic_stack: false
    .vgpr_count:     14
    .vgpr_spill_count: 0
    .wavefront_size: 64
  - .args:
      - .offset:         0
        .size:           4
        .value_kind:     by_value
      - .offset:         8
        .size:           8
        .value_kind:     by_value
      - .offset:         16
        .size:           8
        .value_kind:     by_value
      - .offset:         24
        .size:           8
        .value_kind:     by_value
      - .address_space:  global
        .offset:         32
        .size:           8
        .value_kind:     global_buffer
      - .offset:         40
        .size:           8
        .value_kind:     by_value
      - .offset:         48
        .size:           8
        .value_kind:     by_value
      - .offset:         56
        .size:           8
        .value_kind:     by_value
      - .address_space:  global
        .offset:         64
        .size:           8
        .value_kind:     global_buffer
      - .offset:         72
        .size:           8
        .value_kind:     by_value
      - .offset:         80
        .size:           8
        .value_kind:     by_value
      - .offset:         88
        .size:           8
        .value_kind:     by_value
      - .offset:         96
        .size:           4
        .value_kind:     by_value
      - .offset:         100
        .size:           1
        .value_kind:     by_value
      - .offset:         104
        .size:           4
        .value_kind:     hidden_block_count_x
      - .offset:         108
        .size:           4
        .value_kind:     hidden_block_count_y
      - .offset:         112
        .size:           4
        .value_kind:     hidden_block_count_z
      - .offset:         116
        .size:           2
        .value_kind:     hidden_group_size_x
      - .offset:         118
        .size:           2
        .value_kind:     hidden_group_size_y
      - .offset:         120
        .size:           2
        .value_kind:     hidden_group_size_z
      - .offset:         122
        .size:           2
        .value_kind:     hidden_remainder_x
      - .offset:         124
        .size:           2
        .value_kind:     hidden_remainder_y
      - .offset:         126
        .size:           2
        .value_kind:     hidden_remainder_z
      - .offset:         144
        .size:           8
        .value_kind:     hidden_global_offset_x
      - .offset:         152
        .size:           8
        .value_kind:     hidden_global_offset_y
      - .offset:         160
        .size:           8
        .value_kind:     hidden_global_offset_z
      - .offset:         168
        .size:           2
        .value_kind:     hidden_grid_dims
      - .offset:         224
        .size:           4
        .value_kind:     hidden_dynamic_lds_size
    .group_segment_fixed_size: 0
    .kernarg_segment_align: 8
    .kernarg_segment_size: 360
    .language:       OpenCL C
    .language_version:
      - 2
      - 0
    .max_flat_workgroup_size: 1024
    .name:           _ZL39rocblas_trsm_block_forward_substitutionI19rocblas_complex_numIfES1_PKS1_PS1_Lb0ELb1ELb0EEv18rocblas_operation_llT0_T1_lllT2_lllib
    .private_segment_fixed_size: 0
    .sgpr_count:     44
    .sgpr_spill_count: 0
    .symbol:         _ZL39rocblas_trsm_block_forward_substitutionI19rocblas_complex_numIfES1_PKS1_PS1_Lb0ELb1ELb0EEv18rocblas_operation_llT0_T1_lllT2_lllib.kd
    .uniform_work_group_size: 1
    .uses_dynamic_stack: false
    .vgpr_count:     18
    .vgpr_spill_count: 0
    .wavefront_size: 64
  - .args:
      - .offset:         0
        .size:           4
        .value_kind:     by_value
      - .offset:         8
        .size:           8
        .value_kind:     by_value
      - .offset:         16
        .size:           8
        .value_kind:     by_value
      - .offset:         24
        .size:           8
        .value_kind:     by_value
      - .address_space:  global
        .offset:         32
        .size:           8
        .value_kind:     global_buffer
      - .offset:         40
        .size:           8
        .value_kind:     by_value
      - .offset:         48
        .size:           8
        .value_kind:     by_value
      - .offset:         56
        .size:           8
        .value_kind:     by_value
      - .address_space:  global
        .offset:         64
        .size:           8
        .value_kind:     global_buffer
      - .offset:         72
        .size:           8
        .value_kind:     by_value
      - .offset:         80
        .size:           8
        .value_kind:     by_value
      - .offset:         88
        .size:           8
        .value_kind:     by_value
      - .offset:         96
        .size:           4
        .value_kind:     by_value
      - .offset:         100
        .size:           1
        .value_kind:     by_value
      - .offset:         104
        .size:           4
        .value_kind:     hidden_block_count_x
      - .offset:         108
        .size:           4
        .value_kind:     hidden_block_count_y
      - .offset:         112
        .size:           4
        .value_kind:     hidden_block_count_z
      - .offset:         116
        .size:           2
        .value_kind:     hidden_group_size_x
      - .offset:         118
        .size:           2
        .value_kind:     hidden_group_size_y
      - .offset:         120
        .size:           2
        .value_kind:     hidden_group_size_z
      - .offset:         122
        .size:           2
        .value_kind:     hidden_remainder_x
      - .offset:         124
        .size:           2
        .value_kind:     hidden_remainder_y
      - .offset:         126
        .size:           2
        .value_kind:     hidden_remainder_z
      - .offset:         144
        .size:           8
        .value_kind:     hidden_global_offset_x
      - .offset:         152
        .size:           8
        .value_kind:     hidden_global_offset_y
      - .offset:         160
        .size:           8
        .value_kind:     hidden_global_offset_z
      - .offset:         168
        .size:           2
        .value_kind:     hidden_grid_dims
      - .offset:         224
        .size:           4
        .value_kind:     hidden_dynamic_lds_size
    .group_segment_fixed_size: 0
    .kernarg_segment_align: 8
    .kernarg_segment_size: 360
    .language:       OpenCL C
    .language_version:
      - 2
      - 0
    .max_flat_workgroup_size: 1024
    .name:           _ZL40rocblas_trsm_block_backward_substitutionI19rocblas_complex_numIfES1_PKS1_PS1_Lb0ELb1ELb0EEv18rocblas_operation_llT0_T1_lllT2_lllib
    .private_segment_fixed_size: 0
    .sgpr_count:     48
    .sgpr_spill_count: 0
    .symbol:         _ZL40rocblas_trsm_block_backward_substitutionI19rocblas_complex_numIfES1_PKS1_PS1_Lb0ELb1ELb0EEv18rocblas_operation_llT0_T1_lllT2_lllib.kd
    .uniform_work_group_size: 1
    .uses_dynamic_stack: false
    .vgpr_count:     18
    .vgpr_spill_count: 0
    .wavefront_size: 64
  - .args:
      - .offset:         0
        .size:           4
        .value_kind:     by_value
      - .offset:         8
        .size:           8
        .value_kind:     by_value
      - .offset:         16
        .size:           8
        .value_kind:     by_value
      - .offset:         24
        .size:           8
        .value_kind:     by_value
      - .address_space:  global
        .offset:         32
        .size:           8
        .value_kind:     global_buffer
      - .offset:         40
        .size:           8
        .value_kind:     by_value
      - .offset:         48
        .size:           8
        .value_kind:     by_value
      - .offset:         56
        .size:           8
        .value_kind:     by_value
      - .address_space:  global
        .offset:         64
        .size:           8
        .value_kind:     global_buffer
      - .offset:         72
        .size:           8
        .value_kind:     by_value
      - .offset:         80
        .size:           8
        .value_kind:     by_value
      - .offset:         88
        .size:           8
        .value_kind:     by_value
      - .offset:         96
        .size:           4
        .value_kind:     by_value
      - .offset:         100
        .size:           1
        .value_kind:     by_value
      - .offset:         104
        .size:           4
        .value_kind:     hidden_block_count_x
      - .offset:         108
        .size:           4
        .value_kind:     hidden_block_count_y
      - .offset:         112
        .size:           4
        .value_kind:     hidden_block_count_z
      - .offset:         116
        .size:           2
        .value_kind:     hidden_group_size_x
      - .offset:         118
        .size:           2
        .value_kind:     hidden_group_size_y
      - .offset:         120
        .size:           2
        .value_kind:     hidden_group_size_z
      - .offset:         122
        .size:           2
        .value_kind:     hidden_remainder_x
      - .offset:         124
        .size:           2
        .value_kind:     hidden_remainder_y
      - .offset:         126
        .size:           2
        .value_kind:     hidden_remainder_z
      - .offset:         144
        .size:           8
        .value_kind:     hidden_global_offset_x
      - .offset:         152
        .size:           8
        .value_kind:     hidden_global_offset_y
      - .offset:         160
        .size:           8
        .value_kind:     hidden_global_offset_z
      - .offset:         168
        .size:           2
        .value_kind:     hidden_grid_dims
      - .offset:         224
        .size:           4
        .value_kind:     hidden_dynamic_lds_size
    .group_segment_fixed_size: 0
    .kernarg_segment_align: 8
    .kernarg_segment_size: 360
    .language:       OpenCL C
    .language_version:
      - 2
      - 0
    .max_flat_workgroup_size: 1024
    .name:           _ZL39rocblas_trsm_block_forward_substitutionI19rocblas_complex_numIfES1_PKS1_PS1_Lb0ELb1ELb1EEv18rocblas_operation_llT0_T1_lllT2_lllib
    .private_segment_fixed_size: 0
    .sgpr_count:     36
    .sgpr_spill_count: 0
    .symbol:         _ZL39rocblas_trsm_block_forward_substitutionI19rocblas_complex_numIfES1_PKS1_PS1_Lb0ELb1ELb1EEv18rocblas_operation_llT0_T1_lllT2_lllib.kd
    .uniform_work_group_size: 1
    .uses_dynamic_stack: false
    .vgpr_count:     14
    .vgpr_spill_count: 0
    .wavefront_size: 64
  - .args:
      - .offset:         0
        .size:           4
        .value_kind:     by_value
      - .offset:         8
        .size:           8
        .value_kind:     by_value
      - .offset:         16
        .size:           8
        .value_kind:     by_value
      - .offset:         24
        .size:           8
        .value_kind:     by_value
      - .address_space:  global
        .offset:         32
        .size:           8
        .value_kind:     global_buffer
      - .offset:         40
        .size:           8
        .value_kind:     by_value
      - .offset:         48
        .size:           8
        .value_kind:     by_value
      - .offset:         56
        .size:           8
        .value_kind:     by_value
      - .address_space:  global
        .offset:         64
        .size:           8
        .value_kind:     global_buffer
      - .offset:         72
        .size:           8
        .value_kind:     by_value
      - .offset:         80
        .size:           8
        .value_kind:     by_value
      - .offset:         88
        .size:           8
        .value_kind:     by_value
      - .offset:         96
        .size:           4
        .value_kind:     by_value
      - .offset:         100
        .size:           1
        .value_kind:     by_value
      - .offset:         104
        .size:           4
        .value_kind:     hidden_block_count_x
      - .offset:         108
        .size:           4
        .value_kind:     hidden_block_count_y
      - .offset:         112
        .size:           4
        .value_kind:     hidden_block_count_z
      - .offset:         116
        .size:           2
        .value_kind:     hidden_group_size_x
      - .offset:         118
        .size:           2
        .value_kind:     hidden_group_size_y
      - .offset:         120
        .size:           2
        .value_kind:     hidden_group_size_z
      - .offset:         122
        .size:           2
        .value_kind:     hidden_remainder_x
      - .offset:         124
        .size:           2
        .value_kind:     hidden_remainder_y
      - .offset:         126
        .size:           2
        .value_kind:     hidden_remainder_z
      - .offset:         144
        .size:           8
        .value_kind:     hidden_global_offset_x
      - .offset:         152
        .size:           8
        .value_kind:     hidden_global_offset_y
      - .offset:         160
        .size:           8
        .value_kind:     hidden_global_offset_z
      - .offset:         168
        .size:           2
        .value_kind:     hidden_grid_dims
      - .offset:         224
        .size:           4
        .value_kind:     hidden_dynamic_lds_size
    .group_segment_fixed_size: 0
    .kernarg_segment_align: 8
    .kernarg_segment_size: 360
    .language:       OpenCL C
    .language_version:
      - 2
      - 0
    .max_flat_workgroup_size: 1024
    .name:           _ZL40rocblas_trsm_block_backward_substitutionI19rocblas_complex_numIfES1_PKS1_PS1_Lb0ELb1ELb1EEv18rocblas_operation_llT0_T1_lllT2_lllib
    .private_segment_fixed_size: 0
    .sgpr_count:     40
    .sgpr_spill_count: 0
    .symbol:         _ZL40rocblas_trsm_block_backward_substitutionI19rocblas_complex_numIfES1_PKS1_PS1_Lb0ELb1ELb1EEv18rocblas_operation_llT0_T1_lllT2_lllib.kd
    .uniform_work_group_size: 1
    .uses_dynamic_stack: false
    .vgpr_count:     14
    .vgpr_spill_count: 0
    .wavefront_size: 64
  - .args:
      - .offset:         0
        .size:           4
        .value_kind:     by_value
      - .offset:         8
        .size:           8
        .value_kind:     by_value
      - .offset:         16
        .size:           8
        .value_kind:     by_value
      - .offset:         24
        .size:           8
        .value_kind:     by_value
      - .address_space:  global
        .offset:         32
        .size:           8
        .value_kind:     global_buffer
      - .offset:         40
        .size:           8
        .value_kind:     by_value
      - .offset:         48
        .size:           8
        .value_kind:     by_value
      - .offset:         56
        .size:           8
        .value_kind:     by_value
      - .address_space:  global
        .offset:         64
        .size:           8
        .value_kind:     global_buffer
      - .offset:         72
        .size:           8
        .value_kind:     by_value
      - .offset:         80
        .size:           8
        .value_kind:     by_value
      - .offset:         88
        .size:           8
        .value_kind:     by_value
      - .offset:         96
        .size:           4
        .value_kind:     by_value
      - .offset:         100
        .size:           1
        .value_kind:     by_value
      - .offset:         104
        .size:           4
        .value_kind:     hidden_block_count_x
      - .offset:         108
        .size:           4
        .value_kind:     hidden_block_count_y
      - .offset:         112
        .size:           4
        .value_kind:     hidden_block_count_z
      - .offset:         116
        .size:           2
        .value_kind:     hidden_group_size_x
      - .offset:         118
        .size:           2
        .value_kind:     hidden_group_size_y
      - .offset:         120
        .size:           2
        .value_kind:     hidden_group_size_z
      - .offset:         122
        .size:           2
        .value_kind:     hidden_remainder_x
      - .offset:         124
        .size:           2
        .value_kind:     hidden_remainder_y
      - .offset:         126
        .size:           2
        .value_kind:     hidden_remainder_z
      - .offset:         144
        .size:           8
        .value_kind:     hidden_global_offset_x
      - .offset:         152
        .size:           8
        .value_kind:     hidden_global_offset_y
      - .offset:         160
        .size:           8
        .value_kind:     hidden_global_offset_z
      - .offset:         168
        .size:           2
        .value_kind:     hidden_grid_dims
      - .offset:         224
        .size:           4
        .value_kind:     hidden_dynamic_lds_size
    .group_segment_fixed_size: 0
    .kernarg_segment_align: 8
    .kernarg_segment_size: 360
    .language:       OpenCL C
    .language_version:
      - 2
      - 0
    .max_flat_workgroup_size: 1024
    .name:           _ZL39rocblas_trsm_block_forward_substitutionI19rocblas_complex_numIfES1_PKS1_PS1_Lb1ELb1ELb0EEv18rocblas_operation_llT0_T1_lllT2_lllib
    .private_segment_fixed_size: 0
    .sgpr_count:     44
    .sgpr_spill_count: 0
    .symbol:         _ZL39rocblas_trsm_block_forward_substitutionI19rocblas_complex_numIfES1_PKS1_PS1_Lb1ELb1ELb0EEv18rocblas_operation_llT0_T1_lllT2_lllib.kd
    .uniform_work_group_size: 1
    .uses_dynamic_stack: false
    .vgpr_count:     18
    .vgpr_spill_count: 0
    .wavefront_size: 64
  - .args:
      - .offset:         0
        .size:           4
        .value_kind:     by_value
      - .offset:         8
        .size:           8
        .value_kind:     by_value
      - .offset:         16
        .size:           8
        .value_kind:     by_value
      - .offset:         24
        .size:           8
        .value_kind:     by_value
      - .address_space:  global
        .offset:         32
        .size:           8
        .value_kind:     global_buffer
      - .offset:         40
        .size:           8
        .value_kind:     by_value
      - .offset:         48
        .size:           8
        .value_kind:     by_value
      - .offset:         56
        .size:           8
        .value_kind:     by_value
      - .address_space:  global
        .offset:         64
        .size:           8
        .value_kind:     global_buffer
      - .offset:         72
        .size:           8
        .value_kind:     by_value
      - .offset:         80
        .size:           8
        .value_kind:     by_value
      - .offset:         88
        .size:           8
        .value_kind:     by_value
      - .offset:         96
        .size:           4
        .value_kind:     by_value
      - .offset:         100
        .size:           1
        .value_kind:     by_value
      - .offset:         104
        .size:           4
        .value_kind:     hidden_block_count_x
      - .offset:         108
        .size:           4
        .value_kind:     hidden_block_count_y
      - .offset:         112
        .size:           4
        .value_kind:     hidden_block_count_z
      - .offset:         116
        .size:           2
        .value_kind:     hidden_group_size_x
      - .offset:         118
        .size:           2
        .value_kind:     hidden_group_size_y
      - .offset:         120
        .size:           2
        .value_kind:     hidden_group_size_z
      - .offset:         122
        .size:           2
        .value_kind:     hidden_remainder_x
      - .offset:         124
        .size:           2
        .value_kind:     hidden_remainder_y
      - .offset:         126
        .size:           2
        .value_kind:     hidden_remainder_z
      - .offset:         144
        .size:           8
        .value_kind:     hidden_global_offset_x
      - .offset:         152
        .size:           8
        .value_kind:     hidden_global_offset_y
      - .offset:         160
        .size:           8
        .value_kind:     hidden_global_offset_z
      - .offset:         168
        .size:           2
        .value_kind:     hidden_grid_dims
      - .offset:         224
        .size:           4
        .value_kind:     hidden_dynamic_lds_size
    .group_segment_fixed_size: 0
    .kernarg_segment_align: 8
    .kernarg_segment_size: 360
    .language:       OpenCL C
    .language_version:
      - 2
      - 0
    .max_flat_workgroup_size: 1024
    .name:           _ZL40rocblas_trsm_block_backward_substitutionI19rocblas_complex_numIfES1_PKS1_PS1_Lb1ELb1ELb0EEv18rocblas_operation_llT0_T1_lllT2_lllib
    .private_segment_fixed_size: 0
    .sgpr_count:     48
    .sgpr_spill_count: 0
    .symbol:         _ZL40rocblas_trsm_block_backward_substitutionI19rocblas_complex_numIfES1_PKS1_PS1_Lb1ELb1ELb0EEv18rocblas_operation_llT0_T1_lllT2_lllib.kd
    .uniform_work_group_size: 1
    .uses_dynamic_stack: false
    .vgpr_count:     18
    .vgpr_spill_count: 0
    .wavefront_size: 64
  - .args:
      - .offset:         0
        .size:           4
        .value_kind:     by_value
      - .offset:         8
        .size:           8
        .value_kind:     by_value
      - .offset:         16
        .size:           8
        .value_kind:     by_value
      - .offset:         24
        .size:           8
        .value_kind:     by_value
      - .address_space:  global
        .offset:         32
        .size:           8
        .value_kind:     global_buffer
      - .offset:         40
        .size:           8
        .value_kind:     by_value
      - .offset:         48
        .size:           8
        .value_kind:     by_value
      - .offset:         56
        .size:           8
        .value_kind:     by_value
      - .address_space:  global
        .offset:         64
        .size:           8
        .value_kind:     global_buffer
      - .offset:         72
        .size:           8
        .value_kind:     by_value
      - .offset:         80
        .size:           8
        .value_kind:     by_value
      - .offset:         88
        .size:           8
        .value_kind:     by_value
      - .offset:         96
        .size:           4
        .value_kind:     by_value
      - .offset:         100
        .size:           1
        .value_kind:     by_value
      - .offset:         104
        .size:           4
        .value_kind:     hidden_block_count_x
      - .offset:         108
        .size:           4
        .value_kind:     hidden_block_count_y
      - .offset:         112
        .size:           4
        .value_kind:     hidden_block_count_z
      - .offset:         116
        .size:           2
        .value_kind:     hidden_group_size_x
      - .offset:         118
        .size:           2
        .value_kind:     hidden_group_size_y
      - .offset:         120
        .size:           2
        .value_kind:     hidden_group_size_z
      - .offset:         122
        .size:           2
        .value_kind:     hidden_remainder_x
      - .offset:         124
        .size:           2
        .value_kind:     hidden_remainder_y
      - .offset:         126
        .size:           2
        .value_kind:     hidden_remainder_z
      - .offset:         144
        .size:           8
        .value_kind:     hidden_global_offset_x
      - .offset:         152
        .size:           8
        .value_kind:     hidden_global_offset_y
      - .offset:         160
        .size:           8
        .value_kind:     hidden_global_offset_z
      - .offset:         168
        .size:           2
        .value_kind:     hidden_grid_dims
      - .offset:         224
        .size:           4
        .value_kind:     hidden_dynamic_lds_size
    .group_segment_fixed_size: 0
    .kernarg_segment_align: 8
    .kernarg_segment_size: 360
    .language:       OpenCL C
    .language_version:
      - 2
      - 0
    .max_flat_workgroup_size: 1024
    .name:           _ZL39rocblas_trsm_block_forward_substitutionI19rocblas_complex_numIfES1_PKS1_PS1_Lb1ELb1ELb1EEv18rocblas_operation_llT0_T1_lllT2_lllib
    .private_segment_fixed_size: 0
    .sgpr_count:     40
    .sgpr_spill_count: 0
    .symbol:         _ZL39rocblas_trsm_block_forward_substitutionI19rocblas_complex_numIfES1_PKS1_PS1_Lb1ELb1ELb1EEv18rocblas_operation_llT0_T1_lllT2_lllib.kd
    .uniform_work_group_size: 1
    .uses_dynamic_stack: false
    .vgpr_count:     14
    .vgpr_spill_count: 0
    .wavefront_size: 64
  - .args:
      - .offset:         0
        .size:           4
        .value_kind:     by_value
      - .offset:         8
        .size:           8
        .value_kind:     by_value
      - .offset:         16
        .size:           8
        .value_kind:     by_value
      - .offset:         24
        .size:           8
        .value_kind:     by_value
      - .address_space:  global
        .offset:         32
        .size:           8
        .value_kind:     global_buffer
      - .offset:         40
        .size:           8
        .value_kind:     by_value
      - .offset:         48
        .size:           8
        .value_kind:     by_value
      - .offset:         56
        .size:           8
        .value_kind:     by_value
      - .address_space:  global
        .offset:         64
        .size:           8
        .value_kind:     global_buffer
      - .offset:         72
        .size:           8
        .value_kind:     by_value
      - .offset:         80
        .size:           8
        .value_kind:     by_value
      - .offset:         88
        .size:           8
        .value_kind:     by_value
      - .offset:         96
        .size:           4
        .value_kind:     by_value
      - .offset:         100
        .size:           1
        .value_kind:     by_value
      - .offset:         104
        .size:           4
        .value_kind:     hidden_block_count_x
      - .offset:         108
        .size:           4
        .value_kind:     hidden_block_count_y
      - .offset:         112
        .size:           4
        .value_kind:     hidden_block_count_z
      - .offset:         116
        .size:           2
        .value_kind:     hidden_group_size_x
      - .offset:         118
        .size:           2
        .value_kind:     hidden_group_size_y
      - .offset:         120
        .size:           2
        .value_kind:     hidden_group_size_z
      - .offset:         122
        .size:           2
        .value_kind:     hidden_remainder_x
      - .offset:         124
        .size:           2
        .value_kind:     hidden_remainder_y
      - .offset:         126
        .size:           2
        .value_kind:     hidden_remainder_z
      - .offset:         144
        .size:           8
        .value_kind:     hidden_global_offset_x
      - .offset:         152
        .size:           8
        .value_kind:     hidden_global_offset_y
      - .offset:         160
        .size:           8
        .value_kind:     hidden_global_offset_z
      - .offset:         168
        .size:           2
        .value_kind:     hidden_grid_dims
      - .offset:         224
        .size:           4
        .value_kind:     hidden_dynamic_lds_size
    .group_segment_fixed_size: 0
    .kernarg_segment_align: 8
    .kernarg_segment_size: 360
    .language:       OpenCL C
    .language_version:
      - 2
      - 0
    .max_flat_workgroup_size: 1024
    .name:           _ZL40rocblas_trsm_block_backward_substitutionI19rocblas_complex_numIfES1_PKS1_PS1_Lb1ELb1ELb1EEv18rocblas_operation_llT0_T1_lllT2_lllib
    .private_segment_fixed_size: 0
    .sgpr_count:     36
    .sgpr_spill_count: 0
    .symbol:         _ZL40rocblas_trsm_block_backward_substitutionI19rocblas_complex_numIfES1_PKS1_PS1_Lb1ELb1ELb1EEv18rocblas_operation_llT0_T1_lllT2_lllib.kd
    .uniform_work_group_size: 1
    .uses_dynamic_stack: false
    .vgpr_count:     14
    .vgpr_spill_count: 0
    .wavefront_size: 64
  - .args:
      - .offset:         0
        .size:           4
        .value_kind:     by_value
      - .offset:         8
        .size:           8
        .value_kind:     by_value
      - .offset:         16
        .size:           8
        .value_kind:     by_value
      - .offset:         24
        .size:           8
        .value_kind:     by_value
      - .address_space:  global
        .offset:         32
        .size:           8
        .value_kind:     global_buffer
      - .offset:         40
        .size:           8
        .value_kind:     by_value
      - .offset:         48
        .size:           8
        .value_kind:     by_value
      - .offset:         56
        .size:           8
        .value_kind:     by_value
      - .address_space:  global
        .offset:         64
        .size:           8
        .value_kind:     global_buffer
      - .offset:         72
        .size:           8
        .value_kind:     by_value
      - .offset:         80
        .size:           8
        .value_kind:     by_value
      - .offset:         88
        .size:           8
        .value_kind:     by_value
      - .offset:         96
        .size:           4
        .value_kind:     by_value
      - .offset:         100
        .size:           1
        .value_kind:     by_value
      - .offset:         104
        .size:           4
        .value_kind:     hidden_block_count_x
      - .offset:         108
        .size:           4
        .value_kind:     hidden_block_count_y
      - .offset:         112
        .size:           4
        .value_kind:     hidden_block_count_z
      - .offset:         116
        .size:           2
        .value_kind:     hidden_group_size_x
      - .offset:         118
        .size:           2
        .value_kind:     hidden_group_size_y
      - .offset:         120
        .size:           2
        .value_kind:     hidden_group_size_z
      - .offset:         122
        .size:           2
        .value_kind:     hidden_remainder_x
      - .offset:         124
        .size:           2
        .value_kind:     hidden_remainder_y
      - .offset:         126
        .size:           2
        .value_kind:     hidden_remainder_z
      - .offset:         144
        .size:           8
        .value_kind:     hidden_global_offset_x
      - .offset:         152
        .size:           8
        .value_kind:     hidden_global_offset_y
      - .offset:         160
        .size:           8
        .value_kind:     hidden_global_offset_z
      - .offset:         168
        .size:           2
        .value_kind:     hidden_grid_dims
      - .offset:         224
        .size:           4
        .value_kind:     hidden_dynamic_lds_size
    .group_segment_fixed_size: 0
    .kernarg_segment_align: 8
    .kernarg_segment_size: 360
    .language:       OpenCL C
    .language_version:
      - 2
      - 0
    .max_flat_workgroup_size: 1024
    .name:           _ZL39rocblas_trsm_block_forward_substitutionI19rocblas_complex_numIfES1_PKS1_PS1_Lb1ELb0ELb0EEv18rocblas_operation_llT0_T1_lllT2_lllib
    .private_segment_fixed_size: 0
    .sgpr_count:     44
    .sgpr_spill_count: 0
    .symbol:         _ZL39rocblas_trsm_block_forward_substitutionI19rocblas_complex_numIfES1_PKS1_PS1_Lb1ELb0ELb0EEv18rocblas_operation_llT0_T1_lllT2_lllib.kd
    .uniform_work_group_size: 1
    .uses_dynamic_stack: false
    .vgpr_count:     18
    .vgpr_spill_count: 0
    .wavefront_size: 64
  - .args:
      - .offset:         0
        .size:           4
        .value_kind:     by_value
      - .offset:         8
        .size:           8
        .value_kind:     by_value
      - .offset:         16
        .size:           8
        .value_kind:     by_value
      - .offset:         24
        .size:           8
        .value_kind:     by_value
      - .address_space:  global
        .offset:         32
        .size:           8
        .value_kind:     global_buffer
      - .offset:         40
        .size:           8
        .value_kind:     by_value
      - .offset:         48
        .size:           8
        .value_kind:     by_value
      - .offset:         56
        .size:           8
        .value_kind:     by_value
      - .address_space:  global
        .offset:         64
        .size:           8
        .value_kind:     global_buffer
      - .offset:         72
        .size:           8
        .value_kind:     by_value
      - .offset:         80
        .size:           8
        .value_kind:     by_value
      - .offset:         88
        .size:           8
        .value_kind:     by_value
      - .offset:         96
        .size:           4
        .value_kind:     by_value
      - .offset:         100
        .size:           1
        .value_kind:     by_value
      - .offset:         104
        .size:           4
        .value_kind:     hidden_block_count_x
      - .offset:         108
        .size:           4
        .value_kind:     hidden_block_count_y
      - .offset:         112
        .size:           4
        .value_kind:     hidden_block_count_z
      - .offset:         116
        .size:           2
        .value_kind:     hidden_group_size_x
      - .offset:         118
        .size:           2
        .value_kind:     hidden_group_size_y
      - .offset:         120
        .size:           2
        .value_kind:     hidden_group_size_z
      - .offset:         122
        .size:           2
        .value_kind:     hidden_remainder_x
      - .offset:         124
        .size:           2
        .value_kind:     hidden_remainder_y
      - .offset:         126
        .size:           2
        .value_kind:     hidden_remainder_z
      - .offset:         144
        .size:           8
        .value_kind:     hidden_global_offset_x
      - .offset:         152
        .size:           8
        .value_kind:     hidden_global_offset_y
      - .offset:         160
        .size:           8
        .value_kind:     hidden_global_offset_z
      - .offset:         168
        .size:           2
        .value_kind:     hidden_grid_dims
      - .offset:         224
        .size:           4
        .value_kind:     hidden_dynamic_lds_size
    .group_segment_fixed_size: 0
    .kernarg_segment_align: 8
    .kernarg_segment_size: 360
    .language:       OpenCL C
    .language_version:
      - 2
      - 0
    .max_flat_workgroup_size: 1024
    .name:           _ZL40rocblas_trsm_block_backward_substitutionI19rocblas_complex_numIfES1_PKS1_PS1_Lb1ELb0ELb0EEv18rocblas_operation_llT0_T1_lllT2_lllib
    .private_segment_fixed_size: 0
    .sgpr_count:     48
    .sgpr_spill_count: 0
    .symbol:         _ZL40rocblas_trsm_block_backward_substitutionI19rocblas_complex_numIfES1_PKS1_PS1_Lb1ELb0ELb0EEv18rocblas_operation_llT0_T1_lllT2_lllib.kd
    .uniform_work_group_size: 1
    .uses_dynamic_stack: false
    .vgpr_count:     18
    .vgpr_spill_count: 0
    .wavefront_size: 64
  - .args:
      - .offset:         0
        .size:           4
        .value_kind:     by_value
      - .offset:         8
        .size:           8
        .value_kind:     by_value
      - .offset:         16
        .size:           8
        .value_kind:     by_value
      - .offset:         24
        .size:           8
        .value_kind:     by_value
      - .address_space:  global
        .offset:         32
        .size:           8
        .value_kind:     global_buffer
      - .offset:         40
        .size:           8
        .value_kind:     by_value
      - .offset:         48
        .size:           8
        .value_kind:     by_value
      - .offset:         56
        .size:           8
        .value_kind:     by_value
      - .address_space:  global
        .offset:         64
        .size:           8
        .value_kind:     global_buffer
      - .offset:         72
        .size:           8
        .value_kind:     by_value
      - .offset:         80
        .size:           8
        .value_kind:     by_value
      - .offset:         88
        .size:           8
        .value_kind:     by_value
      - .offset:         96
        .size:           4
        .value_kind:     by_value
      - .offset:         100
        .size:           1
        .value_kind:     by_value
      - .offset:         104
        .size:           4
        .value_kind:     hidden_block_count_x
      - .offset:         108
        .size:           4
        .value_kind:     hidden_block_count_y
      - .offset:         112
        .size:           4
        .value_kind:     hidden_block_count_z
      - .offset:         116
        .size:           2
        .value_kind:     hidden_group_size_x
      - .offset:         118
        .size:           2
        .value_kind:     hidden_group_size_y
      - .offset:         120
        .size:           2
        .value_kind:     hidden_group_size_z
      - .offset:         122
        .size:           2
        .value_kind:     hidden_remainder_x
      - .offset:         124
        .size:           2
        .value_kind:     hidden_remainder_y
      - .offset:         126
        .size:           2
        .value_kind:     hidden_remainder_z
      - .offset:         144
        .size:           8
        .value_kind:     hidden_global_offset_x
      - .offset:         152
        .size:           8
        .value_kind:     hidden_global_offset_y
      - .offset:         160
        .size:           8
        .value_kind:     hidden_global_offset_z
      - .offset:         168
        .size:           2
        .value_kind:     hidden_grid_dims
      - .offset:         224
        .size:           4
        .value_kind:     hidden_dynamic_lds_size
    .group_segment_fixed_size: 0
    .kernarg_segment_align: 8
    .kernarg_segment_size: 360
    .language:       OpenCL C
    .language_version:
      - 2
      - 0
    .max_flat_workgroup_size: 1024
    .name:           _ZL39rocblas_trsm_block_forward_substitutionI19rocblas_complex_numIfES1_PKS1_PS1_Lb1ELb0ELb1EEv18rocblas_operation_llT0_T1_lllT2_lllib
    .private_segment_fixed_size: 0
    .sgpr_count:     40
    .sgpr_spill_count: 0
    .symbol:         _ZL39rocblas_trsm_block_forward_substitutionI19rocblas_complex_numIfES1_PKS1_PS1_Lb1ELb0ELb1EEv18rocblas_operation_llT0_T1_lllT2_lllib.kd
    .uniform_work_group_size: 1
    .uses_dynamic_stack: false
    .vgpr_count:     14
    .vgpr_spill_count: 0
    .wavefront_size: 64
  - .args:
      - .offset:         0
        .size:           4
        .value_kind:     by_value
      - .offset:         8
        .size:           8
        .value_kind:     by_value
      - .offset:         16
        .size:           8
        .value_kind:     by_value
      - .offset:         24
        .size:           8
        .value_kind:     by_value
      - .address_space:  global
        .offset:         32
        .size:           8
        .value_kind:     global_buffer
      - .offset:         40
        .size:           8
        .value_kind:     by_value
      - .offset:         48
        .size:           8
        .value_kind:     by_value
      - .offset:         56
        .size:           8
        .value_kind:     by_value
      - .address_space:  global
        .offset:         64
        .size:           8
        .value_kind:     global_buffer
      - .offset:         72
        .size:           8
        .value_kind:     by_value
      - .offset:         80
        .size:           8
        .value_kind:     by_value
      - .offset:         88
        .size:           8
        .value_kind:     by_value
      - .offset:         96
        .size:           4
        .value_kind:     by_value
      - .offset:         100
        .size:           1
        .value_kind:     by_value
      - .offset:         104
        .size:           4
        .value_kind:     hidden_block_count_x
      - .offset:         108
        .size:           4
        .value_kind:     hidden_block_count_y
      - .offset:         112
        .size:           4
        .value_kind:     hidden_block_count_z
      - .offset:         116
        .size:           2
        .value_kind:     hidden_group_size_x
      - .offset:         118
        .size:           2
        .value_kind:     hidden_group_size_y
      - .offset:         120
        .size:           2
        .value_kind:     hidden_group_size_z
      - .offset:         122
        .size:           2
        .value_kind:     hidden_remainder_x
      - .offset:         124
        .size:           2
        .value_kind:     hidden_remainder_y
      - .offset:         126
        .size:           2
        .value_kind:     hidden_remainder_z
      - .offset:         144
        .size:           8
        .value_kind:     hidden_global_offset_x
      - .offset:         152
        .size:           8
        .value_kind:     hidden_global_offset_y
      - .offset:         160
        .size:           8
        .value_kind:     hidden_global_offset_z
      - .offset:         168
        .size:           2
        .value_kind:     hidden_grid_dims
      - .offset:         224
        .size:           4
        .value_kind:     hidden_dynamic_lds_size
    .group_segment_fixed_size: 0
    .kernarg_segment_align: 8
    .kernarg_segment_size: 360
    .language:       OpenCL C
    .language_version:
      - 2
      - 0
    .max_flat_workgroup_size: 1024
    .name:           _ZL40rocblas_trsm_block_backward_substitutionI19rocblas_complex_numIfES1_PKS1_PS1_Lb1ELb0ELb1EEv18rocblas_operation_llT0_T1_lllT2_lllib
    .private_segment_fixed_size: 0
    .sgpr_count:     36
    .sgpr_spill_count: 0
    .symbol:         _ZL40rocblas_trsm_block_backward_substitutionI19rocblas_complex_numIfES1_PKS1_PS1_Lb1ELb0ELb1EEv18rocblas_operation_llT0_T1_lllT2_lllib.kd
    .uniform_work_group_size: 1
    .uses_dynamic_stack: false
    .vgpr_count:     14
    .vgpr_spill_count: 0
    .wavefront_size: 64
  - .args:
      - .address_space:  global
        .offset:         0
        .size:           8
        .value_kind:     global_buffer
      - .offset:         8
        .size:           8
        .value_kind:     by_value
      - .address_space:  global
        .offset:         16
        .size:           8
        .value_kind:     global_buffer
    .group_segment_fixed_size: 0
    .kernarg_segment_align: 8
    .kernarg_segment_size: 24
    .language:       OpenCL C
    .language_version:
      - 2
      - 0
    .max_flat_workgroup_size: 128
    .name:           _ZL26setup_batched_array_kernelILi128E19rocblas_complex_numIfEEvPT0_lPS3_
    .private_segment_fixed_size: 0
    .sgpr_count:     13
    .sgpr_spill_count: 0
    .symbol:         _ZL26setup_batched_array_kernelILi128E19rocblas_complex_numIfEEvPT0_lPS3_.kd
    .uniform_work_group_size: 1
    .uses_dynamic_stack: false
    .vgpr_count:     3
    .vgpr_spill_count: 0
    .wavefront_size: 64
  - .args:
      - .offset:         0
        .size:           4
        .value_kind:     by_value
      - .offset:         4
        .size:           4
        .value_kind:     by_value
      - .address_space:  global
        .offset:         8
        .size:           8
        .value_kind:     global_buffer
      - .offset:         16
        .size:           8
        .value_kind:     by_value
      - .offset:         24
        .size:           4
        .value_kind:     by_value
      - .offset:         32
        .size:           8
        .value_kind:     by_value
      - .address_space:  global
        .offset:         40
        .size:           8
        .value_kind:     global_buffer
      - .offset:         48
        .size:           8
        .value_kind:     by_value
      - .offset:         56
        .size:           8
        .value_kind:     by_value
      - .offset:         64
        .size:           4
        .value_kind:     by_value
    .group_segment_fixed_size: 8192
    .kernarg_segment_align: 8
    .kernarg_segment_size: 68
    .language:       OpenCL C
    .language_version:
      - 2
      - 0
    .max_flat_workgroup_size: 256
    .name:           _ZL25rocblas_trtri_trsm_kernelILi128ELi16ELi8E19rocblas_complex_numIfEPKS1_PS1_Ev13rocblas_fill_17rocblas_diagonal_T3_lilT4_lli
    .private_segment_fixed_size: 0
    .sgpr_count:     36
    .sgpr_spill_count: 0
    .symbol:         _ZL25rocblas_trtri_trsm_kernelILi128ELi16ELi8E19rocblas_complex_numIfEPKS1_PS1_Ev13rocblas_fill_17rocblas_diagonal_T3_lilT4_lli.kd
    .uniform_work_group_size: 1
    .uses_dynamic_stack: false
    .vgpr_count:     32
    .vgpr_spill_count: 0
    .wavefront_size: 64
  - .args:
      - .address_space:  global
        .offset:         0
        .size:           8
        .value_kind:     global_buffer
      - .offset:         8
        .size:           4
        .value_kind:     by_value
      - .offset:         12
        .size:           4
        .value_kind:     by_value
      - .offset:         16
        .size:           8
        .value_kind:     by_value
      - .offset:         24
        .size:           4
        .value_kind:     by_value
      - .offset:         32
        .size:           8
        .value_kind:     by_value
      - .address_space:  global
        .offset:         40
        .size:           8
        .value_kind:     global_buffer
      - .offset:         48
        .size:           8
        .value_kind:     by_value
      - .offset:         56
        .size:           8
        .value_kind:     by_value
      - .offset:         64
        .size:           4
        .value_kind:     by_value
      - .offset:         68
        .size:           4
        .value_kind:     by_value
      - .offset:         72
        .size:           4
        .value_kind:     hidden_block_count_x
      - .offset:         76
        .size:           4
        .value_kind:     hidden_block_count_y
      - .offset:         80
        .size:           4
        .value_kind:     hidden_block_count_z
      - .offset:         84
        .size:           2
        .value_kind:     hidden_group_size_x
      - .offset:         86
        .size:           2
        .value_kind:     hidden_group_size_y
      - .offset:         88
        .size:           2
        .value_kind:     hidden_group_size_z
      - .offset:         90
        .size:           2
        .value_kind:     hidden_remainder_x
      - .offset:         92
        .size:           2
        .value_kind:     hidden_remainder_y
      - .offset:         94
        .size:           2
        .value_kind:     hidden_remainder_z
      - .offset:         112
        .size:           8
        .value_kind:     hidden_global_offset_x
      - .offset:         120
        .size:           8
        .value_kind:     hidden_global_offset_y
      - .offset:         128
        .size:           8
        .value_kind:     hidden_global_offset_z
      - .offset:         136
        .size:           2
        .value_kind:     hidden_grid_dims
    .group_segment_fixed_size: 0
    .kernarg_segment_align: 8
    .kernarg_segment_size: 328
    .language:       OpenCL C
    .language_version:
      - 2
      - 0
    .max_flat_workgroup_size: 128
    .name:           _ZL18rocblas_trtri_fillILi128E19rocblas_complex_numIfEPS1_EvP15_rocblas_handle13rocblas_fill_ililT1_llii
    .private_segment_fixed_size: 0
    .sgpr_count:     43
    .sgpr_spill_count: 0
    .symbol:         _ZL18rocblas_trtri_fillILi128E19rocblas_complex_numIfEPS1_EvP15_rocblas_handle13rocblas_fill_ililT1_llii.kd
    .uniform_work_group_size: 1
    .uses_dynamic_stack: false
    .vgpr_count:     27
    .vgpr_spill_count: 0
    .wavefront_size: 64
  - .args:
      - .offset:         0
        .size:           4
        .value_kind:     by_value
      - .offset:         4
        .size:           4
        .value_kind:     by_value
      - .offset:         8
        .size:           4
        .value_kind:     by_value
      - .address_space:  global
        .offset:         16
        .size:           8
        .value_kind:     global_buffer
      - .offset:         24
        .size:           4
        .value_kind:     by_value
      - .offset:         32
        .size:           8
        .value_kind:     by_value
      - .address_space:  global
        .offset:         40
        .size:           8
        .value_kind:     global_buffer
      - .offset:         48
        .size:           4
        .value_kind:     by_value
      - .offset:         56
        .size:           8
        .value_kind:     by_value
      - .offset:         64
        .size:           8
        .value_kind:     by_value
      - .offset:         72
        .size:           8
        .value_kind:     by_value
      - .offset:         80
        .size:           4
        .value_kind:     by_value
      - .offset:         88
        .size:           4
        .value_kind:     hidden_block_count_x
      - .offset:         92
        .size:           4
        .value_kind:     hidden_block_count_y
      - .offset:         96
        .size:           4
        .value_kind:     hidden_block_count_z
      - .offset:         100
        .size:           2
        .value_kind:     hidden_group_size_x
      - .offset:         102
        .size:           2
        .value_kind:     hidden_group_size_y
      - .offset:         104
        .size:           2
        .value_kind:     hidden_group_size_z
      - .offset:         106
        .size:           2
        .value_kind:     hidden_remainder_x
      - .offset:         108
        .size:           2
        .value_kind:     hidden_remainder_y
      - .offset:         110
        .size:           2
        .value_kind:     hidden_remainder_z
      - .offset:         128
        .size:           8
        .value_kind:     hidden_global_offset_x
      - .offset:         136
        .size:           8
        .value_kind:     hidden_global_offset_y
      - .offset:         144
        .size:           8
        .value_kind:     hidden_global_offset_z
      - .offset:         152
        .size:           2
        .value_kind:     hidden_grid_dims
    .group_segment_fixed_size: 0
    .kernarg_segment_align: 8
    .kernarg_segment_size: 344
    .language:       OpenCL C
    .language_version:
      - 2
      - 0
    .max_flat_workgroup_size: 1024
    .name:           _ZL24rocblas_copy_matrix_trsmILi128ELi8E19rocblas_complex_numIfEPKS1_PS1_EviiiT2_ilT3_illli
    .private_segment_fixed_size: 0
    .sgpr_count:     27
    .sgpr_spill_count: 0
    .symbol:         _ZL24rocblas_copy_matrix_trsmILi128ELi8E19rocblas_complex_numIfEPKS1_PS1_EviiiT2_ilT3_illli.kd
    .uniform_work_group_size: 1
    .uses_dynamic_stack: false
    .vgpr_count:     10
    .vgpr_spill_count: 0
    .wavefront_size: 64
  - .args:
      - .offset:         0
        .size:           8
        .value_kind:     by_value
      - .offset:         8
        .size:           8
        .value_kind:     by_value
      - .offset:         16
        .size:           4
        .value_kind:     by_value
      - .address_space:  global
        .offset:         24
        .size:           8
        .value_kind:     global_buffer
      - .offset:         32
        .size:           8
        .value_kind:     by_value
      - .offset:         40
        .size:           8
        .value_kind:     by_value
      - .offset:         48
        .size:           16
        .value_kind:     by_value
      - .offset:         64
        .size:           8
        .value_kind:     by_value
      - .offset:         72
        .size:           4
        .value_kind:     by_value
    .group_segment_fixed_size: 0
    .kernarg_segment_align: 8
    .kernarg_segment_size: 76
    .language:       OpenCL C
    .language_version:
      - 2
      - 0
    .max_flat_workgroup_size: 1024
    .name:           _ZL23rocblas_set_matrix_trsmILi128ELi8E19rocblas_complex_numIdEPS1_EvlliT2_llT1_li
    .private_segment_fixed_size: 0
    .sgpr_count:     16
    .sgpr_spill_count: 0
    .symbol:         _ZL23rocblas_set_matrix_trsmILi128ELi8E19rocblas_complex_numIdEPS1_EvlliT2_llT1_li.kd
    .uniform_work_group_size: 1
    .uses_dynamic_stack: false
    .vgpr_count:     6
    .vgpr_spill_count: 0
    .wavefront_size: 64
  - .args:
      - .offset:         0
        .size:           4
        .value_kind:     by_value
      - .offset:         4
        .size:           4
        .value_kind:     by_value
      - .offset:         8
        .size:           4
        .value_kind:     by_value
      - .offset:         12
        .size:           4
        .value_kind:     by_value
      - .offset:         16
        .size:           4
        .value_kind:     by_value
      - .offset:         24
        .size:           16
        .value_kind:     by_value
      - .address_space:  global
        .offset:         40
        .size:           8
        .value_kind:     global_buffer
      - .offset:         48
        .size:           8
        .value_kind:     by_value
      - .offset:         56
        .size:           4
        .value_kind:     by_value
      - .offset:         64
        .size:           8
        .value_kind:     by_value
      - .address_space:  global
        .offset:         72
        .size:           8
        .value_kind:     global_buffer
      - .offset:         80
        .size:           8
        .value_kind:     by_value
      - .offset:         88
        .size:           4
        .value_kind:     by_value
      - .offset:         96
        .size:           8
        .value_kind:     by_value
      - .offset:         104
        .size:           4
        .value_kind:     by_value
      - .offset:         112
        .size:           4
        .value_kind:     hidden_block_count_x
      - .offset:         116
        .size:           4
        .value_kind:     hidden_block_count_y
      - .offset:         120
        .size:           4
        .value_kind:     hidden_block_count_z
      - .offset:         124
        .size:           2
        .value_kind:     hidden_group_size_x
      - .offset:         126
        .size:           2
        .value_kind:     hidden_group_size_y
      - .offset:         128
        .size:           2
        .value_kind:     hidden_group_size_z
      - .offset:         130
        .size:           2
        .value_kind:     hidden_remainder_x
      - .offset:         132
        .size:           2
        .value_kind:     hidden_remainder_y
      - .offset:         134
        .size:           2
        .value_kind:     hidden_remainder_z
      - .offset:         152
        .size:           8
        .value_kind:     hidden_global_offset_x
      - .offset:         160
        .size:           8
        .value_kind:     hidden_global_offset_y
      - .offset:         168
        .size:           8
        .value_kind:     hidden_global_offset_z
      - .offset:         176
        .size:           2
        .value_kind:     hidden_grid_dims
    .group_segment_fixed_size: 768
    .kernarg_segment_align: 8
    .kernarg_segment_size: 368
    .language:       OpenCL C
    .language_version:
      - 2
      - 0
    .max_flat_workgroup_size: 4
    .name:           _ZL38rocblas_trsm_small_left_device_sharedBILi4ELi4ELb0E19rocblas_complex_numIdES1_PKS1_PS1_Ev13rocblas_fill_18rocblas_operation_17rocblas_diagonal_iiT3_T4_lilT5_lili
    .private_segment_fixed_size: 0
    .sgpr_count:     35
    .sgpr_spill_count: 0
    .symbol:         _ZL38rocblas_trsm_small_left_device_sharedBILi4ELi4ELb0E19rocblas_complex_numIdES1_PKS1_PS1_Ev13rocblas_fill_18rocblas_operation_17rocblas_diagonal_iiT3_T4_lilT5_lili.kd
    .uniform_work_group_size: 1
    .uses_dynamic_stack: false
    .vgpr_count:     21
    .vgpr_spill_count: 0
    .wavefront_size: 64
  - .args:
      - .offset:         0
        .size:           4
        .value_kind:     by_value
      - .offset:         4
        .size:           4
        .value_kind:     by_value
      - .offset:         8
        .size:           4
        .value_kind:     by_value
      - .offset:         12
        .size:           4
        .value_kind:     by_value
      - .offset:         16
        .size:           4
        .value_kind:     by_value
      - .offset:         24
        .size:           16
        .value_kind:     by_value
      - .address_space:  global
        .offset:         40
        .size:           8
        .value_kind:     global_buffer
      - .offset:         48
        .size:           8
        .value_kind:     by_value
      - .offset:         56
        .size:           4
        .value_kind:     by_value
      - .offset:         64
        .size:           8
        .value_kind:     by_value
      - .address_space:  global
        .offset:         72
        .size:           8
        .value_kind:     global_buffer
      - .offset:         80
        .size:           8
        .value_kind:     by_value
      - .offset:         88
        .size:           4
        .value_kind:     by_value
      - .offset:         96
        .size:           8
        .value_kind:     by_value
      - .offset:         104
        .size:           4
        .value_kind:     by_value
      - .offset:         112
        .size:           4
        .value_kind:     hidden_block_count_x
      - .offset:         116
        .size:           4
        .value_kind:     hidden_block_count_y
      - .offset:         120
        .size:           4
        .value_kind:     hidden_block_count_z
      - .offset:         124
        .size:           2
        .value_kind:     hidden_group_size_x
      - .offset:         126
        .size:           2
        .value_kind:     hidden_group_size_y
      - .offset:         128
        .size:           2
        .value_kind:     hidden_group_size_z
      - .offset:         130
        .size:           2
        .value_kind:     hidden_remainder_x
      - .offset:         132
        .size:           2
        .value_kind:     hidden_remainder_y
      - .offset:         134
        .size:           2
        .value_kind:     hidden_remainder_z
      - .offset:         152
        .size:           8
        .value_kind:     hidden_global_offset_x
      - .offset:         160
        .size:           8
        .value_kind:     hidden_global_offset_y
      - .offset:         168
        .size:           8
        .value_kind:     hidden_global_offset_z
      - .offset:         176
        .size:           2
        .value_kind:     hidden_grid_dims
    .group_segment_fixed_size: 512
    .kernarg_segment_align: 8
    .kernarg_segment_size: 368
    .language:       OpenCL C
    .language_version:
      - 2
      - 0
    .max_flat_workgroup_size: 4
    .name:           _ZL30rocblas_trsm_small_left_deviceILi4ELi4ELb0E19rocblas_complex_numIdES1_PKS1_PS1_Ev13rocblas_fill_18rocblas_operation_17rocblas_diagonal_iiT3_T4_lilT5_lili
    .private_segment_fixed_size: 0
    .sgpr_count:     34
    .sgpr_spill_count: 0
    .symbol:         _ZL30rocblas_trsm_small_left_deviceILi4ELi4ELb0E19rocblas_complex_numIdES1_PKS1_PS1_Ev13rocblas_fill_18rocblas_operation_17rocblas_diagonal_iiT3_T4_lilT5_lili.kd
    .uniform_work_group_size: 1
    .uses_dynamic_stack: false
    .vgpr_count:     25
    .vgpr_spill_count: 0
    .wavefront_size: 64
  - .args:
      - .offset:         0
        .size:           4
        .value_kind:     by_value
      - .offset:         4
        .size:           4
        .value_kind:     by_value
      - .offset:         8
        .size:           4
        .value_kind:     by_value
      - .offset:         12
        .size:           4
        .value_kind:     by_value
      - .offset:         16
        .size:           4
        .value_kind:     by_value
      - .offset:         24
        .size:           16
        .value_kind:     by_value
      - .address_space:  global
        .offset:         40
        .size:           8
        .value_kind:     global_buffer
      - .offset:         48
        .size:           8
        .value_kind:     by_value
      - .offset:         56
        .size:           4
        .value_kind:     by_value
      - .offset:         64
        .size:           8
        .value_kind:     by_value
      - .address_space:  global
        .offset:         72
        .size:           8
        .value_kind:     global_buffer
      - .offset:         80
        .size:           8
        .value_kind:     by_value
      - .offset:         88
        .size:           4
        .value_kind:     by_value
      - .offset:         96
        .size:           8
        .value_kind:     by_value
      - .offset:         104
        .size:           4
        .value_kind:     by_value
      - .offset:         112
        .size:           4
        .value_kind:     hidden_block_count_x
      - .offset:         116
        .size:           4
        .value_kind:     hidden_block_count_y
      - .offset:         120
        .size:           4
        .value_kind:     hidden_block_count_z
      - .offset:         124
        .size:           2
        .value_kind:     hidden_group_size_x
      - .offset:         126
        .size:           2
        .value_kind:     hidden_group_size_y
      - .offset:         128
        .size:           2
        .value_kind:     hidden_group_size_z
      - .offset:         130
        .size:           2
        .value_kind:     hidden_remainder_x
      - .offset:         132
        .size:           2
        .value_kind:     hidden_remainder_y
      - .offset:         134
        .size:           2
        .value_kind:     hidden_remainder_z
      - .offset:         152
        .size:           8
        .value_kind:     hidden_global_offset_x
      - .offset:         160
        .size:           8
        .value_kind:     hidden_global_offset_y
      - .offset:         168
        .size:           8
        .value_kind:     hidden_global_offset_z
      - .offset:         176
        .size:           2
        .value_kind:     hidden_grid_dims
    .group_segment_fixed_size: 768
    .kernarg_segment_align: 8
    .kernarg_segment_size: 368
    .language:       OpenCL C
    .language_version:
      - 2
      - 0
    .max_flat_workgroup_size: 4
    .name:           _ZL38rocblas_trsm_small_left_device_sharedBILi4ELi4ELb1E19rocblas_complex_numIdES1_PKS1_PS1_Ev13rocblas_fill_18rocblas_operation_17rocblas_diagonal_iiT3_T4_lilT5_lili
    .private_segment_fixed_size: 0
    .sgpr_count:     36
    .sgpr_spill_count: 0
    .symbol:         _ZL38rocblas_trsm_small_left_device_sharedBILi4ELi4ELb1E19rocblas_complex_numIdES1_PKS1_PS1_Ev13rocblas_fill_18rocblas_operation_17rocblas_diagonal_iiT3_T4_lilT5_lili.kd
    .uniform_work_group_size: 1
    .uses_dynamic_stack: false
    .vgpr_count:     21
    .vgpr_spill_count: 0
    .wavefront_size: 64
  - .args:
      - .offset:         0
        .size:           4
        .value_kind:     by_value
      - .offset:         4
        .size:           4
        .value_kind:     by_value
      - .offset:         8
        .size:           4
        .value_kind:     by_value
      - .offset:         12
        .size:           4
        .value_kind:     by_value
      - .offset:         16
        .size:           4
        .value_kind:     by_value
      - .offset:         24
        .size:           16
        .value_kind:     by_value
      - .address_space:  global
        .offset:         40
        .size:           8
        .value_kind:     global_buffer
      - .offset:         48
        .size:           8
        .value_kind:     by_value
      - .offset:         56
        .size:           4
        .value_kind:     by_value
      - .offset:         64
        .size:           8
        .value_kind:     by_value
      - .address_space:  global
        .offset:         72
        .size:           8
        .value_kind:     global_buffer
      - .offset:         80
        .size:           8
        .value_kind:     by_value
      - .offset:         88
        .size:           4
        .value_kind:     by_value
      - .offset:         96
        .size:           8
        .value_kind:     by_value
      - .offset:         104
        .size:           4
        .value_kind:     by_value
      - .offset:         112
        .size:           4
        .value_kind:     hidden_block_count_x
      - .offset:         116
        .size:           4
        .value_kind:     hidden_block_count_y
      - .offset:         120
        .size:           4
        .value_kind:     hidden_block_count_z
      - .offset:         124
        .size:           2
        .value_kind:     hidden_group_size_x
      - .offset:         126
        .size:           2
        .value_kind:     hidden_group_size_y
      - .offset:         128
        .size:           2
        .value_kind:     hidden_group_size_z
      - .offset:         130
        .size:           2
        .value_kind:     hidden_remainder_x
      - .offset:         132
        .size:           2
        .value_kind:     hidden_remainder_y
      - .offset:         134
        .size:           2
        .value_kind:     hidden_remainder_z
      - .offset:         152
        .size:           8
        .value_kind:     hidden_global_offset_x
      - .offset:         160
        .size:           8
        .value_kind:     hidden_global_offset_y
      - .offset:         168
        .size:           8
        .value_kind:     hidden_global_offset_z
      - .offset:         176
        .size:           2
        .value_kind:     hidden_grid_dims
    .group_segment_fixed_size: 512
    .kernarg_segment_align: 8
    .kernarg_segment_size: 368
    .language:       OpenCL C
    .language_version:
      - 2
      - 0
    .max_flat_workgroup_size: 4
    .name:           _ZL30rocblas_trsm_small_left_deviceILi4ELi4ELb1E19rocblas_complex_numIdES1_PKS1_PS1_Ev13rocblas_fill_18rocblas_operation_17rocblas_diagonal_iiT3_T4_lilT5_lili
    .private_segment_fixed_size: 0
    .sgpr_count:     36
    .sgpr_spill_count: 0
    .symbol:         _ZL30rocblas_trsm_small_left_deviceILi4ELi4ELb1E19rocblas_complex_numIdES1_PKS1_PS1_Ev13rocblas_fill_18rocblas_operation_17rocblas_diagonal_iiT3_T4_lilT5_lili.kd
    .uniform_work_group_size: 1
    .uses_dynamic_stack: false
    .vgpr_count:     23
    .vgpr_spill_count: 0
    .wavefront_size: 64
  - .args:
      - .offset:         0
        .size:           4
        .value_kind:     by_value
      - .offset:         4
        .size:           4
        .value_kind:     by_value
      - .offset:         8
        .size:           4
        .value_kind:     by_value
      - .offset:         12
        .size:           4
        .value_kind:     by_value
      - .offset:         16
        .size:           4
        .value_kind:     by_value
      - .offset:         24
        .size:           16
        .value_kind:     by_value
      - .address_space:  global
        .offset:         40
        .size:           8
        .value_kind:     global_buffer
      - .offset:         48
        .size:           8
        .value_kind:     by_value
      - .offset:         56
        .size:           4
        .value_kind:     by_value
      - .offset:         64
        .size:           8
        .value_kind:     by_value
      - .address_space:  global
        .offset:         72
        .size:           8
        .value_kind:     global_buffer
      - .offset:         80
        .size:           8
        .value_kind:     by_value
      - .offset:         88
        .size:           4
        .value_kind:     by_value
      - .offset:         96
        .size:           8
        .value_kind:     by_value
      - .offset:         104
        .size:           4
        .value_kind:     by_value
      - .offset:         112
        .size:           4
        .value_kind:     hidden_block_count_x
      - .offset:         116
        .size:           4
        .value_kind:     hidden_block_count_y
      - .offset:         120
        .size:           4
        .value_kind:     hidden_block_count_z
      - .offset:         124
        .size:           2
        .value_kind:     hidden_group_size_x
      - .offset:         126
        .size:           2
        .value_kind:     hidden_group_size_y
      - .offset:         128
        .size:           2
        .value_kind:     hidden_group_size_z
      - .offset:         130
        .size:           2
        .value_kind:     hidden_remainder_x
      - .offset:         132
        .size:           2
        .value_kind:     hidden_remainder_y
      - .offset:         134
        .size:           2
        .value_kind:     hidden_remainder_z
      - .offset:         152
        .size:           8
        .value_kind:     hidden_global_offset_x
      - .offset:         160
        .size:           8
        .value_kind:     hidden_global_offset_y
      - .offset:         168
        .size:           8
        .value_kind:     hidden_global_offset_z
      - .offset:         176
        .size:           2
        .value_kind:     hidden_grid_dims
    .group_segment_fixed_size: 512
    .kernarg_segment_align: 8
    .kernarg_segment_size: 368
    .language:       OpenCL C
    .language_version:
      - 2
      - 0
    .max_flat_workgroup_size: 4
    .name:           _ZL31rocblas_trsm_small_right_deviceI19rocblas_complex_numIdES1_PKS1_PS1_Li4EEv13rocblas_fill_18rocblas_operation_17rocblas_diagonal_iiT0_T1_lilT2_lili
    .private_segment_fixed_size: 0
    .sgpr_count:     33
    .sgpr_spill_count: 0
    .symbol:         _ZL31rocblas_trsm_small_right_deviceI19rocblas_complex_numIdES1_PKS1_PS1_Li4EEv13rocblas_fill_18rocblas_operation_17rocblas_diagonal_iiT0_T1_lilT2_lili.kd
    .uniform_work_group_size: 1
    .uses_dynamic_stack: false
    .vgpr_count:     38
    .vgpr_spill_count: 0
    .wavefront_size: 64
  - .args:
      - .offset:         0
        .size:           4
        .value_kind:     by_value
      - .offset:         4
        .size:           4
        .value_kind:     by_value
      - .offset:         8
        .size:           4
        .value_kind:     by_value
      - .offset:         12
        .size:           4
        .value_kind:     by_value
      - .offset:         16
        .size:           4
        .value_kind:     by_value
      - .offset:         24
        .size:           16
        .value_kind:     by_value
      - .address_space:  global
        .offset:         40
        .size:           8
        .value_kind:     global_buffer
      - .offset:         48
        .size:           8
        .value_kind:     by_value
      - .offset:         56
        .size:           4
        .value_kind:     by_value
      - .offset:         64
        .size:           8
        .value_kind:     by_value
      - .address_space:  global
        .offset:         72
        .size:           8
        .value_kind:     global_buffer
      - .offset:         80
        .size:           8
        .value_kind:     by_value
      - .offset:         88
        .size:           4
        .value_kind:     by_value
      - .offset:         96
        .size:           8
        .value_kind:     by_value
      - .offset:         104
        .size:           4
        .value_kind:     by_value
      - .offset:         112
        .size:           4
        .value_kind:     hidden_block_count_x
      - .offset:         116
        .size:           4
        .value_kind:     hidden_block_count_y
      - .offset:         120
        .size:           4
        .value_kind:     hidden_block_count_z
      - .offset:         124
        .size:           2
        .value_kind:     hidden_group_size_x
      - .offset:         126
        .size:           2
        .value_kind:     hidden_group_size_y
      - .offset:         128
        .size:           2
        .value_kind:     hidden_group_size_z
      - .offset:         130
        .size:           2
        .value_kind:     hidden_remainder_x
      - .offset:         132
        .size:           2
        .value_kind:     hidden_remainder_y
      - .offset:         134
        .size:           2
        .value_kind:     hidden_remainder_z
      - .offset:         152
        .size:           8
        .value_kind:     hidden_global_offset_x
      - .offset:         160
        .size:           8
        .value_kind:     hidden_global_offset_y
      - .offset:         168
        .size:           8
        .value_kind:     hidden_global_offset_z
      - .offset:         176
        .size:           2
        .value_kind:     hidden_grid_dims
    .group_segment_fixed_size: 2048
    .kernarg_segment_align: 8
    .kernarg_segment_size: 368
    .language:       OpenCL C
    .language_version:
      - 2
      - 0
    .max_flat_workgroup_size: 8
    .name:           _ZL38rocblas_trsm_small_left_device_sharedBILi8ELi8ELb0E19rocblas_complex_numIdES1_PKS1_PS1_Ev13rocblas_fill_18rocblas_operation_17rocblas_diagonal_iiT3_T4_lilT5_lili
    .private_segment_fixed_size: 144
    .sgpr_count:     42
    .sgpr_spill_count: 0
    .symbol:         _ZL38rocblas_trsm_small_left_device_sharedBILi8ELi8ELb0E19rocblas_complex_numIdES1_PKS1_PS1_Ev13rocblas_fill_18rocblas_operation_17rocblas_diagonal_iiT3_T4_lilT5_lili.kd
    .uniform_work_group_size: 1
    .uses_dynamic_stack: false
    .vgpr_count:     19
    .vgpr_spill_count: 0
    .wavefront_size: 64
  - .args:
      - .offset:         0
        .size:           4
        .value_kind:     by_value
      - .offset:         4
        .size:           4
        .value_kind:     by_value
      - .offset:         8
        .size:           4
        .value_kind:     by_value
      - .offset:         12
        .size:           4
        .value_kind:     by_value
      - .offset:         16
        .size:           4
        .value_kind:     by_value
      - .offset:         24
        .size:           16
        .value_kind:     by_value
      - .address_space:  global
        .offset:         40
        .size:           8
        .value_kind:     global_buffer
      - .offset:         48
        .size:           8
        .value_kind:     by_value
      - .offset:         56
        .size:           4
        .value_kind:     by_value
      - .offset:         64
        .size:           8
        .value_kind:     by_value
      - .address_space:  global
        .offset:         72
        .size:           8
        .value_kind:     global_buffer
      - .offset:         80
        .size:           8
        .value_kind:     by_value
      - .offset:         88
        .size:           4
        .value_kind:     by_value
      - .offset:         96
        .size:           8
        .value_kind:     by_value
      - .offset:         104
        .size:           4
        .value_kind:     by_value
      - .offset:         112
        .size:           4
        .value_kind:     hidden_block_count_x
      - .offset:         116
        .size:           4
        .value_kind:     hidden_block_count_y
      - .offset:         120
        .size:           4
        .value_kind:     hidden_block_count_z
      - .offset:         124
        .size:           2
        .value_kind:     hidden_group_size_x
      - .offset:         126
        .size:           2
        .value_kind:     hidden_group_size_y
      - .offset:         128
        .size:           2
        .value_kind:     hidden_group_size_z
      - .offset:         130
        .size:           2
        .value_kind:     hidden_remainder_x
      - .offset:         132
        .size:           2
        .value_kind:     hidden_remainder_y
      - .offset:         134
        .size:           2
        .value_kind:     hidden_remainder_z
      - .offset:         152
        .size:           8
        .value_kind:     hidden_global_offset_x
      - .offset:         160
        .size:           8
        .value_kind:     hidden_global_offset_y
      - .offset:         168
        .size:           8
        .value_kind:     hidden_global_offset_z
      - .offset:         176
        .size:           2
        .value_kind:     hidden_grid_dims
    .group_segment_fixed_size: 1024
    .kernarg_segment_align: 8
    .kernarg_segment_size: 368
    .language:       OpenCL C
    .language_version:
      - 2
      - 0
    .max_flat_workgroup_size: 8
    .name:           _ZL30rocblas_trsm_small_left_deviceILi8ELi8ELb0E19rocblas_complex_numIdES1_PKS1_PS1_Ev13rocblas_fill_18rocblas_operation_17rocblas_diagonal_iiT3_T4_lilT5_lili
    .private_segment_fixed_size: 144
    .sgpr_count:     39
    .sgpr_spill_count: 0
    .symbol:         _ZL30rocblas_trsm_small_left_deviceILi8ELi8ELb0E19rocblas_complex_numIdES1_PKS1_PS1_Ev13rocblas_fill_18rocblas_operation_17rocblas_diagonal_iiT3_T4_lilT5_lili.kd
    .uniform_work_group_size: 1
    .uses_dynamic_stack: false
    .vgpr_count:     22
    .vgpr_spill_count: 0
    .wavefront_size: 64
  - .args:
      - .offset:         0
        .size:           4
        .value_kind:     by_value
      - .offset:         4
        .size:           4
        .value_kind:     by_value
      - .offset:         8
        .size:           4
        .value_kind:     by_value
      - .offset:         12
        .size:           4
        .value_kind:     by_value
      - .offset:         16
        .size:           4
        .value_kind:     by_value
      - .offset:         24
        .size:           16
        .value_kind:     by_value
      - .address_space:  global
        .offset:         40
        .size:           8
        .value_kind:     global_buffer
      - .offset:         48
        .size:           8
        .value_kind:     by_value
      - .offset:         56
        .size:           4
        .value_kind:     by_value
      - .offset:         64
        .size:           8
        .value_kind:     by_value
      - .address_space:  global
        .offset:         72
        .size:           8
        .value_kind:     global_buffer
      - .offset:         80
        .size:           8
        .value_kind:     by_value
      - .offset:         88
        .size:           4
        .value_kind:     by_value
      - .offset:         96
        .size:           8
        .value_kind:     by_value
      - .offset:         104
        .size:           4
        .value_kind:     by_value
      - .offset:         112
        .size:           4
        .value_kind:     hidden_block_count_x
      - .offset:         116
        .size:           4
        .value_kind:     hidden_block_count_y
      - .offset:         120
        .size:           4
        .value_kind:     hidden_block_count_z
      - .offset:         124
        .size:           2
        .value_kind:     hidden_group_size_x
      - .offset:         126
        .size:           2
        .value_kind:     hidden_group_size_y
      - .offset:         128
        .size:           2
        .value_kind:     hidden_group_size_z
      - .offset:         130
        .size:           2
        .value_kind:     hidden_remainder_x
      - .offset:         132
        .size:           2
        .value_kind:     hidden_remainder_y
      - .offset:         134
        .size:           2
        .value_kind:     hidden_remainder_z
      - .offset:         152
        .size:           8
        .value_kind:     hidden_global_offset_x
      - .offset:         160
        .size:           8
        .value_kind:     hidden_global_offset_y
      - .offset:         168
        .size:           8
        .value_kind:     hidden_global_offset_z
      - .offset:         176
        .size:           2
        .value_kind:     hidden_grid_dims
    .group_segment_fixed_size: 2048
    .kernarg_segment_align: 8
    .kernarg_segment_size: 368
    .language:       OpenCL C
    .language_version:
      - 2
      - 0
    .max_flat_workgroup_size: 8
    .name:           _ZL38rocblas_trsm_small_left_device_sharedBILi8ELi8ELb1E19rocblas_complex_numIdES1_PKS1_PS1_Ev13rocblas_fill_18rocblas_operation_17rocblas_diagonal_iiT3_T4_lilT5_lili
    .private_segment_fixed_size: 144
    .sgpr_count:     43
    .sgpr_spill_count: 0
    .symbol:         _ZL38rocblas_trsm_small_left_device_sharedBILi8ELi8ELb1E19rocblas_complex_numIdES1_PKS1_PS1_Ev13rocblas_fill_18rocblas_operation_17rocblas_diagonal_iiT3_T4_lilT5_lili.kd
    .uniform_work_group_size: 1
    .uses_dynamic_stack: false
    .vgpr_count:     19
    .vgpr_spill_count: 0
    .wavefront_size: 64
  - .args:
      - .offset:         0
        .size:           4
        .value_kind:     by_value
      - .offset:         4
        .size:           4
        .value_kind:     by_value
      - .offset:         8
        .size:           4
        .value_kind:     by_value
      - .offset:         12
        .size:           4
        .value_kind:     by_value
      - .offset:         16
        .size:           4
        .value_kind:     by_value
      - .offset:         24
        .size:           16
        .value_kind:     by_value
      - .address_space:  global
        .offset:         40
        .size:           8
        .value_kind:     global_buffer
      - .offset:         48
        .size:           8
        .value_kind:     by_value
      - .offset:         56
        .size:           4
        .value_kind:     by_value
      - .offset:         64
        .size:           8
        .value_kind:     by_value
      - .address_space:  global
        .offset:         72
        .size:           8
        .value_kind:     global_buffer
      - .offset:         80
        .size:           8
        .value_kind:     by_value
      - .offset:         88
        .size:           4
        .value_kind:     by_value
      - .offset:         96
        .size:           8
        .value_kind:     by_value
      - .offset:         104
        .size:           4
        .value_kind:     by_value
      - .offset:         112
        .size:           4
        .value_kind:     hidden_block_count_x
      - .offset:         116
        .size:           4
        .value_kind:     hidden_block_count_y
      - .offset:         120
        .size:           4
        .value_kind:     hidden_block_count_z
      - .offset:         124
        .size:           2
        .value_kind:     hidden_group_size_x
      - .offset:         126
        .size:           2
        .value_kind:     hidden_group_size_y
      - .offset:         128
        .size:           2
        .value_kind:     hidden_group_size_z
      - .offset:         130
        .size:           2
        .value_kind:     hidden_remainder_x
      - .offset:         132
        .size:           2
        .value_kind:     hidden_remainder_y
      - .offset:         134
        .size:           2
        .value_kind:     hidden_remainder_z
      - .offset:         152
        .size:           8
        .value_kind:     hidden_global_offset_x
      - .offset:         160
        .size:           8
        .value_kind:     hidden_global_offset_y
      - .offset:         168
        .size:           8
        .value_kind:     hidden_global_offset_z
      - .offset:         176
        .size:           2
        .value_kind:     hidden_grid_dims
    .group_segment_fixed_size: 1024
    .kernarg_segment_align: 8
    .kernarg_segment_size: 368
    .language:       OpenCL C
    .language_version:
      - 2
      - 0
    .max_flat_workgroup_size: 8
    .name:           _ZL30rocblas_trsm_small_left_deviceILi8ELi8ELb1E19rocblas_complex_numIdES1_PKS1_PS1_Ev13rocblas_fill_18rocblas_operation_17rocblas_diagonal_iiT3_T4_lilT5_lili
    .private_segment_fixed_size: 144
    .sgpr_count:     41
    .sgpr_spill_count: 0
    .symbol:         _ZL30rocblas_trsm_small_left_deviceILi8ELi8ELb1E19rocblas_complex_numIdES1_PKS1_PS1_Ev13rocblas_fill_18rocblas_operation_17rocblas_diagonal_iiT3_T4_lilT5_lili.kd
    .uniform_work_group_size: 1
    .uses_dynamic_stack: false
    .vgpr_count:     21
    .vgpr_spill_count: 0
    .wavefront_size: 64
  - .args:
      - .offset:         0
        .size:           4
        .value_kind:     by_value
      - .offset:         4
        .size:           4
        .value_kind:     by_value
      - .offset:         8
        .size:           4
        .value_kind:     by_value
      - .offset:         12
        .size:           4
        .value_kind:     by_value
      - .offset:         16
        .size:           4
        .value_kind:     by_value
      - .offset:         24
        .size:           16
        .value_kind:     by_value
      - .address_space:  global
        .offset:         40
        .size:           8
        .value_kind:     global_buffer
      - .offset:         48
        .size:           8
        .value_kind:     by_value
      - .offset:         56
        .size:           4
        .value_kind:     by_value
      - .offset:         64
        .size:           8
        .value_kind:     by_value
      - .address_space:  global
        .offset:         72
        .size:           8
        .value_kind:     global_buffer
      - .offset:         80
        .size:           8
        .value_kind:     by_value
      - .offset:         88
        .size:           4
        .value_kind:     by_value
      - .offset:         96
        .size:           8
        .value_kind:     by_value
      - .offset:         104
        .size:           4
        .value_kind:     by_value
      - .offset:         112
        .size:           4
        .value_kind:     hidden_block_count_x
      - .offset:         116
        .size:           4
        .value_kind:     hidden_block_count_y
      - .offset:         120
        .size:           4
        .value_kind:     hidden_block_count_z
      - .offset:         124
        .size:           2
        .value_kind:     hidden_group_size_x
      - .offset:         126
        .size:           2
        .value_kind:     hidden_group_size_y
      - .offset:         128
        .size:           2
        .value_kind:     hidden_group_size_z
      - .offset:         130
        .size:           2
        .value_kind:     hidden_remainder_x
      - .offset:         132
        .size:           2
        .value_kind:     hidden_remainder_y
      - .offset:         134
        .size:           2
        .value_kind:     hidden_remainder_z
      - .offset:         152
        .size:           8
        .value_kind:     hidden_global_offset_x
      - .offset:         160
        .size:           8
        .value_kind:     hidden_global_offset_y
      - .offset:         168
        .size:           8
        .value_kind:     hidden_global_offset_z
      - .offset:         176
        .size:           2
        .value_kind:     hidden_grid_dims
    .group_segment_fixed_size: 2048
    .kernarg_segment_align: 8
    .kernarg_segment_size: 368
    .language:       OpenCL C
    .language_version:
      - 2
      - 0
    .max_flat_workgroup_size: 8
    .name:           _ZL31rocblas_trsm_small_right_deviceI19rocblas_complex_numIdES1_PKS1_PS1_Li8EEv13rocblas_fill_18rocblas_operation_17rocblas_diagonal_iiT0_T1_lilT2_lili
    .private_segment_fixed_size: 0
    .sgpr_count:     33
    .sgpr_spill_count: 0
    .symbol:         _ZL31rocblas_trsm_small_right_deviceI19rocblas_complex_numIdES1_PKS1_PS1_Li8EEv13rocblas_fill_18rocblas_operation_17rocblas_diagonal_iiT0_T1_lilT2_lili.kd
    .uniform_work_group_size: 1
    .uses_dynamic_stack: false
    .vgpr_count:     47
    .vgpr_spill_count: 0
    .wavefront_size: 64
  - .args:
      - .offset:         0
        .size:           4
        .value_kind:     by_value
      - .offset:         4
        .size:           4
        .value_kind:     by_value
      - .offset:         8
        .size:           4
        .value_kind:     by_value
      - .offset:         12
        .size:           4
        .value_kind:     by_value
      - .offset:         16
        .size:           4
        .value_kind:     by_value
      - .offset:         24
        .size:           16
        .value_kind:     by_value
      - .address_space:  global
        .offset:         40
        .size:           8
        .value_kind:     global_buffer
      - .offset:         48
        .size:           8
        .value_kind:     by_value
      - .offset:         56
        .size:           4
        .value_kind:     by_value
      - .offset:         64
        .size:           8
        .value_kind:     by_value
      - .address_space:  global
        .offset:         72
        .size:           8
        .value_kind:     global_buffer
      - .offset:         80
        .size:           8
        .value_kind:     by_value
      - .offset:         88
        .size:           4
        .value_kind:     by_value
      - .offset:         96
        .size:           8
        .value_kind:     by_value
      - .offset:         104
        .size:           4
        .value_kind:     by_value
      - .offset:         112
        .size:           4
        .value_kind:     hidden_block_count_x
      - .offset:         116
        .size:           4
        .value_kind:     hidden_block_count_y
      - .offset:         120
        .size:           4
        .value_kind:     hidden_block_count_z
      - .offset:         124
        .size:           2
        .value_kind:     hidden_group_size_x
      - .offset:         126
        .size:           2
        .value_kind:     hidden_group_size_y
      - .offset:         128
        .size:           2
        .value_kind:     hidden_group_size_z
      - .offset:         130
        .size:           2
        .value_kind:     hidden_remainder_x
      - .offset:         132
        .size:           2
        .value_kind:     hidden_remainder_y
      - .offset:         134
        .size:           2
        .value_kind:     hidden_remainder_z
      - .offset:         152
        .size:           8
        .value_kind:     hidden_global_offset_x
      - .offset:         160
        .size:           8
        .value_kind:     hidden_global_offset_y
      - .offset:         168
        .size:           8
        .value_kind:     hidden_global_offset_z
      - .offset:         176
        .size:           2
        .value_kind:     hidden_grid_dims
    .group_segment_fixed_size: 4608
    .kernarg_segment_align: 8
    .kernarg_segment_size: 368
    .language:       OpenCL C
    .language_version:
      - 2
      - 0
    .max_flat_workgroup_size: 12
    .name:           _ZL38rocblas_trsm_small_left_device_sharedBILi12ELi12ELb0E19rocblas_complex_numIdES1_PKS1_PS1_Ev13rocblas_fill_18rocblas_operation_17rocblas_diagonal_iiT3_T4_lilT5_lili
    .private_segment_fixed_size: 208
    .sgpr_count:     41
    .sgpr_spill_count: 0
    .symbol:         _ZL38rocblas_trsm_small_left_device_sharedBILi12ELi12ELb0E19rocblas_complex_numIdES1_PKS1_PS1_Ev13rocblas_fill_18rocblas_operation_17rocblas_diagonal_iiT3_T4_lilT5_lili.kd
    .uniform_work_group_size: 1
    .uses_dynamic_stack: false
    .vgpr_count:     19
    .vgpr_spill_count: 0
    .wavefront_size: 64
  - .args:
      - .offset:         0
        .size:           4
        .value_kind:     by_value
      - .offset:         4
        .size:           4
        .value_kind:     by_value
      - .offset:         8
        .size:           4
        .value_kind:     by_value
      - .offset:         12
        .size:           4
        .value_kind:     by_value
      - .offset:         16
        .size:           4
        .value_kind:     by_value
      - .offset:         24
        .size:           16
        .value_kind:     by_value
      - .address_space:  global
        .offset:         40
        .size:           8
        .value_kind:     global_buffer
      - .offset:         48
        .size:           8
        .value_kind:     by_value
      - .offset:         56
        .size:           4
        .value_kind:     by_value
      - .offset:         64
        .size:           8
        .value_kind:     by_value
      - .address_space:  global
        .offset:         72
        .size:           8
        .value_kind:     global_buffer
      - .offset:         80
        .size:           8
        .value_kind:     by_value
      - .offset:         88
        .size:           4
        .value_kind:     by_value
      - .offset:         96
        .size:           8
        .value_kind:     by_value
      - .offset:         104
        .size:           4
        .value_kind:     by_value
      - .offset:         112
        .size:           4
        .value_kind:     hidden_block_count_x
      - .offset:         116
        .size:           4
        .value_kind:     hidden_block_count_y
      - .offset:         120
        .size:           4
        .value_kind:     hidden_block_count_z
      - .offset:         124
        .size:           2
        .value_kind:     hidden_group_size_x
      - .offset:         126
        .size:           2
        .value_kind:     hidden_group_size_y
      - .offset:         128
        .size:           2
        .value_kind:     hidden_group_size_z
      - .offset:         130
        .size:           2
        .value_kind:     hidden_remainder_x
      - .offset:         132
        .size:           2
        .value_kind:     hidden_remainder_y
      - .offset:         134
        .size:           2
        .value_kind:     hidden_remainder_z
      - .offset:         152
        .size:           8
        .value_kind:     hidden_global_offset_x
      - .offset:         160
        .size:           8
        .value_kind:     hidden_global_offset_y
      - .offset:         168
        .size:           8
        .value_kind:     hidden_global_offset_z
      - .offset:         176
        .size:           2
        .value_kind:     hidden_grid_dims
    .group_segment_fixed_size: 2304
    .kernarg_segment_align: 8
    .kernarg_segment_size: 368
    .language:       OpenCL C
    .language_version:
      - 2
      - 0
    .max_flat_workgroup_size: 12
    .name:           _ZL30rocblas_trsm_small_left_deviceILi12ELi12ELb0E19rocblas_complex_numIdES1_PKS1_PS1_Ev13rocblas_fill_18rocblas_operation_17rocblas_diagonal_iiT3_T4_lilT5_lili
    .private_segment_fixed_size: 208
    .sgpr_count:     39
    .sgpr_spill_count: 0
    .symbol:         _ZL30rocblas_trsm_small_left_deviceILi12ELi12ELb0E19rocblas_complex_numIdES1_PKS1_PS1_Ev13rocblas_fill_18rocblas_operation_17rocblas_diagonal_iiT3_T4_lilT5_lili.kd
    .uniform_work_group_size: 1
    .uses_dynamic_stack: false
    .vgpr_count:     23
    .vgpr_spill_count: 0
    .wavefront_size: 64
  - .args:
      - .offset:         0
        .size:           4
        .value_kind:     by_value
      - .offset:         4
        .size:           4
        .value_kind:     by_value
      - .offset:         8
        .size:           4
        .value_kind:     by_value
      - .offset:         12
        .size:           4
        .value_kind:     by_value
      - .offset:         16
        .size:           4
        .value_kind:     by_value
      - .offset:         24
        .size:           16
        .value_kind:     by_value
      - .address_space:  global
        .offset:         40
        .size:           8
        .value_kind:     global_buffer
      - .offset:         48
        .size:           8
        .value_kind:     by_value
      - .offset:         56
        .size:           4
        .value_kind:     by_value
      - .offset:         64
        .size:           8
        .value_kind:     by_value
      - .address_space:  global
        .offset:         72
        .size:           8
        .value_kind:     global_buffer
      - .offset:         80
        .size:           8
        .value_kind:     by_value
      - .offset:         88
        .size:           4
        .value_kind:     by_value
      - .offset:         96
        .size:           8
        .value_kind:     by_value
      - .offset:         104
        .size:           4
        .value_kind:     by_value
      - .offset:         112
        .size:           4
        .value_kind:     hidden_block_count_x
      - .offset:         116
        .size:           4
        .value_kind:     hidden_block_count_y
      - .offset:         120
        .size:           4
        .value_kind:     hidden_block_count_z
      - .offset:         124
        .size:           2
        .value_kind:     hidden_group_size_x
      - .offset:         126
        .size:           2
        .value_kind:     hidden_group_size_y
      - .offset:         128
        .size:           2
        .value_kind:     hidden_group_size_z
      - .offset:         130
        .size:           2
        .value_kind:     hidden_remainder_x
      - .offset:         132
        .size:           2
        .value_kind:     hidden_remainder_y
      - .offset:         134
        .size:           2
        .value_kind:     hidden_remainder_z
      - .offset:         152
        .size:           8
        .value_kind:     hidden_global_offset_x
      - .offset:         160
        .size:           8
        .value_kind:     hidden_global_offset_y
      - .offset:         168
        .size:           8
        .value_kind:     hidden_global_offset_z
      - .offset:         176
        .size:           2
        .value_kind:     hidden_grid_dims
    .group_segment_fixed_size: 4608
    .kernarg_segment_align: 8
    .kernarg_segment_size: 368
    .language:       OpenCL C
    .language_version:
      - 2
      - 0
    .max_flat_workgroup_size: 12
    .name:           _ZL38rocblas_trsm_small_left_device_sharedBILi12ELi12ELb1E19rocblas_complex_numIdES1_PKS1_PS1_Ev13rocblas_fill_18rocblas_operation_17rocblas_diagonal_iiT3_T4_lilT5_lili
    .private_segment_fixed_size: 208
    .sgpr_count:     42
    .sgpr_spill_count: 0
    .symbol:         _ZL38rocblas_trsm_small_left_device_sharedBILi12ELi12ELb1E19rocblas_complex_numIdES1_PKS1_PS1_Ev13rocblas_fill_18rocblas_operation_17rocblas_diagonal_iiT3_T4_lilT5_lili.kd
    .uniform_work_group_size: 1
    .uses_dynamic_stack: false
    .vgpr_count:     19
    .vgpr_spill_count: 0
    .wavefront_size: 64
  - .args:
      - .offset:         0
        .size:           4
        .value_kind:     by_value
      - .offset:         4
        .size:           4
        .value_kind:     by_value
      - .offset:         8
        .size:           4
        .value_kind:     by_value
      - .offset:         12
        .size:           4
        .value_kind:     by_value
      - .offset:         16
        .size:           4
        .value_kind:     by_value
      - .offset:         24
        .size:           16
        .value_kind:     by_value
      - .address_space:  global
        .offset:         40
        .size:           8
        .value_kind:     global_buffer
      - .offset:         48
        .size:           8
        .value_kind:     by_value
      - .offset:         56
        .size:           4
        .value_kind:     by_value
      - .offset:         64
        .size:           8
        .value_kind:     by_value
      - .address_space:  global
        .offset:         72
        .size:           8
        .value_kind:     global_buffer
      - .offset:         80
        .size:           8
        .value_kind:     by_value
      - .offset:         88
        .size:           4
        .value_kind:     by_value
      - .offset:         96
        .size:           8
        .value_kind:     by_value
      - .offset:         104
        .size:           4
        .value_kind:     by_value
      - .offset:         112
        .size:           4
        .value_kind:     hidden_block_count_x
      - .offset:         116
        .size:           4
        .value_kind:     hidden_block_count_y
      - .offset:         120
        .size:           4
        .value_kind:     hidden_block_count_z
      - .offset:         124
        .size:           2
        .value_kind:     hidden_group_size_x
      - .offset:         126
        .size:           2
        .value_kind:     hidden_group_size_y
      - .offset:         128
        .size:           2
        .value_kind:     hidden_group_size_z
      - .offset:         130
        .size:           2
        .value_kind:     hidden_remainder_x
      - .offset:         132
        .size:           2
        .value_kind:     hidden_remainder_y
      - .offset:         134
        .size:           2
        .value_kind:     hidden_remainder_z
      - .offset:         152
        .size:           8
        .value_kind:     hidden_global_offset_x
      - .offset:         160
        .size:           8
        .value_kind:     hidden_global_offset_y
      - .offset:         168
        .size:           8
        .value_kind:     hidden_global_offset_z
      - .offset:         176
        .size:           2
        .value_kind:     hidden_grid_dims
    .group_segment_fixed_size: 2304
    .kernarg_segment_align: 8
    .kernarg_segment_size: 368
    .language:       OpenCL C
    .language_version:
      - 2
      - 0
    .max_flat_workgroup_size: 12
    .name:           _ZL30rocblas_trsm_small_left_deviceILi12ELi12ELb1E19rocblas_complex_numIdES1_PKS1_PS1_Ev13rocblas_fill_18rocblas_operation_17rocblas_diagonal_iiT3_T4_lilT5_lili
    .private_segment_fixed_size: 208
    .sgpr_count:     41
    .sgpr_spill_count: 0
    .symbol:         _ZL30rocblas_trsm_small_left_deviceILi12ELi12ELb1E19rocblas_complex_numIdES1_PKS1_PS1_Ev13rocblas_fill_18rocblas_operation_17rocblas_diagonal_iiT3_T4_lilT5_lili.kd
    .uniform_work_group_size: 1
    .uses_dynamic_stack: false
    .vgpr_count:     21
    .vgpr_spill_count: 0
    .wavefront_size: 64
  - .args:
      - .offset:         0
        .size:           4
        .value_kind:     by_value
      - .offset:         4
        .size:           4
        .value_kind:     by_value
      - .offset:         8
        .size:           4
        .value_kind:     by_value
      - .offset:         12
        .size:           4
        .value_kind:     by_value
      - .offset:         16
        .size:           4
        .value_kind:     by_value
      - .offset:         24
        .size:           16
        .value_kind:     by_value
      - .address_space:  global
        .offset:         40
        .size:           8
        .value_kind:     global_buffer
      - .offset:         48
        .size:           8
        .value_kind:     by_value
      - .offset:         56
        .size:           4
        .value_kind:     by_value
      - .offset:         64
        .size:           8
        .value_kind:     by_value
      - .address_space:  global
        .offset:         72
        .size:           8
        .value_kind:     global_buffer
      - .offset:         80
        .size:           8
        .value_kind:     by_value
      - .offset:         88
        .size:           4
        .value_kind:     by_value
      - .offset:         96
        .size:           8
        .value_kind:     by_value
      - .offset:         104
        .size:           4
        .value_kind:     by_value
      - .offset:         112
        .size:           4
        .value_kind:     hidden_block_count_x
      - .offset:         116
        .size:           4
        .value_kind:     hidden_block_count_y
      - .offset:         120
        .size:           4
        .value_kind:     hidden_block_count_z
      - .offset:         124
        .size:           2
        .value_kind:     hidden_group_size_x
      - .offset:         126
        .size:           2
        .value_kind:     hidden_group_size_y
      - .offset:         128
        .size:           2
        .value_kind:     hidden_group_size_z
      - .offset:         130
        .size:           2
        .value_kind:     hidden_remainder_x
      - .offset:         132
        .size:           2
        .value_kind:     hidden_remainder_y
      - .offset:         134
        .size:           2
        .value_kind:     hidden_remainder_z
      - .offset:         152
        .size:           8
        .value_kind:     hidden_global_offset_x
      - .offset:         160
        .size:           8
        .value_kind:     hidden_global_offset_y
      - .offset:         168
        .size:           8
        .value_kind:     hidden_global_offset_z
      - .offset:         176
        .size:           2
        .value_kind:     hidden_grid_dims
    .group_segment_fixed_size: 4608
    .kernarg_segment_align: 8
    .kernarg_segment_size: 368
    .language:       OpenCL C
    .language_version:
      - 2
      - 0
    .max_flat_workgroup_size: 12
    .name:           _ZL31rocblas_trsm_small_right_deviceI19rocblas_complex_numIdES1_PKS1_PS1_Li12EEv13rocblas_fill_18rocblas_operation_17rocblas_diagonal_iiT0_T1_lilT2_lili
    .private_segment_fixed_size: 0
    .sgpr_count:     33
    .sgpr_spill_count: 0
    .symbol:         _ZL31rocblas_trsm_small_right_deviceI19rocblas_complex_numIdES1_PKS1_PS1_Li12EEv13rocblas_fill_18rocblas_operation_17rocblas_diagonal_iiT0_T1_lilT2_lili.kd
    .uniform_work_group_size: 1
    .uses_dynamic_stack: false
    .vgpr_count:     53
    .vgpr_spill_count: 0
    .wavefront_size: 64
  - .args:
      - .offset:         0
        .size:           4
        .value_kind:     by_value
      - .offset:         4
        .size:           4
        .value_kind:     by_value
      - .offset:         8
        .size:           4
        .value_kind:     by_value
      - .offset:         12
        .size:           4
        .value_kind:     by_value
      - .offset:         16
        .size:           4
        .value_kind:     by_value
      - .offset:         24
        .size:           16
        .value_kind:     by_value
      - .address_space:  global
        .offset:         40
        .size:           8
        .value_kind:     global_buffer
      - .offset:         48
        .size:           8
        .value_kind:     by_value
      - .offset:         56
        .size:           4
        .value_kind:     by_value
      - .offset:         64
        .size:           8
        .value_kind:     by_value
      - .address_space:  global
        .offset:         72
        .size:           8
        .value_kind:     global_buffer
      - .offset:         80
        .size:           8
        .value_kind:     by_value
      - .offset:         88
        .size:           4
        .value_kind:     by_value
      - .offset:         96
        .size:           8
        .value_kind:     by_value
      - .offset:         104
        .size:           4
        .value_kind:     by_value
      - .offset:         112
        .size:           4
        .value_kind:     hidden_block_count_x
      - .offset:         116
        .size:           4
        .value_kind:     hidden_block_count_y
      - .offset:         120
        .size:           4
        .value_kind:     hidden_block_count_z
      - .offset:         124
        .size:           2
        .value_kind:     hidden_group_size_x
      - .offset:         126
        .size:           2
        .value_kind:     hidden_group_size_y
      - .offset:         128
        .size:           2
        .value_kind:     hidden_group_size_z
      - .offset:         130
        .size:           2
        .value_kind:     hidden_remainder_x
      - .offset:         132
        .size:           2
        .value_kind:     hidden_remainder_y
      - .offset:         134
        .size:           2
        .value_kind:     hidden_remainder_z
      - .offset:         152
        .size:           8
        .value_kind:     hidden_global_offset_x
      - .offset:         160
        .size:           8
        .value_kind:     hidden_global_offset_y
      - .offset:         168
        .size:           8
        .value_kind:     hidden_global_offset_z
      - .offset:         176
        .size:           2
        .value_kind:     hidden_grid_dims
    .group_segment_fixed_size: 8192
    .kernarg_segment_align: 8
    .kernarg_segment_size: 368
    .language:       OpenCL C
    .language_version:
      - 2
      - 0
    .max_flat_workgroup_size: 16
    .name:           _ZL38rocblas_trsm_small_left_device_sharedBILi16ELi16ELb0E19rocblas_complex_numIdES1_PKS1_PS1_Ev13rocblas_fill_18rocblas_operation_17rocblas_diagonal_iiT3_T4_lilT5_lili
    .private_segment_fixed_size: 272
    .sgpr_count:     41
    .sgpr_spill_count: 0
    .symbol:         _ZL38rocblas_trsm_small_left_device_sharedBILi16ELi16ELb0E19rocblas_complex_numIdES1_PKS1_PS1_Ev13rocblas_fill_18rocblas_operation_17rocblas_diagonal_iiT3_T4_lilT5_lili.kd
    .uniform_work_group_size: 1
    .uses_dynamic_stack: false
    .vgpr_count:     19
    .vgpr_spill_count: 0
    .wavefront_size: 64
  - .args:
      - .offset:         0
        .size:           4
        .value_kind:     by_value
      - .offset:         4
        .size:           4
        .value_kind:     by_value
      - .offset:         8
        .size:           4
        .value_kind:     by_value
      - .offset:         12
        .size:           4
        .value_kind:     by_value
      - .offset:         16
        .size:           4
        .value_kind:     by_value
      - .offset:         24
        .size:           16
        .value_kind:     by_value
      - .address_space:  global
        .offset:         40
        .size:           8
        .value_kind:     global_buffer
      - .offset:         48
        .size:           8
        .value_kind:     by_value
      - .offset:         56
        .size:           4
        .value_kind:     by_value
      - .offset:         64
        .size:           8
        .value_kind:     by_value
      - .address_space:  global
        .offset:         72
        .size:           8
        .value_kind:     global_buffer
      - .offset:         80
        .size:           8
        .value_kind:     by_value
      - .offset:         88
        .size:           4
        .value_kind:     by_value
      - .offset:         96
        .size:           8
        .value_kind:     by_value
      - .offset:         104
        .size:           4
        .value_kind:     by_value
      - .offset:         112
        .size:           4
        .value_kind:     hidden_block_count_x
      - .offset:         116
        .size:           4
        .value_kind:     hidden_block_count_y
      - .offset:         120
        .size:           4
        .value_kind:     hidden_block_count_z
      - .offset:         124
        .size:           2
        .value_kind:     hidden_group_size_x
      - .offset:         126
        .size:           2
        .value_kind:     hidden_group_size_y
      - .offset:         128
        .size:           2
        .value_kind:     hidden_group_size_z
      - .offset:         130
        .size:           2
        .value_kind:     hidden_remainder_x
      - .offset:         132
        .size:           2
        .value_kind:     hidden_remainder_y
      - .offset:         134
        .size:           2
        .value_kind:     hidden_remainder_z
      - .offset:         152
        .size:           8
        .value_kind:     hidden_global_offset_x
      - .offset:         160
        .size:           8
        .value_kind:     hidden_global_offset_y
      - .offset:         168
        .size:           8
        .value_kind:     hidden_global_offset_z
      - .offset:         176
        .size:           2
        .value_kind:     hidden_grid_dims
    .group_segment_fixed_size: 4096
    .kernarg_segment_align: 8
    .kernarg_segment_size: 368
    .language:       OpenCL C
    .language_version:
      - 2
      - 0
    .max_flat_workgroup_size: 16
    .name:           _ZL30rocblas_trsm_small_left_deviceILi16ELi16ELb0E19rocblas_complex_numIdES1_PKS1_PS1_Ev13rocblas_fill_18rocblas_operation_17rocblas_diagonal_iiT3_T4_lilT5_lili
    .private_segment_fixed_size: 272
    .sgpr_count:     39
    .sgpr_spill_count: 0
    .symbol:         _ZL30rocblas_trsm_small_left_deviceILi16ELi16ELb0E19rocblas_complex_numIdES1_PKS1_PS1_Ev13rocblas_fill_18rocblas_operation_17rocblas_diagonal_iiT3_T4_lilT5_lili.kd
    .uniform_work_group_size: 1
    .uses_dynamic_stack: false
    .vgpr_count:     23
    .vgpr_spill_count: 0
    .wavefront_size: 64
  - .args:
      - .offset:         0
        .size:           4
        .value_kind:     by_value
      - .offset:         4
        .size:           4
        .value_kind:     by_value
      - .offset:         8
        .size:           4
        .value_kind:     by_value
      - .offset:         12
        .size:           4
        .value_kind:     by_value
      - .offset:         16
        .size:           4
        .value_kind:     by_value
      - .offset:         24
        .size:           16
        .value_kind:     by_value
      - .address_space:  global
        .offset:         40
        .size:           8
        .value_kind:     global_buffer
      - .offset:         48
        .size:           8
        .value_kind:     by_value
      - .offset:         56
        .size:           4
        .value_kind:     by_value
      - .offset:         64
        .size:           8
        .value_kind:     by_value
      - .address_space:  global
        .offset:         72
        .size:           8
        .value_kind:     global_buffer
      - .offset:         80
        .size:           8
        .value_kind:     by_value
      - .offset:         88
        .size:           4
        .value_kind:     by_value
      - .offset:         96
        .size:           8
        .value_kind:     by_value
      - .offset:         104
        .size:           4
        .value_kind:     by_value
      - .offset:         112
        .size:           4
        .value_kind:     hidden_block_count_x
      - .offset:         116
        .size:           4
        .value_kind:     hidden_block_count_y
      - .offset:         120
        .size:           4
        .value_kind:     hidden_block_count_z
      - .offset:         124
        .size:           2
        .value_kind:     hidden_group_size_x
      - .offset:         126
        .size:           2
        .value_kind:     hidden_group_size_y
      - .offset:         128
        .size:           2
        .value_kind:     hidden_group_size_z
      - .offset:         130
        .size:           2
        .value_kind:     hidden_remainder_x
      - .offset:         132
        .size:           2
        .value_kind:     hidden_remainder_y
      - .offset:         134
        .size:           2
        .value_kind:     hidden_remainder_z
      - .offset:         152
        .size:           8
        .value_kind:     hidden_global_offset_x
      - .offset:         160
        .size:           8
        .value_kind:     hidden_global_offset_y
      - .offset:         168
        .size:           8
        .value_kind:     hidden_global_offset_z
      - .offset:         176
        .size:           2
        .value_kind:     hidden_grid_dims
    .group_segment_fixed_size: 8192
    .kernarg_segment_align: 8
    .kernarg_segment_size: 368
    .language:       OpenCL C
    .language_version:
      - 2
      - 0
    .max_flat_workgroup_size: 16
    .name:           _ZL38rocblas_trsm_small_left_device_sharedBILi16ELi16ELb1E19rocblas_complex_numIdES1_PKS1_PS1_Ev13rocblas_fill_18rocblas_operation_17rocblas_diagonal_iiT3_T4_lilT5_lili
    .private_segment_fixed_size: 272
    .sgpr_count:     42
    .sgpr_spill_count: 0
    .symbol:         _ZL38rocblas_trsm_small_left_device_sharedBILi16ELi16ELb1E19rocblas_complex_numIdES1_PKS1_PS1_Ev13rocblas_fill_18rocblas_operation_17rocblas_diagonal_iiT3_T4_lilT5_lili.kd
    .uniform_work_group_size: 1
    .uses_dynamic_stack: false
    .vgpr_count:     19
    .vgpr_spill_count: 0
    .wavefront_size: 64
  - .args:
      - .offset:         0
        .size:           4
        .value_kind:     by_value
      - .offset:         4
        .size:           4
        .value_kind:     by_value
      - .offset:         8
        .size:           4
        .value_kind:     by_value
      - .offset:         12
        .size:           4
        .value_kind:     by_value
      - .offset:         16
        .size:           4
        .value_kind:     by_value
      - .offset:         24
        .size:           16
        .value_kind:     by_value
      - .address_space:  global
        .offset:         40
        .size:           8
        .value_kind:     global_buffer
      - .offset:         48
        .size:           8
        .value_kind:     by_value
      - .offset:         56
        .size:           4
        .value_kind:     by_value
      - .offset:         64
        .size:           8
        .value_kind:     by_value
      - .address_space:  global
        .offset:         72
        .size:           8
        .value_kind:     global_buffer
      - .offset:         80
        .size:           8
        .value_kind:     by_value
      - .offset:         88
        .size:           4
        .value_kind:     by_value
      - .offset:         96
        .size:           8
        .value_kind:     by_value
      - .offset:         104
        .size:           4
        .value_kind:     by_value
      - .offset:         112
        .size:           4
        .value_kind:     hidden_block_count_x
      - .offset:         116
        .size:           4
        .value_kind:     hidden_block_count_y
      - .offset:         120
        .size:           4
        .value_kind:     hidden_block_count_z
      - .offset:         124
        .size:           2
        .value_kind:     hidden_group_size_x
      - .offset:         126
        .size:           2
        .value_kind:     hidden_group_size_y
      - .offset:         128
        .size:           2
        .value_kind:     hidden_group_size_z
      - .offset:         130
        .size:           2
        .value_kind:     hidden_remainder_x
      - .offset:         132
        .size:           2
        .value_kind:     hidden_remainder_y
      - .offset:         134
        .size:           2
        .value_kind:     hidden_remainder_z
      - .offset:         152
        .size:           8
        .value_kind:     hidden_global_offset_x
      - .offset:         160
        .size:           8
        .value_kind:     hidden_global_offset_y
      - .offset:         168
        .size:           8
        .value_kind:     hidden_global_offset_z
      - .offset:         176
        .size:           2
        .value_kind:     hidden_grid_dims
    .group_segment_fixed_size: 4096
    .kernarg_segment_align: 8
    .kernarg_segment_size: 368
    .language:       OpenCL C
    .language_version:
      - 2
      - 0
    .max_flat_workgroup_size: 16
    .name:           _ZL30rocblas_trsm_small_left_deviceILi16ELi16ELb1E19rocblas_complex_numIdES1_PKS1_PS1_Ev13rocblas_fill_18rocblas_operation_17rocblas_diagonal_iiT3_T4_lilT5_lili
    .private_segment_fixed_size: 272
    .sgpr_count:     41
    .sgpr_spill_count: 0
    .symbol:         _ZL30rocblas_trsm_small_left_deviceILi16ELi16ELb1E19rocblas_complex_numIdES1_PKS1_PS1_Ev13rocblas_fill_18rocblas_operation_17rocblas_diagonal_iiT3_T4_lilT5_lili.kd
    .uniform_work_group_size: 1
    .uses_dynamic_stack: false
    .vgpr_count:     21
    .vgpr_spill_count: 0
    .wavefront_size: 64
  - .args:
      - .offset:         0
        .size:           4
        .value_kind:     by_value
      - .offset:         4
        .size:           4
        .value_kind:     by_value
      - .offset:         8
        .size:           4
        .value_kind:     by_value
      - .offset:         12
        .size:           4
        .value_kind:     by_value
      - .offset:         16
        .size:           4
        .value_kind:     by_value
      - .offset:         24
        .size:           16
        .value_kind:     by_value
      - .address_space:  global
        .offset:         40
        .size:           8
        .value_kind:     global_buffer
      - .offset:         48
        .size:           8
        .value_kind:     by_value
      - .offset:         56
        .size:           4
        .value_kind:     by_value
      - .offset:         64
        .size:           8
        .value_kind:     by_value
      - .address_space:  global
        .offset:         72
        .size:           8
        .value_kind:     global_buffer
      - .offset:         80
        .size:           8
        .value_kind:     by_value
      - .offset:         88
        .size:           4
        .value_kind:     by_value
      - .offset:         96
        .size:           8
        .value_kind:     by_value
      - .offset:         104
        .size:           4
        .value_kind:     by_value
      - .offset:         112
        .size:           4
        .value_kind:     hidden_block_count_x
      - .offset:         116
        .size:           4
        .value_kind:     hidden_block_count_y
      - .offset:         120
        .size:           4
        .value_kind:     hidden_block_count_z
      - .offset:         124
        .size:           2
        .value_kind:     hidden_group_size_x
      - .offset:         126
        .size:           2
        .value_kind:     hidden_group_size_y
      - .offset:         128
        .size:           2
        .value_kind:     hidden_group_size_z
      - .offset:         130
        .size:           2
        .value_kind:     hidden_remainder_x
      - .offset:         132
        .size:           2
        .value_kind:     hidden_remainder_y
      - .offset:         134
        .size:           2
        .value_kind:     hidden_remainder_z
      - .offset:         152
        .size:           8
        .value_kind:     hidden_global_offset_x
      - .offset:         160
        .size:           8
        .value_kind:     hidden_global_offset_y
      - .offset:         168
        .size:           8
        .value_kind:     hidden_global_offset_z
      - .offset:         176
        .size:           2
        .value_kind:     hidden_grid_dims
    .group_segment_fixed_size: 8192
    .kernarg_segment_align: 8
    .kernarg_segment_size: 368
    .language:       OpenCL C
    .language_version:
      - 2
      - 0
    .max_flat_workgroup_size: 16
    .name:           _ZL31rocblas_trsm_small_right_deviceI19rocblas_complex_numIdES1_PKS1_PS1_Li16EEv13rocblas_fill_18rocblas_operation_17rocblas_diagonal_iiT0_T1_lilT2_lili
    .private_segment_fixed_size: 0
    .sgpr_count:     34
    .sgpr_spill_count: 0
    .symbol:         _ZL31rocblas_trsm_small_right_deviceI19rocblas_complex_numIdES1_PKS1_PS1_Li16EEv13rocblas_fill_18rocblas_operation_17rocblas_diagonal_iiT0_T1_lilT2_lili.kd
    .uniform_work_group_size: 1
    .uses_dynamic_stack: false
    .vgpr_count:     53
    .vgpr_spill_count: 0
    .wavefront_size: 64
  - .args:
      - .offset:         0
        .size:           4
        .value_kind:     by_value
      - .offset:         4
        .size:           4
        .value_kind:     by_value
      - .offset:         8
        .size:           4
        .value_kind:     by_value
      - .offset:         12
        .size:           4
        .value_kind:     by_value
      - .offset:         16
        .size:           4
        .value_kind:     by_value
      - .offset:         24
        .size:           16
        .value_kind:     by_value
      - .address_space:  global
        .offset:         40
        .size:           8
        .value_kind:     global_buffer
      - .offset:         48
        .size:           8
        .value_kind:     by_value
      - .offset:         56
        .size:           4
        .value_kind:     by_value
      - .offset:         64
        .size:           8
        .value_kind:     by_value
      - .address_space:  global
        .offset:         72
        .size:           8
        .value_kind:     global_buffer
      - .offset:         80
        .size:           8
        .value_kind:     by_value
      - .offset:         88
        .size:           4
        .value_kind:     by_value
      - .offset:         96
        .size:           8
        .value_kind:     by_value
      - .offset:         104
        .size:           4
        .value_kind:     by_value
      - .offset:         112
        .size:           4
        .value_kind:     hidden_block_count_x
      - .offset:         116
        .size:           4
        .value_kind:     hidden_block_count_y
      - .offset:         120
        .size:           4
        .value_kind:     hidden_block_count_z
      - .offset:         124
        .size:           2
        .value_kind:     hidden_group_size_x
      - .offset:         126
        .size:           2
        .value_kind:     hidden_group_size_y
      - .offset:         128
        .size:           2
        .value_kind:     hidden_group_size_z
      - .offset:         130
        .size:           2
        .value_kind:     hidden_remainder_x
      - .offset:         132
        .size:           2
        .value_kind:     hidden_remainder_y
      - .offset:         134
        .size:           2
        .value_kind:     hidden_remainder_z
      - .offset:         152
        .size:           8
        .value_kind:     hidden_global_offset_x
      - .offset:         160
        .size:           8
        .value_kind:     hidden_global_offset_y
      - .offset:         168
        .size:           8
        .value_kind:     hidden_global_offset_z
      - .offset:         176
        .size:           2
        .value_kind:     hidden_grid_dims
    .group_segment_fixed_size: 12800
    .kernarg_segment_align: 8
    .kernarg_segment_size: 368
    .language:       OpenCL C
    .language_version:
      - 2
      - 0
    .max_flat_workgroup_size: 20
    .name:           _ZL38rocblas_trsm_small_left_device_sharedBILi20ELi20ELb0E19rocblas_complex_numIdES1_PKS1_PS1_Ev13rocblas_fill_18rocblas_operation_17rocblas_diagonal_iiT3_T4_lilT5_lili
    .private_segment_fixed_size: 336
    .sgpr_count:     41
    .sgpr_spill_count: 0
    .symbol:         _ZL38rocblas_trsm_small_left_device_sharedBILi20ELi20ELb0E19rocblas_complex_numIdES1_PKS1_PS1_Ev13rocblas_fill_18rocblas_operation_17rocblas_diagonal_iiT3_T4_lilT5_lili.kd
    .uniform_work_group_size: 1
    .uses_dynamic_stack: false
    .vgpr_count:     19
    .vgpr_spill_count: 0
    .wavefront_size: 64
  - .args:
      - .offset:         0
        .size:           4
        .value_kind:     by_value
      - .offset:         4
        .size:           4
        .value_kind:     by_value
      - .offset:         8
        .size:           4
        .value_kind:     by_value
      - .offset:         12
        .size:           4
        .value_kind:     by_value
      - .offset:         16
        .size:           4
        .value_kind:     by_value
      - .offset:         24
        .size:           16
        .value_kind:     by_value
      - .address_space:  global
        .offset:         40
        .size:           8
        .value_kind:     global_buffer
      - .offset:         48
        .size:           8
        .value_kind:     by_value
      - .offset:         56
        .size:           4
        .value_kind:     by_value
      - .offset:         64
        .size:           8
        .value_kind:     by_value
      - .address_space:  global
        .offset:         72
        .size:           8
        .value_kind:     global_buffer
      - .offset:         80
        .size:           8
        .value_kind:     by_value
      - .offset:         88
        .size:           4
        .value_kind:     by_value
      - .offset:         96
        .size:           8
        .value_kind:     by_value
      - .offset:         104
        .size:           4
        .value_kind:     by_value
      - .offset:         112
        .size:           4
        .value_kind:     hidden_block_count_x
      - .offset:         116
        .size:           4
        .value_kind:     hidden_block_count_y
      - .offset:         120
        .size:           4
        .value_kind:     hidden_block_count_z
      - .offset:         124
        .size:           2
        .value_kind:     hidden_group_size_x
      - .offset:         126
        .size:           2
        .value_kind:     hidden_group_size_y
      - .offset:         128
        .size:           2
        .value_kind:     hidden_group_size_z
      - .offset:         130
        .size:           2
        .value_kind:     hidden_remainder_x
      - .offset:         132
        .size:           2
        .value_kind:     hidden_remainder_y
      - .offset:         134
        .size:           2
        .value_kind:     hidden_remainder_z
      - .offset:         152
        .size:           8
        .value_kind:     hidden_global_offset_x
      - .offset:         160
        .size:           8
        .value_kind:     hidden_global_offset_y
      - .offset:         168
        .size:           8
        .value_kind:     hidden_global_offset_z
      - .offset:         176
        .size:           2
        .value_kind:     hidden_grid_dims
    .group_segment_fixed_size: 6400
    .kernarg_segment_align: 8
    .kernarg_segment_size: 368
    .language:       OpenCL C
    .language_version:
      - 2
      - 0
    .max_flat_workgroup_size: 20
    .name:           _ZL30rocblas_trsm_small_left_deviceILi20ELi20ELb0E19rocblas_complex_numIdES1_PKS1_PS1_Ev13rocblas_fill_18rocblas_operation_17rocblas_diagonal_iiT3_T4_lilT5_lili
    .private_segment_fixed_size: 336
    .sgpr_count:     36
    .sgpr_spill_count: 0
    .symbol:         _ZL30rocblas_trsm_small_left_deviceILi20ELi20ELb0E19rocblas_complex_numIdES1_PKS1_PS1_Ev13rocblas_fill_18rocblas_operation_17rocblas_diagonal_iiT3_T4_lilT5_lili.kd
    .uniform_work_group_size: 1
    .uses_dynamic_stack: false
    .vgpr_count:     24
    .vgpr_spill_count: 0
    .wavefront_size: 64
  - .args:
      - .offset:         0
        .size:           4
        .value_kind:     by_value
      - .offset:         4
        .size:           4
        .value_kind:     by_value
      - .offset:         8
        .size:           4
        .value_kind:     by_value
      - .offset:         12
        .size:           4
        .value_kind:     by_value
      - .offset:         16
        .size:           4
        .value_kind:     by_value
      - .offset:         24
        .size:           16
        .value_kind:     by_value
      - .address_space:  global
        .offset:         40
        .size:           8
        .value_kind:     global_buffer
      - .offset:         48
        .size:           8
        .value_kind:     by_value
      - .offset:         56
        .size:           4
        .value_kind:     by_value
      - .offset:         64
        .size:           8
        .value_kind:     by_value
      - .address_space:  global
        .offset:         72
        .size:           8
        .value_kind:     global_buffer
      - .offset:         80
        .size:           8
        .value_kind:     by_value
      - .offset:         88
        .size:           4
        .value_kind:     by_value
      - .offset:         96
        .size:           8
        .value_kind:     by_value
      - .offset:         104
        .size:           4
        .value_kind:     by_value
      - .offset:         112
        .size:           4
        .value_kind:     hidden_block_count_x
      - .offset:         116
        .size:           4
        .value_kind:     hidden_block_count_y
      - .offset:         120
        .size:           4
        .value_kind:     hidden_block_count_z
      - .offset:         124
        .size:           2
        .value_kind:     hidden_group_size_x
      - .offset:         126
        .size:           2
        .value_kind:     hidden_group_size_y
      - .offset:         128
        .size:           2
        .value_kind:     hidden_group_size_z
      - .offset:         130
        .size:           2
        .value_kind:     hidden_remainder_x
      - .offset:         132
        .size:           2
        .value_kind:     hidden_remainder_y
      - .offset:         134
        .size:           2
        .value_kind:     hidden_remainder_z
      - .offset:         152
        .size:           8
        .value_kind:     hidden_global_offset_x
      - .offset:         160
        .size:           8
        .value_kind:     hidden_global_offset_y
      - .offset:         168
        .size:           8
        .value_kind:     hidden_global_offset_z
      - .offset:         176
        .size:           2
        .value_kind:     hidden_grid_dims
    .group_segment_fixed_size: 12800
    .kernarg_segment_align: 8
    .kernarg_segment_size: 368
    .language:       OpenCL C
    .language_version:
      - 2
      - 0
    .max_flat_workgroup_size: 20
    .name:           _ZL38rocblas_trsm_small_left_device_sharedBILi20ELi20ELb1E19rocblas_complex_numIdES1_PKS1_PS1_Ev13rocblas_fill_18rocblas_operation_17rocblas_diagonal_iiT3_T4_lilT5_lili
    .private_segment_fixed_size: 336
    .sgpr_count:     42
    .sgpr_spill_count: 0
    .symbol:         _ZL38rocblas_trsm_small_left_device_sharedBILi20ELi20ELb1E19rocblas_complex_numIdES1_PKS1_PS1_Ev13rocblas_fill_18rocblas_operation_17rocblas_diagonal_iiT3_T4_lilT5_lili.kd
    .uniform_work_group_size: 1
    .uses_dynamic_stack: false
    .vgpr_count:     19
    .vgpr_spill_count: 0
    .wavefront_size: 64
  - .args:
      - .offset:         0
        .size:           4
        .value_kind:     by_value
      - .offset:         4
        .size:           4
        .value_kind:     by_value
      - .offset:         8
        .size:           4
        .value_kind:     by_value
      - .offset:         12
        .size:           4
        .value_kind:     by_value
      - .offset:         16
        .size:           4
        .value_kind:     by_value
      - .offset:         24
        .size:           16
        .value_kind:     by_value
      - .address_space:  global
        .offset:         40
        .size:           8
        .value_kind:     global_buffer
      - .offset:         48
        .size:           8
        .value_kind:     by_value
      - .offset:         56
        .size:           4
        .value_kind:     by_value
      - .offset:         64
        .size:           8
        .value_kind:     by_value
      - .address_space:  global
        .offset:         72
        .size:           8
        .value_kind:     global_buffer
      - .offset:         80
        .size:           8
        .value_kind:     by_value
      - .offset:         88
        .size:           4
        .value_kind:     by_value
      - .offset:         96
        .size:           8
        .value_kind:     by_value
      - .offset:         104
        .size:           4
        .value_kind:     by_value
      - .offset:         112
        .size:           4
        .value_kind:     hidden_block_count_x
      - .offset:         116
        .size:           4
        .value_kind:     hidden_block_count_y
      - .offset:         120
        .size:           4
        .value_kind:     hidden_block_count_z
      - .offset:         124
        .size:           2
        .value_kind:     hidden_group_size_x
      - .offset:         126
        .size:           2
        .value_kind:     hidden_group_size_y
      - .offset:         128
        .size:           2
        .value_kind:     hidden_group_size_z
      - .offset:         130
        .size:           2
        .value_kind:     hidden_remainder_x
      - .offset:         132
        .size:           2
        .value_kind:     hidden_remainder_y
      - .offset:         134
        .size:           2
        .value_kind:     hidden_remainder_z
      - .offset:         152
        .size:           8
        .value_kind:     hidden_global_offset_x
      - .offset:         160
        .size:           8
        .value_kind:     hidden_global_offset_y
      - .offset:         168
        .size:           8
        .value_kind:     hidden_global_offset_z
      - .offset:         176
        .size:           2
        .value_kind:     hidden_grid_dims
    .group_segment_fixed_size: 6400
    .kernarg_segment_align: 8
    .kernarg_segment_size: 368
    .language:       OpenCL C
    .language_version:
      - 2
      - 0
    .max_flat_workgroup_size: 20
    .name:           _ZL30rocblas_trsm_small_left_deviceILi20ELi20ELb1E19rocblas_complex_numIdES1_PKS1_PS1_Ev13rocblas_fill_18rocblas_operation_17rocblas_diagonal_iiT3_T4_lilT5_lili
    .private_segment_fixed_size: 336
    .sgpr_count:     41
    .sgpr_spill_count: 0
    .symbol:         _ZL30rocblas_trsm_small_left_deviceILi20ELi20ELb1E19rocblas_complex_numIdES1_PKS1_PS1_Ev13rocblas_fill_18rocblas_operation_17rocblas_diagonal_iiT3_T4_lilT5_lili.kd
    .uniform_work_group_size: 1
    .uses_dynamic_stack: false
    .vgpr_count:     22
    .vgpr_spill_count: 0
    .wavefront_size: 64
  - .args:
      - .offset:         0
        .size:           4
        .value_kind:     by_value
      - .offset:         4
        .size:           4
        .value_kind:     by_value
      - .offset:         8
        .size:           4
        .value_kind:     by_value
      - .offset:         12
        .size:           4
        .value_kind:     by_value
      - .offset:         16
        .size:           4
        .value_kind:     by_value
      - .offset:         24
        .size:           16
        .value_kind:     by_value
      - .address_space:  global
        .offset:         40
        .size:           8
        .value_kind:     global_buffer
      - .offset:         48
        .size:           8
        .value_kind:     by_value
      - .offset:         56
        .size:           4
        .value_kind:     by_value
      - .offset:         64
        .size:           8
        .value_kind:     by_value
      - .address_space:  global
        .offset:         72
        .size:           8
        .value_kind:     global_buffer
      - .offset:         80
        .size:           8
        .value_kind:     by_value
      - .offset:         88
        .size:           4
        .value_kind:     by_value
      - .offset:         96
        .size:           8
        .value_kind:     by_value
      - .offset:         104
        .size:           4
        .value_kind:     by_value
      - .offset:         112
        .size:           4
        .value_kind:     hidden_block_count_x
      - .offset:         116
        .size:           4
        .value_kind:     hidden_block_count_y
      - .offset:         120
        .size:           4
        .value_kind:     hidden_block_count_z
      - .offset:         124
        .size:           2
        .value_kind:     hidden_group_size_x
      - .offset:         126
        .size:           2
        .value_kind:     hidden_group_size_y
      - .offset:         128
        .size:           2
        .value_kind:     hidden_group_size_z
      - .offset:         130
        .size:           2
        .value_kind:     hidden_remainder_x
      - .offset:         132
        .size:           2
        .value_kind:     hidden_remainder_y
      - .offset:         134
        .size:           2
        .value_kind:     hidden_remainder_z
      - .offset:         152
        .size:           8
        .value_kind:     hidden_global_offset_x
      - .offset:         160
        .size:           8
        .value_kind:     hidden_global_offset_y
      - .offset:         168
        .size:           8
        .value_kind:     hidden_global_offset_z
      - .offset:         176
        .size:           2
        .value_kind:     hidden_grid_dims
    .group_segment_fixed_size: 12800
    .kernarg_segment_align: 8
    .kernarg_segment_size: 368
    .language:       OpenCL C
    .language_version:
      - 2
      - 0
    .max_flat_workgroup_size: 20
    .name:           _ZL31rocblas_trsm_small_right_deviceI19rocblas_complex_numIdES1_PKS1_PS1_Li20EEv13rocblas_fill_18rocblas_operation_17rocblas_diagonal_iiT0_T1_lilT2_lili
    .private_segment_fixed_size: 0
    .sgpr_count:     33
    .sgpr_spill_count: 0
    .symbol:         _ZL31rocblas_trsm_small_right_deviceI19rocblas_complex_numIdES1_PKS1_PS1_Li20EEv13rocblas_fill_18rocblas_operation_17rocblas_diagonal_iiT0_T1_lilT2_lili.kd
    .uniform_work_group_size: 1
    .uses_dynamic_stack: false
    .vgpr_count:     53
    .vgpr_spill_count: 0
    .wavefront_size: 64
  - .args:
      - .offset:         0
        .size:           4
        .value_kind:     by_value
      - .offset:         4
        .size:           4
        .value_kind:     by_value
      - .offset:         8
        .size:           4
        .value_kind:     by_value
      - .offset:         12
        .size:           4
        .value_kind:     by_value
      - .offset:         16
        .size:           4
        .value_kind:     by_value
      - .offset:         24
        .size:           16
        .value_kind:     by_value
      - .address_space:  global
        .offset:         40
        .size:           8
        .value_kind:     global_buffer
      - .offset:         48
        .size:           8
        .value_kind:     by_value
      - .offset:         56
        .size:           4
        .value_kind:     by_value
      - .offset:         64
        .size:           8
        .value_kind:     by_value
      - .address_space:  global
        .offset:         72
        .size:           8
        .value_kind:     global_buffer
      - .offset:         80
        .size:           8
        .value_kind:     by_value
      - .offset:         88
        .size:           4
        .value_kind:     by_value
      - .offset:         96
        .size:           8
        .value_kind:     by_value
      - .offset:         104
        .size:           4
        .value_kind:     by_value
      - .offset:         112
        .size:           4
        .value_kind:     hidden_block_count_x
      - .offset:         116
        .size:           4
        .value_kind:     hidden_block_count_y
      - .offset:         120
        .size:           4
        .value_kind:     hidden_block_count_z
      - .offset:         124
        .size:           2
        .value_kind:     hidden_group_size_x
      - .offset:         126
        .size:           2
        .value_kind:     hidden_group_size_y
      - .offset:         128
        .size:           2
        .value_kind:     hidden_group_size_z
      - .offset:         130
        .size:           2
        .value_kind:     hidden_remainder_x
      - .offset:         132
        .size:           2
        .value_kind:     hidden_remainder_y
      - .offset:         134
        .size:           2
        .value_kind:     hidden_remainder_z
      - .offset:         152
        .size:           8
        .value_kind:     hidden_global_offset_x
      - .offset:         160
        .size:           8
        .value_kind:     hidden_global_offset_y
      - .offset:         168
        .size:           8
        .value_kind:     hidden_global_offset_z
      - .offset:         176
        .size:           2
        .value_kind:     hidden_grid_dims
    .group_segment_fixed_size: 18432
    .kernarg_segment_align: 8
    .kernarg_segment_size: 368
    .language:       OpenCL C
    .language_version:
      - 2
      - 0
    .max_flat_workgroup_size: 24
    .name:           _ZL38rocblas_trsm_small_left_device_sharedBILi24ELi24ELb0E19rocblas_complex_numIdES1_PKS1_PS1_Ev13rocblas_fill_18rocblas_operation_17rocblas_diagonal_iiT3_T4_lilT5_lili
    .private_segment_fixed_size: 400
    .sgpr_count:     41
    .sgpr_spill_count: 0
    .symbol:         _ZL38rocblas_trsm_small_left_device_sharedBILi24ELi24ELb0E19rocblas_complex_numIdES1_PKS1_PS1_Ev13rocblas_fill_18rocblas_operation_17rocblas_diagonal_iiT3_T4_lilT5_lili.kd
    .uniform_work_group_size: 1
    .uses_dynamic_stack: false
    .vgpr_count:     19
    .vgpr_spill_count: 0
    .wavefront_size: 64
  - .args:
      - .offset:         0
        .size:           4
        .value_kind:     by_value
      - .offset:         4
        .size:           4
        .value_kind:     by_value
      - .offset:         8
        .size:           4
        .value_kind:     by_value
      - .offset:         12
        .size:           4
        .value_kind:     by_value
      - .offset:         16
        .size:           4
        .value_kind:     by_value
      - .offset:         24
        .size:           16
        .value_kind:     by_value
      - .address_space:  global
        .offset:         40
        .size:           8
        .value_kind:     global_buffer
      - .offset:         48
        .size:           8
        .value_kind:     by_value
      - .offset:         56
        .size:           4
        .value_kind:     by_value
      - .offset:         64
        .size:           8
        .value_kind:     by_value
      - .address_space:  global
        .offset:         72
        .size:           8
        .value_kind:     global_buffer
      - .offset:         80
        .size:           8
        .value_kind:     by_value
      - .offset:         88
        .size:           4
        .value_kind:     by_value
      - .offset:         96
        .size:           8
        .value_kind:     by_value
      - .offset:         104
        .size:           4
        .value_kind:     by_value
      - .offset:         112
        .size:           4
        .value_kind:     hidden_block_count_x
      - .offset:         116
        .size:           4
        .value_kind:     hidden_block_count_y
      - .offset:         120
        .size:           4
        .value_kind:     hidden_block_count_z
      - .offset:         124
        .size:           2
        .value_kind:     hidden_group_size_x
      - .offset:         126
        .size:           2
        .value_kind:     hidden_group_size_y
      - .offset:         128
        .size:           2
        .value_kind:     hidden_group_size_z
      - .offset:         130
        .size:           2
        .value_kind:     hidden_remainder_x
      - .offset:         132
        .size:           2
        .value_kind:     hidden_remainder_y
      - .offset:         134
        .size:           2
        .value_kind:     hidden_remainder_z
      - .offset:         152
        .size:           8
        .value_kind:     hidden_global_offset_x
      - .offset:         160
        .size:           8
        .value_kind:     hidden_global_offset_y
      - .offset:         168
        .size:           8
        .value_kind:     hidden_global_offset_z
      - .offset:         176
        .size:           2
        .value_kind:     hidden_grid_dims
    .group_segment_fixed_size: 9216
    .kernarg_segment_align: 8
    .kernarg_segment_size: 368
    .language:       OpenCL C
    .language_version:
      - 2
      - 0
    .max_flat_workgroup_size: 24
    .name:           _ZL30rocblas_trsm_small_left_deviceILi24ELi24ELb0E19rocblas_complex_numIdES1_PKS1_PS1_Ev13rocblas_fill_18rocblas_operation_17rocblas_diagonal_iiT3_T4_lilT5_lili
    .private_segment_fixed_size: 400
    .sgpr_count:     36
    .sgpr_spill_count: 0
    .symbol:         _ZL30rocblas_trsm_small_left_deviceILi24ELi24ELb0E19rocblas_complex_numIdES1_PKS1_PS1_Ev13rocblas_fill_18rocblas_operation_17rocblas_diagonal_iiT3_T4_lilT5_lili.kd
    .uniform_work_group_size: 1
    .uses_dynamic_stack: false
    .vgpr_count:     24
    .vgpr_spill_count: 0
    .wavefront_size: 64
  - .args:
      - .offset:         0
        .size:           4
        .value_kind:     by_value
      - .offset:         4
        .size:           4
        .value_kind:     by_value
      - .offset:         8
        .size:           4
        .value_kind:     by_value
      - .offset:         12
        .size:           4
        .value_kind:     by_value
      - .offset:         16
        .size:           4
        .value_kind:     by_value
      - .offset:         24
        .size:           16
        .value_kind:     by_value
      - .address_space:  global
        .offset:         40
        .size:           8
        .value_kind:     global_buffer
      - .offset:         48
        .size:           8
        .value_kind:     by_value
      - .offset:         56
        .size:           4
        .value_kind:     by_value
      - .offset:         64
        .size:           8
        .value_kind:     by_value
      - .address_space:  global
        .offset:         72
        .size:           8
        .value_kind:     global_buffer
      - .offset:         80
        .size:           8
        .value_kind:     by_value
      - .offset:         88
        .size:           4
        .value_kind:     by_value
      - .offset:         96
        .size:           8
        .value_kind:     by_value
      - .offset:         104
        .size:           4
        .value_kind:     by_value
      - .offset:         112
        .size:           4
        .value_kind:     hidden_block_count_x
      - .offset:         116
        .size:           4
        .value_kind:     hidden_block_count_y
      - .offset:         120
        .size:           4
        .value_kind:     hidden_block_count_z
      - .offset:         124
        .size:           2
        .value_kind:     hidden_group_size_x
      - .offset:         126
        .size:           2
        .value_kind:     hidden_group_size_y
      - .offset:         128
        .size:           2
        .value_kind:     hidden_group_size_z
      - .offset:         130
        .size:           2
        .value_kind:     hidden_remainder_x
      - .offset:         132
        .size:           2
        .value_kind:     hidden_remainder_y
      - .offset:         134
        .size:           2
        .value_kind:     hidden_remainder_z
      - .offset:         152
        .size:           8
        .value_kind:     hidden_global_offset_x
      - .offset:         160
        .size:           8
        .value_kind:     hidden_global_offset_y
      - .offset:         168
        .size:           8
        .value_kind:     hidden_global_offset_z
      - .offset:         176
        .size:           2
        .value_kind:     hidden_grid_dims
    .group_segment_fixed_size: 18432
    .kernarg_segment_align: 8
    .kernarg_segment_size: 368
    .language:       OpenCL C
    .language_version:
      - 2
      - 0
    .max_flat_workgroup_size: 24
    .name:           _ZL38rocblas_trsm_small_left_device_sharedBILi24ELi24ELb1E19rocblas_complex_numIdES1_PKS1_PS1_Ev13rocblas_fill_18rocblas_operation_17rocblas_diagonal_iiT3_T4_lilT5_lili
    .private_segment_fixed_size: 400
    .sgpr_count:     42
    .sgpr_spill_count: 0
    .symbol:         _ZL38rocblas_trsm_small_left_device_sharedBILi24ELi24ELb1E19rocblas_complex_numIdES1_PKS1_PS1_Ev13rocblas_fill_18rocblas_operation_17rocblas_diagonal_iiT3_T4_lilT5_lili.kd
    .uniform_work_group_size: 1
    .uses_dynamic_stack: false
    .vgpr_count:     19
    .vgpr_spill_count: 0
    .wavefront_size: 64
  - .args:
      - .offset:         0
        .size:           4
        .value_kind:     by_value
      - .offset:         4
        .size:           4
        .value_kind:     by_value
      - .offset:         8
        .size:           4
        .value_kind:     by_value
      - .offset:         12
        .size:           4
        .value_kind:     by_value
      - .offset:         16
        .size:           4
        .value_kind:     by_value
      - .offset:         24
        .size:           16
        .value_kind:     by_value
      - .address_space:  global
        .offset:         40
        .size:           8
        .value_kind:     global_buffer
      - .offset:         48
        .size:           8
        .value_kind:     by_value
      - .offset:         56
        .size:           4
        .value_kind:     by_value
      - .offset:         64
        .size:           8
        .value_kind:     by_value
      - .address_space:  global
        .offset:         72
        .size:           8
        .value_kind:     global_buffer
      - .offset:         80
        .size:           8
        .value_kind:     by_value
      - .offset:         88
        .size:           4
        .value_kind:     by_value
      - .offset:         96
        .size:           8
        .value_kind:     by_value
      - .offset:         104
        .size:           4
        .value_kind:     by_value
      - .offset:         112
        .size:           4
        .value_kind:     hidden_block_count_x
      - .offset:         116
        .size:           4
        .value_kind:     hidden_block_count_y
      - .offset:         120
        .size:           4
        .value_kind:     hidden_block_count_z
      - .offset:         124
        .size:           2
        .value_kind:     hidden_group_size_x
      - .offset:         126
        .size:           2
        .value_kind:     hidden_group_size_y
      - .offset:         128
        .size:           2
        .value_kind:     hidden_group_size_z
      - .offset:         130
        .size:           2
        .value_kind:     hidden_remainder_x
      - .offset:         132
        .size:           2
        .value_kind:     hidden_remainder_y
      - .offset:         134
        .size:           2
        .value_kind:     hidden_remainder_z
      - .offset:         152
        .size:           8
        .value_kind:     hidden_global_offset_x
      - .offset:         160
        .size:           8
        .value_kind:     hidden_global_offset_y
      - .offset:         168
        .size:           8
        .value_kind:     hidden_global_offset_z
      - .offset:         176
        .size:           2
        .value_kind:     hidden_grid_dims
    .group_segment_fixed_size: 9216
    .kernarg_segment_align: 8
    .kernarg_segment_size: 368
    .language:       OpenCL C
    .language_version:
      - 2
      - 0
    .max_flat_workgroup_size: 24
    .name:           _ZL30rocblas_trsm_small_left_deviceILi24ELi24ELb1E19rocblas_complex_numIdES1_PKS1_PS1_Ev13rocblas_fill_18rocblas_operation_17rocblas_diagonal_iiT3_T4_lilT5_lili
    .private_segment_fixed_size: 400
    .sgpr_count:     41
    .sgpr_spill_count: 0
    .symbol:         _ZL30rocblas_trsm_small_left_deviceILi24ELi24ELb1E19rocblas_complex_numIdES1_PKS1_PS1_Ev13rocblas_fill_18rocblas_operation_17rocblas_diagonal_iiT3_T4_lilT5_lili.kd
    .uniform_work_group_size: 1
    .uses_dynamic_stack: false
    .vgpr_count:     22
    .vgpr_spill_count: 0
    .wavefront_size: 64
  - .args:
      - .offset:         0
        .size:           4
        .value_kind:     by_value
      - .offset:         4
        .size:           4
        .value_kind:     by_value
      - .offset:         8
        .size:           4
        .value_kind:     by_value
      - .offset:         12
        .size:           4
        .value_kind:     by_value
      - .offset:         16
        .size:           4
        .value_kind:     by_value
      - .offset:         24
        .size:           16
        .value_kind:     by_value
      - .address_space:  global
        .offset:         40
        .size:           8
        .value_kind:     global_buffer
      - .offset:         48
        .size:           8
        .value_kind:     by_value
      - .offset:         56
        .size:           4
        .value_kind:     by_value
      - .offset:         64
        .size:           8
        .value_kind:     by_value
      - .address_space:  global
        .offset:         72
        .size:           8
        .value_kind:     global_buffer
      - .offset:         80
        .size:           8
        .value_kind:     by_value
      - .offset:         88
        .size:           4
        .value_kind:     by_value
      - .offset:         96
        .size:           8
        .value_kind:     by_value
      - .offset:         104
        .size:           4
        .value_kind:     by_value
      - .offset:         112
        .size:           4
        .value_kind:     hidden_block_count_x
      - .offset:         116
        .size:           4
        .value_kind:     hidden_block_count_y
      - .offset:         120
        .size:           4
        .value_kind:     hidden_block_count_z
      - .offset:         124
        .size:           2
        .value_kind:     hidden_group_size_x
      - .offset:         126
        .size:           2
        .value_kind:     hidden_group_size_y
      - .offset:         128
        .size:           2
        .value_kind:     hidden_group_size_z
      - .offset:         130
        .size:           2
        .value_kind:     hidden_remainder_x
      - .offset:         132
        .size:           2
        .value_kind:     hidden_remainder_y
      - .offset:         134
        .size:           2
        .value_kind:     hidden_remainder_z
      - .offset:         152
        .size:           8
        .value_kind:     hidden_global_offset_x
      - .offset:         160
        .size:           8
        .value_kind:     hidden_global_offset_y
      - .offset:         168
        .size:           8
        .value_kind:     hidden_global_offset_z
      - .offset:         176
        .size:           2
        .value_kind:     hidden_grid_dims
    .group_segment_fixed_size: 18432
    .kernarg_segment_align: 8
    .kernarg_segment_size: 368
    .language:       OpenCL C
    .language_version:
      - 2
      - 0
    .max_flat_workgroup_size: 24
    .name:           _ZL31rocblas_trsm_small_right_deviceI19rocblas_complex_numIdES1_PKS1_PS1_Li24EEv13rocblas_fill_18rocblas_operation_17rocblas_diagonal_iiT0_T1_lilT2_lili
    .private_segment_fixed_size: 0
    .sgpr_count:     33
    .sgpr_spill_count: 0
    .symbol:         _ZL31rocblas_trsm_small_right_deviceI19rocblas_complex_numIdES1_PKS1_PS1_Li24EEv13rocblas_fill_18rocblas_operation_17rocblas_diagonal_iiT0_T1_lilT2_lili.kd
    .uniform_work_group_size: 1
    .uses_dynamic_stack: false
    .vgpr_count:     53
    .vgpr_spill_count: 0
    .wavefront_size: 64
  - .args:
      - .offset:         0
        .size:           4
        .value_kind:     by_value
      - .offset:         4
        .size:           4
        .value_kind:     by_value
      - .offset:         8
        .size:           4
        .value_kind:     by_value
      - .offset:         12
        .size:           4
        .value_kind:     by_value
      - .offset:         16
        .size:           4
        .value_kind:     by_value
      - .offset:         24
        .size:           16
        .value_kind:     by_value
      - .address_space:  global
        .offset:         40
        .size:           8
        .value_kind:     global_buffer
      - .offset:         48
        .size:           8
        .value_kind:     by_value
      - .offset:         56
        .size:           4
        .value_kind:     by_value
      - .offset:         64
        .size:           8
        .value_kind:     by_value
      - .address_space:  global
        .offset:         72
        .size:           8
        .value_kind:     global_buffer
      - .offset:         80
        .size:           8
        .value_kind:     by_value
      - .offset:         88
        .size:           4
        .value_kind:     by_value
      - .offset:         96
        .size:           8
        .value_kind:     by_value
      - .offset:         104
        .size:           4
        .value_kind:     by_value
      - .offset:         112
        .size:           4
        .value_kind:     hidden_block_count_x
      - .offset:         116
        .size:           4
        .value_kind:     hidden_block_count_y
      - .offset:         120
        .size:           4
        .value_kind:     hidden_block_count_z
      - .offset:         124
        .size:           2
        .value_kind:     hidden_group_size_x
      - .offset:         126
        .size:           2
        .value_kind:     hidden_group_size_y
      - .offset:         128
        .size:           2
        .value_kind:     hidden_group_size_z
      - .offset:         130
        .size:           2
        .value_kind:     hidden_remainder_x
      - .offset:         132
        .size:           2
        .value_kind:     hidden_remainder_y
      - .offset:         134
        .size:           2
        .value_kind:     hidden_remainder_z
      - .offset:         152
        .size:           8
        .value_kind:     hidden_global_offset_x
      - .offset:         160
        .size:           8
        .value_kind:     hidden_global_offset_y
      - .offset:         168
        .size:           8
        .value_kind:     hidden_global_offset_z
      - .offset:         176
        .size:           2
        .value_kind:     hidden_grid_dims
    .group_segment_fixed_size: 25088
    .kernarg_segment_align: 8
    .kernarg_segment_size: 368
    .language:       OpenCL C
    .language_version:
      - 2
      - 0
    .max_flat_workgroup_size: 28
    .name:           _ZL38rocblas_trsm_small_left_device_sharedBILi28ELi28ELb0E19rocblas_complex_numIdES1_PKS1_PS1_Ev13rocblas_fill_18rocblas_operation_17rocblas_diagonal_iiT3_T4_lilT5_lili
    .private_segment_fixed_size: 464
    .sgpr_count:     41
    .sgpr_spill_count: 0
    .symbol:         _ZL38rocblas_trsm_small_left_device_sharedBILi28ELi28ELb0E19rocblas_complex_numIdES1_PKS1_PS1_Ev13rocblas_fill_18rocblas_operation_17rocblas_diagonal_iiT3_T4_lilT5_lili.kd
    .uniform_work_group_size: 1
    .uses_dynamic_stack: false
    .vgpr_count:     19
    .vgpr_spill_count: 0
    .wavefront_size: 64
  - .args:
      - .offset:         0
        .size:           4
        .value_kind:     by_value
      - .offset:         4
        .size:           4
        .value_kind:     by_value
      - .offset:         8
        .size:           4
        .value_kind:     by_value
      - .offset:         12
        .size:           4
        .value_kind:     by_value
      - .offset:         16
        .size:           4
        .value_kind:     by_value
      - .offset:         24
        .size:           16
        .value_kind:     by_value
      - .address_space:  global
        .offset:         40
        .size:           8
        .value_kind:     global_buffer
      - .offset:         48
        .size:           8
        .value_kind:     by_value
      - .offset:         56
        .size:           4
        .value_kind:     by_value
      - .offset:         64
        .size:           8
        .value_kind:     by_value
      - .address_space:  global
        .offset:         72
        .size:           8
        .value_kind:     global_buffer
      - .offset:         80
        .size:           8
        .value_kind:     by_value
      - .offset:         88
        .size:           4
        .value_kind:     by_value
      - .offset:         96
        .size:           8
        .value_kind:     by_value
      - .offset:         104
        .size:           4
        .value_kind:     by_value
      - .offset:         112
        .size:           4
        .value_kind:     hidden_block_count_x
      - .offset:         116
        .size:           4
        .value_kind:     hidden_block_count_y
      - .offset:         120
        .size:           4
        .value_kind:     hidden_block_count_z
      - .offset:         124
        .size:           2
        .value_kind:     hidden_group_size_x
      - .offset:         126
        .size:           2
        .value_kind:     hidden_group_size_y
      - .offset:         128
        .size:           2
        .value_kind:     hidden_group_size_z
      - .offset:         130
        .size:           2
        .value_kind:     hidden_remainder_x
      - .offset:         132
        .size:           2
        .value_kind:     hidden_remainder_y
      - .offset:         134
        .size:           2
        .value_kind:     hidden_remainder_z
      - .offset:         152
        .size:           8
        .value_kind:     hidden_global_offset_x
      - .offset:         160
        .size:           8
        .value_kind:     hidden_global_offset_y
      - .offset:         168
        .size:           8
        .value_kind:     hidden_global_offset_z
      - .offset:         176
        .size:           2
        .value_kind:     hidden_grid_dims
    .group_segment_fixed_size: 12544
    .kernarg_segment_align: 8
    .kernarg_segment_size: 368
    .language:       OpenCL C
    .language_version:
      - 2
      - 0
    .max_flat_workgroup_size: 28
    .name:           _ZL30rocblas_trsm_small_left_deviceILi28ELi28ELb0E19rocblas_complex_numIdES1_PKS1_PS1_Ev13rocblas_fill_18rocblas_operation_17rocblas_diagonal_iiT3_T4_lilT5_lili
    .private_segment_fixed_size: 464
    .sgpr_count:     36
    .sgpr_spill_count: 0
    .symbol:         _ZL30rocblas_trsm_small_left_deviceILi28ELi28ELb0E19rocblas_complex_numIdES1_PKS1_PS1_Ev13rocblas_fill_18rocblas_operation_17rocblas_diagonal_iiT3_T4_lilT5_lili.kd
    .uniform_work_group_size: 1
    .uses_dynamic_stack: false
    .vgpr_count:     24
    .vgpr_spill_count: 0
    .wavefront_size: 64
  - .args:
      - .offset:         0
        .size:           4
        .value_kind:     by_value
      - .offset:         4
        .size:           4
        .value_kind:     by_value
      - .offset:         8
        .size:           4
        .value_kind:     by_value
      - .offset:         12
        .size:           4
        .value_kind:     by_value
      - .offset:         16
        .size:           4
        .value_kind:     by_value
      - .offset:         24
        .size:           16
        .value_kind:     by_value
      - .address_space:  global
        .offset:         40
        .size:           8
        .value_kind:     global_buffer
      - .offset:         48
        .size:           8
        .value_kind:     by_value
      - .offset:         56
        .size:           4
        .value_kind:     by_value
      - .offset:         64
        .size:           8
        .value_kind:     by_value
      - .address_space:  global
        .offset:         72
        .size:           8
        .value_kind:     global_buffer
      - .offset:         80
        .size:           8
        .value_kind:     by_value
      - .offset:         88
        .size:           4
        .value_kind:     by_value
      - .offset:         96
        .size:           8
        .value_kind:     by_value
      - .offset:         104
        .size:           4
        .value_kind:     by_value
      - .offset:         112
        .size:           4
        .value_kind:     hidden_block_count_x
      - .offset:         116
        .size:           4
        .value_kind:     hidden_block_count_y
      - .offset:         120
        .size:           4
        .value_kind:     hidden_block_count_z
      - .offset:         124
        .size:           2
        .value_kind:     hidden_group_size_x
      - .offset:         126
        .size:           2
        .value_kind:     hidden_group_size_y
      - .offset:         128
        .size:           2
        .value_kind:     hidden_group_size_z
      - .offset:         130
        .size:           2
        .value_kind:     hidden_remainder_x
      - .offset:         132
        .size:           2
        .value_kind:     hidden_remainder_y
      - .offset:         134
        .size:           2
        .value_kind:     hidden_remainder_z
      - .offset:         152
        .size:           8
        .value_kind:     hidden_global_offset_x
      - .offset:         160
        .size:           8
        .value_kind:     hidden_global_offset_y
      - .offset:         168
        .size:           8
        .value_kind:     hidden_global_offset_z
      - .offset:         176
        .size:           2
        .value_kind:     hidden_grid_dims
    .group_segment_fixed_size: 25088
    .kernarg_segment_align: 8
    .kernarg_segment_size: 368
    .language:       OpenCL C
    .language_version:
      - 2
      - 0
    .max_flat_workgroup_size: 28
    .name:           _ZL38rocblas_trsm_small_left_device_sharedBILi28ELi28ELb1E19rocblas_complex_numIdES1_PKS1_PS1_Ev13rocblas_fill_18rocblas_operation_17rocblas_diagonal_iiT3_T4_lilT5_lili
    .private_segment_fixed_size: 464
    .sgpr_count:     42
    .sgpr_spill_count: 0
    .symbol:         _ZL38rocblas_trsm_small_left_device_sharedBILi28ELi28ELb1E19rocblas_complex_numIdES1_PKS1_PS1_Ev13rocblas_fill_18rocblas_operation_17rocblas_diagonal_iiT3_T4_lilT5_lili.kd
    .uniform_work_group_size: 1
    .uses_dynamic_stack: false
    .vgpr_count:     19
    .vgpr_spill_count: 0
    .wavefront_size: 64
  - .args:
      - .offset:         0
        .size:           4
        .value_kind:     by_value
      - .offset:         4
        .size:           4
        .value_kind:     by_value
      - .offset:         8
        .size:           4
        .value_kind:     by_value
      - .offset:         12
        .size:           4
        .value_kind:     by_value
      - .offset:         16
        .size:           4
        .value_kind:     by_value
      - .offset:         24
        .size:           16
        .value_kind:     by_value
      - .address_space:  global
        .offset:         40
        .size:           8
        .value_kind:     global_buffer
      - .offset:         48
        .size:           8
        .value_kind:     by_value
      - .offset:         56
        .size:           4
        .value_kind:     by_value
      - .offset:         64
        .size:           8
        .value_kind:     by_value
      - .address_space:  global
        .offset:         72
        .size:           8
        .value_kind:     global_buffer
      - .offset:         80
        .size:           8
        .value_kind:     by_value
      - .offset:         88
        .size:           4
        .value_kind:     by_value
      - .offset:         96
        .size:           8
        .value_kind:     by_value
      - .offset:         104
        .size:           4
        .value_kind:     by_value
      - .offset:         112
        .size:           4
        .value_kind:     hidden_block_count_x
      - .offset:         116
        .size:           4
        .value_kind:     hidden_block_count_y
      - .offset:         120
        .size:           4
        .value_kind:     hidden_block_count_z
      - .offset:         124
        .size:           2
        .value_kind:     hidden_group_size_x
      - .offset:         126
        .size:           2
        .value_kind:     hidden_group_size_y
      - .offset:         128
        .size:           2
        .value_kind:     hidden_group_size_z
      - .offset:         130
        .size:           2
        .value_kind:     hidden_remainder_x
      - .offset:         132
        .size:           2
        .value_kind:     hidden_remainder_y
      - .offset:         134
        .size:           2
        .value_kind:     hidden_remainder_z
      - .offset:         152
        .size:           8
        .value_kind:     hidden_global_offset_x
      - .offset:         160
        .size:           8
        .value_kind:     hidden_global_offset_y
      - .offset:         168
        .size:           8
        .value_kind:     hidden_global_offset_z
      - .offset:         176
        .size:           2
        .value_kind:     hidden_grid_dims
    .group_segment_fixed_size: 12544
    .kernarg_segment_align: 8
    .kernarg_segment_size: 368
    .language:       OpenCL C
    .language_version:
      - 2
      - 0
    .max_flat_workgroup_size: 28
    .name:           _ZL30rocblas_trsm_small_left_deviceILi28ELi28ELb1E19rocblas_complex_numIdES1_PKS1_PS1_Ev13rocblas_fill_18rocblas_operation_17rocblas_diagonal_iiT3_T4_lilT5_lili
    .private_segment_fixed_size: 464
    .sgpr_count:     41
    .sgpr_spill_count: 0
    .symbol:         _ZL30rocblas_trsm_small_left_deviceILi28ELi28ELb1E19rocblas_complex_numIdES1_PKS1_PS1_Ev13rocblas_fill_18rocblas_operation_17rocblas_diagonal_iiT3_T4_lilT5_lili.kd
    .uniform_work_group_size: 1
    .uses_dynamic_stack: false
    .vgpr_count:     22
    .vgpr_spill_count: 0
    .wavefront_size: 64
  - .args:
      - .offset:         0
        .size:           4
        .value_kind:     by_value
      - .offset:         4
        .size:           4
        .value_kind:     by_value
      - .offset:         8
        .size:           4
        .value_kind:     by_value
      - .offset:         12
        .size:           4
        .value_kind:     by_value
      - .offset:         16
        .size:           4
        .value_kind:     by_value
      - .offset:         24
        .size:           16
        .value_kind:     by_value
      - .address_space:  global
        .offset:         40
        .size:           8
        .value_kind:     global_buffer
      - .offset:         48
        .size:           8
        .value_kind:     by_value
      - .offset:         56
        .size:           4
        .value_kind:     by_value
      - .offset:         64
        .size:           8
        .value_kind:     by_value
      - .address_space:  global
        .offset:         72
        .size:           8
        .value_kind:     global_buffer
      - .offset:         80
        .size:           8
        .value_kind:     by_value
      - .offset:         88
        .size:           4
        .value_kind:     by_value
      - .offset:         96
        .size:           8
        .value_kind:     by_value
      - .offset:         104
        .size:           4
        .value_kind:     by_value
      - .offset:         112
        .size:           4
        .value_kind:     hidden_block_count_x
      - .offset:         116
        .size:           4
        .value_kind:     hidden_block_count_y
      - .offset:         120
        .size:           4
        .value_kind:     hidden_block_count_z
      - .offset:         124
        .size:           2
        .value_kind:     hidden_group_size_x
      - .offset:         126
        .size:           2
        .value_kind:     hidden_group_size_y
      - .offset:         128
        .size:           2
        .value_kind:     hidden_group_size_z
      - .offset:         130
        .size:           2
        .value_kind:     hidden_remainder_x
      - .offset:         132
        .size:           2
        .value_kind:     hidden_remainder_y
      - .offset:         134
        .size:           2
        .value_kind:     hidden_remainder_z
      - .offset:         152
        .size:           8
        .value_kind:     hidden_global_offset_x
      - .offset:         160
        .size:           8
        .value_kind:     hidden_global_offset_y
      - .offset:         168
        .size:           8
        .value_kind:     hidden_global_offset_z
      - .offset:         176
        .size:           2
        .value_kind:     hidden_grid_dims
    .group_segment_fixed_size: 25088
    .kernarg_segment_align: 8
    .kernarg_segment_size: 368
    .language:       OpenCL C
    .language_version:
      - 2
      - 0
    .max_flat_workgroup_size: 28
    .name:           _ZL31rocblas_trsm_small_right_deviceI19rocblas_complex_numIdES1_PKS1_PS1_Li28EEv13rocblas_fill_18rocblas_operation_17rocblas_diagonal_iiT0_T1_lilT2_lili
    .private_segment_fixed_size: 0
    .sgpr_count:     33
    .sgpr_spill_count: 0
    .symbol:         _ZL31rocblas_trsm_small_right_deviceI19rocblas_complex_numIdES1_PKS1_PS1_Li28EEv13rocblas_fill_18rocblas_operation_17rocblas_diagonal_iiT0_T1_lilT2_lili.kd
    .uniform_work_group_size: 1
    .uses_dynamic_stack: false
    .vgpr_count:     53
    .vgpr_spill_count: 0
    .wavefront_size: 64
  - .args:
      - .offset:         0
        .size:           4
        .value_kind:     by_value
      - .offset:         4
        .size:           4
        .value_kind:     by_value
      - .offset:         8
        .size:           4
        .value_kind:     by_value
      - .offset:         12
        .size:           4
        .value_kind:     by_value
      - .offset:         16
        .size:           4
        .value_kind:     by_value
      - .offset:         24
        .size:           16
        .value_kind:     by_value
      - .address_space:  global
        .offset:         40
        .size:           8
        .value_kind:     global_buffer
      - .offset:         48
        .size:           8
        .value_kind:     by_value
      - .offset:         56
        .size:           4
        .value_kind:     by_value
      - .offset:         64
        .size:           8
        .value_kind:     by_value
      - .address_space:  global
        .offset:         72
        .size:           8
        .value_kind:     global_buffer
      - .offset:         80
        .size:           8
        .value_kind:     by_value
      - .offset:         88
        .size:           4
        .value_kind:     by_value
      - .offset:         96
        .size:           8
        .value_kind:     by_value
      - .offset:         104
        .size:           4
        .value_kind:     by_value
      - .offset:         112
        .size:           4
        .value_kind:     hidden_block_count_x
      - .offset:         116
        .size:           4
        .value_kind:     hidden_block_count_y
      - .offset:         120
        .size:           4
        .value_kind:     hidden_block_count_z
      - .offset:         124
        .size:           2
        .value_kind:     hidden_group_size_x
      - .offset:         126
        .size:           2
        .value_kind:     hidden_group_size_y
      - .offset:         128
        .size:           2
        .value_kind:     hidden_group_size_z
      - .offset:         130
        .size:           2
        .value_kind:     hidden_remainder_x
      - .offset:         132
        .size:           2
        .value_kind:     hidden_remainder_y
      - .offset:         134
        .size:           2
        .value_kind:     hidden_remainder_z
      - .offset:         152
        .size:           8
        .value_kind:     hidden_global_offset_x
      - .offset:         160
        .size:           8
        .value_kind:     hidden_global_offset_y
      - .offset:         168
        .size:           8
        .value_kind:     hidden_global_offset_z
      - .offset:         176
        .size:           2
        .value_kind:     hidden_grid_dims
    .group_segment_fixed_size: 32768
    .kernarg_segment_align: 8
    .kernarg_segment_size: 368
    .language:       OpenCL C
    .language_version:
      - 2
      - 0
    .max_flat_workgroup_size: 32
    .name:           _ZL38rocblas_trsm_small_left_device_sharedBILi32ELi32ELb0E19rocblas_complex_numIdES1_PKS1_PS1_Ev13rocblas_fill_18rocblas_operation_17rocblas_diagonal_iiT3_T4_lilT5_lili
    .private_segment_fixed_size: 528
    .sgpr_count:     41
    .sgpr_spill_count: 0
    .symbol:         _ZL38rocblas_trsm_small_left_device_sharedBILi32ELi32ELb0E19rocblas_complex_numIdES1_PKS1_PS1_Ev13rocblas_fill_18rocblas_operation_17rocblas_diagonal_iiT3_T4_lilT5_lili.kd
    .uniform_work_group_size: 1
    .uses_dynamic_stack: false
    .vgpr_count:     19
    .vgpr_spill_count: 0
    .wavefront_size: 64
  - .args:
      - .offset:         0
        .size:           4
        .value_kind:     by_value
      - .offset:         4
        .size:           4
        .value_kind:     by_value
      - .offset:         8
        .size:           4
        .value_kind:     by_value
      - .offset:         12
        .size:           4
        .value_kind:     by_value
      - .offset:         16
        .size:           4
        .value_kind:     by_value
      - .offset:         24
        .size:           16
        .value_kind:     by_value
      - .address_space:  global
        .offset:         40
        .size:           8
        .value_kind:     global_buffer
      - .offset:         48
        .size:           8
        .value_kind:     by_value
      - .offset:         56
        .size:           4
        .value_kind:     by_value
      - .offset:         64
        .size:           8
        .value_kind:     by_value
      - .address_space:  global
        .offset:         72
        .size:           8
        .value_kind:     global_buffer
      - .offset:         80
        .size:           8
        .value_kind:     by_value
      - .offset:         88
        .size:           4
        .value_kind:     by_value
      - .offset:         96
        .size:           8
        .value_kind:     by_value
      - .offset:         104
        .size:           4
        .value_kind:     by_value
      - .offset:         112
        .size:           4
        .value_kind:     hidden_block_count_x
      - .offset:         116
        .size:           4
        .value_kind:     hidden_block_count_y
      - .offset:         120
        .size:           4
        .value_kind:     hidden_block_count_z
      - .offset:         124
        .size:           2
        .value_kind:     hidden_group_size_x
      - .offset:         126
        .size:           2
        .value_kind:     hidden_group_size_y
      - .offset:         128
        .size:           2
        .value_kind:     hidden_group_size_z
      - .offset:         130
        .size:           2
        .value_kind:     hidden_remainder_x
      - .offset:         132
        .size:           2
        .value_kind:     hidden_remainder_y
      - .offset:         134
        .size:           2
        .value_kind:     hidden_remainder_z
      - .offset:         152
        .size:           8
        .value_kind:     hidden_global_offset_x
      - .offset:         160
        .size:           8
        .value_kind:     hidden_global_offset_y
      - .offset:         168
        .size:           8
        .value_kind:     hidden_global_offset_z
      - .offset:         176
        .size:           2
        .value_kind:     hidden_grid_dims
    .group_segment_fixed_size: 16384
    .kernarg_segment_align: 8
    .kernarg_segment_size: 368
    .language:       OpenCL C
    .language_version:
      - 2
      - 0
    .max_flat_workgroup_size: 32
    .name:           _ZL30rocblas_trsm_small_left_deviceILi32ELi32ELb0E19rocblas_complex_numIdES1_PKS1_PS1_Ev13rocblas_fill_18rocblas_operation_17rocblas_diagonal_iiT3_T4_lilT5_lili
    .private_segment_fixed_size: 528
    .sgpr_count:     36
    .sgpr_spill_count: 0
    .symbol:         _ZL30rocblas_trsm_small_left_deviceILi32ELi32ELb0E19rocblas_complex_numIdES1_PKS1_PS1_Ev13rocblas_fill_18rocblas_operation_17rocblas_diagonal_iiT3_T4_lilT5_lili.kd
    .uniform_work_group_size: 1
    .uses_dynamic_stack: false
    .vgpr_count:     24
    .vgpr_spill_count: 0
    .wavefront_size: 64
  - .args:
      - .offset:         0
        .size:           4
        .value_kind:     by_value
      - .offset:         4
        .size:           4
        .value_kind:     by_value
      - .offset:         8
        .size:           4
        .value_kind:     by_value
      - .offset:         12
        .size:           4
        .value_kind:     by_value
      - .offset:         16
        .size:           4
        .value_kind:     by_value
      - .offset:         24
        .size:           16
        .value_kind:     by_value
      - .address_space:  global
        .offset:         40
        .size:           8
        .value_kind:     global_buffer
      - .offset:         48
        .size:           8
        .value_kind:     by_value
      - .offset:         56
        .size:           4
        .value_kind:     by_value
      - .offset:         64
        .size:           8
        .value_kind:     by_value
      - .address_space:  global
        .offset:         72
        .size:           8
        .value_kind:     global_buffer
      - .offset:         80
        .size:           8
        .value_kind:     by_value
      - .offset:         88
        .size:           4
        .value_kind:     by_value
      - .offset:         96
        .size:           8
        .value_kind:     by_value
      - .offset:         104
        .size:           4
        .value_kind:     by_value
      - .offset:         112
        .size:           4
        .value_kind:     hidden_block_count_x
      - .offset:         116
        .size:           4
        .value_kind:     hidden_block_count_y
      - .offset:         120
        .size:           4
        .value_kind:     hidden_block_count_z
      - .offset:         124
        .size:           2
        .value_kind:     hidden_group_size_x
      - .offset:         126
        .size:           2
        .value_kind:     hidden_group_size_y
      - .offset:         128
        .size:           2
        .value_kind:     hidden_group_size_z
      - .offset:         130
        .size:           2
        .value_kind:     hidden_remainder_x
      - .offset:         132
        .size:           2
        .value_kind:     hidden_remainder_y
      - .offset:         134
        .size:           2
        .value_kind:     hidden_remainder_z
      - .offset:         152
        .size:           8
        .value_kind:     hidden_global_offset_x
      - .offset:         160
        .size:           8
        .value_kind:     hidden_global_offset_y
      - .offset:         168
        .size:           8
        .value_kind:     hidden_global_offset_z
      - .offset:         176
        .size:           2
        .value_kind:     hidden_grid_dims
    .group_segment_fixed_size: 32768
    .kernarg_segment_align: 8
    .kernarg_segment_size: 368
    .language:       OpenCL C
    .language_version:
      - 2
      - 0
    .max_flat_workgroup_size: 32
    .name:           _ZL38rocblas_trsm_small_left_device_sharedBILi32ELi32ELb1E19rocblas_complex_numIdES1_PKS1_PS1_Ev13rocblas_fill_18rocblas_operation_17rocblas_diagonal_iiT3_T4_lilT5_lili
    .private_segment_fixed_size: 528
    .sgpr_count:     42
    .sgpr_spill_count: 0
    .symbol:         _ZL38rocblas_trsm_small_left_device_sharedBILi32ELi32ELb1E19rocblas_complex_numIdES1_PKS1_PS1_Ev13rocblas_fill_18rocblas_operation_17rocblas_diagonal_iiT3_T4_lilT5_lili.kd
    .uniform_work_group_size: 1
    .uses_dynamic_stack: false
    .vgpr_count:     19
    .vgpr_spill_count: 0
    .wavefront_size: 64
  - .args:
      - .offset:         0
        .size:           4
        .value_kind:     by_value
      - .offset:         4
        .size:           4
        .value_kind:     by_value
      - .offset:         8
        .size:           4
        .value_kind:     by_value
      - .offset:         12
        .size:           4
        .value_kind:     by_value
      - .offset:         16
        .size:           4
        .value_kind:     by_value
      - .offset:         24
        .size:           16
        .value_kind:     by_value
      - .address_space:  global
        .offset:         40
        .size:           8
        .value_kind:     global_buffer
      - .offset:         48
        .size:           8
        .value_kind:     by_value
      - .offset:         56
        .size:           4
        .value_kind:     by_value
      - .offset:         64
        .size:           8
        .value_kind:     by_value
      - .address_space:  global
        .offset:         72
        .size:           8
        .value_kind:     global_buffer
      - .offset:         80
        .size:           8
        .value_kind:     by_value
      - .offset:         88
        .size:           4
        .value_kind:     by_value
      - .offset:         96
        .size:           8
        .value_kind:     by_value
      - .offset:         104
        .size:           4
        .value_kind:     by_value
      - .offset:         112
        .size:           4
        .value_kind:     hidden_block_count_x
      - .offset:         116
        .size:           4
        .value_kind:     hidden_block_count_y
      - .offset:         120
        .size:           4
        .value_kind:     hidden_block_count_z
      - .offset:         124
        .size:           2
        .value_kind:     hidden_group_size_x
      - .offset:         126
        .size:           2
        .value_kind:     hidden_group_size_y
      - .offset:         128
        .size:           2
        .value_kind:     hidden_group_size_z
      - .offset:         130
        .size:           2
        .value_kind:     hidden_remainder_x
      - .offset:         132
        .size:           2
        .value_kind:     hidden_remainder_y
      - .offset:         134
        .size:           2
        .value_kind:     hidden_remainder_z
      - .offset:         152
        .size:           8
        .value_kind:     hidden_global_offset_x
      - .offset:         160
        .size:           8
        .value_kind:     hidden_global_offset_y
      - .offset:         168
        .size:           8
        .value_kind:     hidden_global_offset_z
      - .offset:         176
        .size:           2
        .value_kind:     hidden_grid_dims
    .group_segment_fixed_size: 16384
    .kernarg_segment_align: 8
    .kernarg_segment_size: 368
    .language:       OpenCL C
    .language_version:
      - 2
      - 0
    .max_flat_workgroup_size: 32
    .name:           _ZL30rocblas_trsm_small_left_deviceILi32ELi32ELb1E19rocblas_complex_numIdES1_PKS1_PS1_Ev13rocblas_fill_18rocblas_operation_17rocblas_diagonal_iiT3_T4_lilT5_lili
    .private_segment_fixed_size: 528
    .sgpr_count:     41
    .sgpr_spill_count: 0
    .symbol:         _ZL30rocblas_trsm_small_left_deviceILi32ELi32ELb1E19rocblas_complex_numIdES1_PKS1_PS1_Ev13rocblas_fill_18rocblas_operation_17rocblas_diagonal_iiT3_T4_lilT5_lili.kd
    .uniform_work_group_size: 1
    .uses_dynamic_stack: false
    .vgpr_count:     22
    .vgpr_spill_count: 0
    .wavefront_size: 64
  - .args:
      - .offset:         0
        .size:           4
        .value_kind:     by_value
      - .offset:         4
        .size:           4
        .value_kind:     by_value
      - .offset:         8
        .size:           4
        .value_kind:     by_value
      - .offset:         12
        .size:           4
        .value_kind:     by_value
      - .offset:         16
        .size:           4
        .value_kind:     by_value
      - .offset:         24
        .size:           16
        .value_kind:     by_value
      - .address_space:  global
        .offset:         40
        .size:           8
        .value_kind:     global_buffer
      - .offset:         48
        .size:           8
        .value_kind:     by_value
      - .offset:         56
        .size:           4
        .value_kind:     by_value
      - .offset:         64
        .size:           8
        .value_kind:     by_value
      - .address_space:  global
        .offset:         72
        .size:           8
        .value_kind:     global_buffer
      - .offset:         80
        .size:           8
        .value_kind:     by_value
      - .offset:         88
        .size:           4
        .value_kind:     by_value
      - .offset:         96
        .size:           8
        .value_kind:     by_value
      - .offset:         104
        .size:           4
        .value_kind:     by_value
      - .offset:         112
        .size:           4
        .value_kind:     hidden_block_count_x
      - .offset:         116
        .size:           4
        .value_kind:     hidden_block_count_y
      - .offset:         120
        .size:           4
        .value_kind:     hidden_block_count_z
      - .offset:         124
        .size:           2
        .value_kind:     hidden_group_size_x
      - .offset:         126
        .size:           2
        .value_kind:     hidden_group_size_y
      - .offset:         128
        .size:           2
        .value_kind:     hidden_group_size_z
      - .offset:         130
        .size:           2
        .value_kind:     hidden_remainder_x
      - .offset:         132
        .size:           2
        .value_kind:     hidden_remainder_y
      - .offset:         134
        .size:           2
        .value_kind:     hidden_remainder_z
      - .offset:         152
        .size:           8
        .value_kind:     hidden_global_offset_x
      - .offset:         160
        .size:           8
        .value_kind:     hidden_global_offset_y
      - .offset:         168
        .size:           8
        .value_kind:     hidden_global_offset_z
      - .offset:         176
        .size:           2
        .value_kind:     hidden_grid_dims
    .group_segment_fixed_size: 32768
    .kernarg_segment_align: 8
    .kernarg_segment_size: 368
    .language:       OpenCL C
    .language_version:
      - 2
      - 0
    .max_flat_workgroup_size: 32
    .name:           _ZL31rocblas_trsm_small_right_deviceI19rocblas_complex_numIdES1_PKS1_PS1_Li32EEv13rocblas_fill_18rocblas_operation_17rocblas_diagonal_iiT0_T1_lilT2_lili
    .private_segment_fixed_size: 0
    .sgpr_count:     33
    .sgpr_spill_count: 0
    .symbol:         _ZL31rocblas_trsm_small_right_deviceI19rocblas_complex_numIdES1_PKS1_PS1_Li32EEv13rocblas_fill_18rocblas_operation_17rocblas_diagonal_iiT0_T1_lilT2_lili.kd
    .uniform_work_group_size: 1
    .uses_dynamic_stack: false
    .vgpr_count:     53
    .vgpr_spill_count: 0
    .wavefront_size: 64
  - .args:
      - .offset:         0
        .size:           4
        .value_kind:     by_value
      - .offset:         4
        .size:           4
        .value_kind:     by_value
      - .offset:         8
        .size:           4
        .value_kind:     by_value
      - .offset:         12
        .size:           4
        .value_kind:     by_value
      - .offset:         16
        .size:           4
        .value_kind:     by_value
      - .offset:         24
        .size:           16
        .value_kind:     by_value
      - .address_space:  global
        .offset:         40
        .size:           8
        .value_kind:     global_buffer
      - .offset:         48
        .size:           8
        .value_kind:     by_value
      - .offset:         56
        .size:           4
        .value_kind:     by_value
      - .offset:         64
        .size:           8
        .value_kind:     by_value
      - .address_space:  global
        .offset:         72
        .size:           8
        .value_kind:     global_buffer
      - .offset:         80
        .size:           8
        .value_kind:     by_value
      - .offset:         88
        .size:           4
        .value_kind:     by_value
      - .offset:         96
        .size:           8
        .value_kind:     by_value
      - .offset:         104
        .size:           4
        .value_kind:     by_value
      - .offset:         112
        .size:           4
        .value_kind:     hidden_block_count_x
      - .offset:         116
        .size:           4
        .value_kind:     hidden_block_count_y
      - .offset:         120
        .size:           4
        .value_kind:     hidden_block_count_z
      - .offset:         124
        .size:           2
        .value_kind:     hidden_group_size_x
      - .offset:         126
        .size:           2
        .value_kind:     hidden_group_size_y
      - .offset:         128
        .size:           2
        .value_kind:     hidden_group_size_z
      - .offset:         130
        .size:           2
        .value_kind:     hidden_remainder_x
      - .offset:         132
        .size:           2
        .value_kind:     hidden_remainder_y
      - .offset:         134
        .size:           2
        .value_kind:     hidden_remainder_z
      - .offset:         152
        .size:           8
        .value_kind:     hidden_global_offset_x
      - .offset:         160
        .size:           8
        .value_kind:     hidden_global_offset_y
      - .offset:         168
        .size:           8
        .value_kind:     hidden_global_offset_z
      - .offset:         176
        .size:           2
        .value_kind:     hidden_grid_dims
    .group_segment_fixed_size: 65536
    .kernarg_segment_align: 8
    .kernarg_segment_size: 368
    .language:       OpenCL C
    .language_version:
      - 2
      - 0
    .max_flat_workgroup_size: 64
    .name:           _ZL33rocblas_trsm_small_64_left_deviceI19rocblas_complex_numIdES1_PKS1_PS1_Li64EEv13rocblas_fill_18rocblas_operation_17rocblas_diagonal_iiT0_T1_lilT2_lili
    .private_segment_fixed_size: 0
    .sgpr_count:     52
    .sgpr_spill_count: 0
    .symbol:         _ZL33rocblas_trsm_small_64_left_deviceI19rocblas_complex_numIdES1_PKS1_PS1_Li64EEv13rocblas_fill_18rocblas_operation_17rocblas_diagonal_iiT0_T1_lilT2_lili.kd
    .uniform_work_group_size: 1
    .uses_dynamic_stack: false
    .vgpr_count:     20
    .vgpr_spill_count: 0
    .wavefront_size: 64
  - .args:
      - .offset:         0
        .size:           4
        .value_kind:     by_value
      - .offset:         4
        .size:           4
        .value_kind:     by_value
      - .offset:         8
        .size:           4
        .value_kind:     by_value
      - .offset:         12
        .size:           4
        .value_kind:     by_value
      - .offset:         16
        .size:           4
        .value_kind:     by_value
      - .offset:         24
        .size:           16
        .value_kind:     by_value
      - .address_space:  global
        .offset:         40
        .size:           8
        .value_kind:     global_buffer
      - .offset:         48
        .size:           8
        .value_kind:     by_value
      - .offset:         56
        .size:           4
        .value_kind:     by_value
      - .offset:         64
        .size:           8
        .value_kind:     by_value
      - .address_space:  global
        .offset:         72
        .size:           8
        .value_kind:     global_buffer
      - .offset:         80
        .size:           8
        .value_kind:     by_value
      - .offset:         88
        .size:           4
        .value_kind:     by_value
      - .offset:         96
        .size:           8
        .value_kind:     by_value
      - .offset:         104
        .size:           4
        .value_kind:     by_value
      - .offset:         112
        .size:           4
        .value_kind:     hidden_block_count_x
      - .offset:         116
        .size:           4
        .value_kind:     hidden_block_count_y
      - .offset:         120
        .size:           4
        .value_kind:     hidden_block_count_z
      - .offset:         124
        .size:           2
        .value_kind:     hidden_group_size_x
      - .offset:         126
        .size:           2
        .value_kind:     hidden_group_size_y
      - .offset:         128
        .size:           2
        .value_kind:     hidden_group_size_z
      - .offset:         130
        .size:           2
        .value_kind:     hidden_remainder_x
      - .offset:         132
        .size:           2
        .value_kind:     hidden_remainder_y
      - .offset:         134
        .size:           2
        .value_kind:     hidden_remainder_z
      - .offset:         152
        .size:           8
        .value_kind:     hidden_global_offset_x
      - .offset:         160
        .size:           8
        .value_kind:     hidden_global_offset_y
      - .offset:         168
        .size:           8
        .value_kind:     hidden_global_offset_z
      - .offset:         176
        .size:           2
        .value_kind:     hidden_grid_dims
    .group_segment_fixed_size: 65536
    .kernarg_segment_align: 8
    .kernarg_segment_size: 368
    .language:       OpenCL C
    .language_version:
      - 2
      - 0
    .max_flat_workgroup_size: 64
    .name:           _ZL34rocblas_trsm_small_64_right_deviceI19rocblas_complex_numIdES1_PKS1_PS1_Li64EEv13rocblas_fill_18rocblas_operation_17rocblas_diagonal_iiT0_T1_lilT2_lili
    .private_segment_fixed_size: 0
    .sgpr_count:     53
    .sgpr_spill_count: 0
    .symbol:         _ZL34rocblas_trsm_small_64_right_deviceI19rocblas_complex_numIdES1_PKS1_PS1_Li64EEv13rocblas_fill_18rocblas_operation_17rocblas_diagonal_iiT0_T1_lilT2_lili.kd
    .uniform_work_group_size: 1
    .uses_dynamic_stack: false
    .vgpr_count:     20
    .vgpr_spill_count: 0
    .wavefront_size: 64
  - .args:
      - .offset:         0
        .size:           4
        .value_kind:     by_value
      - .offset:         8
        .size:           8
        .value_kind:     by_value
      - .offset:         16
        .size:           8
        .value_kind:     by_value
      - .offset:         24
        .size:           16
        .value_kind:     by_value
      - .address_space:  global
        .offset:         40
        .size:           8
        .value_kind:     global_buffer
      - .offset:         48
        .size:           8
        .value_kind:     by_value
      - .offset:         56
        .size:           8
        .value_kind:     by_value
      - .offset:         64
        .size:           8
        .value_kind:     by_value
      - .address_space:  global
        .offset:         72
        .size:           8
        .value_kind:     global_buffer
      - .offset:         80
        .size:           8
        .value_kind:     by_value
      - .offset:         88
        .size:           8
        .value_kind:     by_value
      - .offset:         96
        .size:           8
        .value_kind:     by_value
      - .offset:         104
        .size:           4
        .value_kind:     by_value
      - .offset:         108
        .size:           1
        .value_kind:     by_value
      - .offset:         112
        .size:           4
        .value_kind:     hidden_block_count_x
      - .offset:         116
        .size:           4
        .value_kind:     hidden_block_count_y
      - .offset:         120
        .size:           4
        .value_kind:     hidden_block_count_z
      - .offset:         124
        .size:           2
        .value_kind:     hidden_group_size_x
      - .offset:         126
        .size:           2
        .value_kind:     hidden_group_size_y
      - .offset:         128
        .size:           2
        .value_kind:     hidden_group_size_z
      - .offset:         130
        .size:           2
        .value_kind:     hidden_remainder_x
      - .offset:         132
        .size:           2
        .value_kind:     hidden_remainder_y
      - .offset:         134
        .size:           2
        .value_kind:     hidden_remainder_z
      - .offset:         152
        .size:           8
        .value_kind:     hidden_global_offset_x
      - .offset:         160
        .size:           8
        .value_kind:     hidden_global_offset_y
      - .offset:         168
        .size:           8
        .value_kind:     hidden_global_offset_z
      - .offset:         176
        .size:           2
        .value_kind:     hidden_grid_dims
      - .offset:         232
        .size:           4
        .value_kind:     hidden_dynamic_lds_size
    .group_segment_fixed_size: 0
    .kernarg_segment_align: 8
    .kernarg_segment_size: 368
    .language:       OpenCL C
    .language_version:
      - 2
      - 0
    .max_flat_workgroup_size: 1024
    .name:           _ZL39rocblas_trsm_block_forward_substitutionI19rocblas_complex_numIdES1_PKS1_PS1_Lb0ELb0ELb0EEv18rocblas_operation_llT0_T1_lllT2_lllib
    .private_segment_fixed_size: 0
    .sgpr_count:     48
    .sgpr_spill_count: 0
    .symbol:         _ZL39rocblas_trsm_block_forward_substitutionI19rocblas_complex_numIdES1_PKS1_PS1_Lb0ELb0ELb0EEv18rocblas_operation_llT0_T1_lllT2_lllib.kd
    .uniform_work_group_size: 1
    .uses_dynamic_stack: false
    .vgpr_count:     25
    .vgpr_spill_count: 0
    .wavefront_size: 64
  - .args:
      - .offset:         0
        .size:           4
        .value_kind:     by_value
      - .offset:         8
        .size:           8
        .value_kind:     by_value
      - .offset:         16
        .size:           8
        .value_kind:     by_value
      - .offset:         24
        .size:           16
        .value_kind:     by_value
      - .address_space:  global
        .offset:         40
        .size:           8
        .value_kind:     global_buffer
      - .offset:         48
        .size:           8
        .value_kind:     by_value
      - .offset:         56
        .size:           8
        .value_kind:     by_value
      - .offset:         64
        .size:           8
        .value_kind:     by_value
      - .address_space:  global
        .offset:         72
        .size:           8
        .value_kind:     global_buffer
      - .offset:         80
        .size:           8
        .value_kind:     by_value
      - .offset:         88
        .size:           8
        .value_kind:     by_value
      - .offset:         96
        .size:           8
        .value_kind:     by_value
      - .offset:         104
        .size:           4
        .value_kind:     by_value
      - .offset:         108
        .size:           1
        .value_kind:     by_value
      - .offset:         112
        .size:           4
        .value_kind:     hidden_block_count_x
      - .offset:         116
        .size:           4
        .value_kind:     hidden_block_count_y
      - .offset:         120
        .size:           4
        .value_kind:     hidden_block_count_z
      - .offset:         124
        .size:           2
        .value_kind:     hidden_group_size_x
      - .offset:         126
        .size:           2
        .value_kind:     hidden_group_size_y
      - .offset:         128
        .size:           2
        .value_kind:     hidden_group_size_z
      - .offset:         130
        .size:           2
        .value_kind:     hidden_remainder_x
      - .offset:         132
        .size:           2
        .value_kind:     hidden_remainder_y
      - .offset:         134
        .size:           2
        .value_kind:     hidden_remainder_z
      - .offset:         152
        .size:           8
        .value_kind:     hidden_global_offset_x
      - .offset:         160
        .size:           8
        .value_kind:     hidden_global_offset_y
      - .offset:         168
        .size:           8
        .value_kind:     hidden_global_offset_z
      - .offset:         176
        .size:           2
        .value_kind:     hidden_grid_dims
      - .offset:         232
        .size:           4
        .value_kind:     hidden_dynamic_lds_size
    .group_segment_fixed_size: 0
    .kernarg_segment_align: 8
    .kernarg_segment_size: 368
    .language:       OpenCL C
    .language_version:
      - 2
      - 0
    .max_flat_workgroup_size: 1024
    .name:           _ZL40rocblas_trsm_block_backward_substitutionI19rocblas_complex_numIdES1_PKS1_PS1_Lb0ELb0ELb0EEv18rocblas_operation_llT0_T1_lllT2_lllib
    .private_segment_fixed_size: 0
    .sgpr_count:     42
    .sgpr_spill_count: 0
    .symbol:         _ZL40rocblas_trsm_block_backward_substitutionI19rocblas_complex_numIdES1_PKS1_PS1_Lb0ELb0ELb0EEv18rocblas_operation_llT0_T1_lllT2_lllib.kd
    .uniform_work_group_size: 1
    .uses_dynamic_stack: false
    .vgpr_count:     25
    .vgpr_spill_count: 0
    .wavefront_size: 64
  - .args:
      - .offset:         0
        .size:           4
        .value_kind:     by_value
      - .offset:         8
        .size:           8
        .value_kind:     by_value
      - .offset:         16
        .size:           8
        .value_kind:     by_value
      - .offset:         24
        .size:           16
        .value_kind:     by_value
      - .address_space:  global
        .offset:         40
        .size:           8
        .value_kind:     global_buffer
      - .offset:         48
        .size:           8
        .value_kind:     by_value
      - .offset:         56
        .size:           8
        .value_kind:     by_value
      - .offset:         64
        .size:           8
        .value_kind:     by_value
      - .address_space:  global
        .offset:         72
        .size:           8
        .value_kind:     global_buffer
      - .offset:         80
        .size:           8
        .value_kind:     by_value
      - .offset:         88
        .size:           8
        .value_kind:     by_value
      - .offset:         96
        .size:           8
        .value_kind:     by_value
      - .offset:         104
        .size:           4
        .value_kind:     by_value
      - .offset:         108
        .size:           1
        .value_kind:     by_value
      - .offset:         112
        .size:           4
        .value_kind:     hidden_block_count_x
      - .offset:         116
        .size:           4
        .value_kind:     hidden_block_count_y
      - .offset:         120
        .size:           4
        .value_kind:     hidden_block_count_z
      - .offset:         124
        .size:           2
        .value_kind:     hidden_group_size_x
      - .offset:         126
        .size:           2
        .value_kind:     hidden_group_size_y
      - .offset:         128
        .size:           2
        .value_kind:     hidden_group_size_z
      - .offset:         130
        .size:           2
        .value_kind:     hidden_remainder_x
      - .offset:         132
        .size:           2
        .value_kind:     hidden_remainder_y
      - .offset:         134
        .size:           2
        .value_kind:     hidden_remainder_z
      - .offset:         152
        .size:           8
        .value_kind:     hidden_global_offset_x
      - .offset:         160
        .size:           8
        .value_kind:     hidden_global_offset_y
      - .offset:         168
        .size:           8
        .value_kind:     hidden_global_offset_z
      - .offset:         176
        .size:           2
        .value_kind:     hidden_grid_dims
      - .offset:         232
        .size:           4
        .value_kind:     hidden_dynamic_lds_size
    .group_segment_fixed_size: 0
    .kernarg_segment_align: 8
    .kernarg_segment_size: 368
    .language:       OpenCL C
    .language_version:
      - 2
      - 0
    .max_flat_workgroup_size: 1024
    .name:           _ZL39rocblas_trsm_block_forward_substitutionI19rocblas_complex_numIdES1_PKS1_PS1_Lb0ELb0ELb1EEv18rocblas_operation_llT0_T1_lllT2_lllib
    .private_segment_fixed_size: 0
    .sgpr_count:     48
    .sgpr_spill_count: 0
    .symbol:         _ZL39rocblas_trsm_block_forward_substitutionI19rocblas_complex_numIdES1_PKS1_PS1_Lb0ELb0ELb1EEv18rocblas_operation_llT0_T1_lllT2_lllib.kd
    .uniform_work_group_size: 1
    .uses_dynamic_stack: false
    .vgpr_count:     21
    .vgpr_spill_count: 0
    .wavefront_size: 64
  - .args:
      - .offset:         0
        .size:           4
        .value_kind:     by_value
      - .offset:         8
        .size:           8
        .value_kind:     by_value
      - .offset:         16
        .size:           8
        .value_kind:     by_value
      - .offset:         24
        .size:           16
        .value_kind:     by_value
      - .address_space:  global
        .offset:         40
        .size:           8
        .value_kind:     global_buffer
      - .offset:         48
        .size:           8
        .value_kind:     by_value
      - .offset:         56
        .size:           8
        .value_kind:     by_value
      - .offset:         64
        .size:           8
        .value_kind:     by_value
      - .address_space:  global
        .offset:         72
        .size:           8
        .value_kind:     global_buffer
      - .offset:         80
        .size:           8
        .value_kind:     by_value
      - .offset:         88
        .size:           8
        .value_kind:     by_value
      - .offset:         96
        .size:           8
        .value_kind:     by_value
      - .offset:         104
        .size:           4
        .value_kind:     by_value
      - .offset:         108
        .size:           1
        .value_kind:     by_value
      - .offset:         112
        .size:           4
        .value_kind:     hidden_block_count_x
      - .offset:         116
        .size:           4
        .value_kind:     hidden_block_count_y
      - .offset:         120
        .size:           4
        .value_kind:     hidden_block_count_z
      - .offset:         124
        .size:           2
        .value_kind:     hidden_group_size_x
      - .offset:         126
        .size:           2
        .value_kind:     hidden_group_size_y
      - .offset:         128
        .size:           2
        .value_kind:     hidden_group_size_z
      - .offset:         130
        .size:           2
        .value_kind:     hidden_remainder_x
      - .offset:         132
        .size:           2
        .value_kind:     hidden_remainder_y
      - .offset:         134
        .size:           2
        .value_kind:     hidden_remainder_z
      - .offset:         152
        .size:           8
        .value_kind:     hidden_global_offset_x
      - .offset:         160
        .size:           8
        .value_kind:     hidden_global_offset_y
      - .offset:         168
        .size:           8
        .value_kind:     hidden_global_offset_z
      - .offset:         176
        .size:           2
        .value_kind:     hidden_grid_dims
      - .offset:         232
        .size:           4
        .value_kind:     hidden_dynamic_lds_size
    .group_segment_fixed_size: 0
    .kernarg_segment_align: 8
    .kernarg_segment_size: 368
    .language:       OpenCL C
    .language_version:
      - 2
      - 0
    .max_flat_workgroup_size: 1024
    .name:           _ZL40rocblas_trsm_block_backward_substitutionI19rocblas_complex_numIdES1_PKS1_PS1_Lb0ELb0ELb1EEv18rocblas_operation_llT0_T1_lllT2_lllib
    .private_segment_fixed_size: 0
    .sgpr_count:     36
    .sgpr_spill_count: 0
    .symbol:         _ZL40rocblas_trsm_block_backward_substitutionI19rocblas_complex_numIdES1_PKS1_PS1_Lb0ELb0ELb1EEv18rocblas_operation_llT0_T1_lllT2_lllib.kd
    .uniform_work_group_size: 1
    .uses_dynamic_stack: false
    .vgpr_count:     21
    .vgpr_spill_count: 0
    .wavefront_size: 64
  - .args:
      - .offset:         0
        .size:           4
        .value_kind:     by_value
      - .offset:         8
        .size:           8
        .value_kind:     by_value
      - .offset:         16
        .size:           8
        .value_kind:     by_value
      - .offset:         24
        .size:           16
        .value_kind:     by_value
      - .address_space:  global
        .offset:         40
        .size:           8
        .value_kind:     global_buffer
      - .offset:         48
        .size:           8
        .value_kind:     by_value
      - .offset:         56
        .size:           8
        .value_kind:     by_value
      - .offset:         64
        .size:           8
        .value_kind:     by_value
      - .address_space:  global
        .offset:         72
        .size:           8
        .value_kind:     global_buffer
      - .offset:         80
        .size:           8
        .value_kind:     by_value
      - .offset:         88
        .size:           8
        .value_kind:     by_value
      - .offset:         96
        .size:           8
        .value_kind:     by_value
      - .offset:         104
        .size:           4
        .value_kind:     by_value
      - .offset:         108
        .size:           1
        .value_kind:     by_value
      - .offset:         112
        .size:           4
        .value_kind:     hidden_block_count_x
      - .offset:         116
        .size:           4
        .value_kind:     hidden_block_count_y
      - .offset:         120
        .size:           4
        .value_kind:     hidden_block_count_z
      - .offset:         124
        .size:           2
        .value_kind:     hidden_group_size_x
      - .offset:         126
        .size:           2
        .value_kind:     hidden_group_size_y
      - .offset:         128
        .size:           2
        .value_kind:     hidden_group_size_z
      - .offset:         130
        .size:           2
        .value_kind:     hidden_remainder_x
      - .offset:         132
        .size:           2
        .value_kind:     hidden_remainder_y
      - .offset:         134
        .size:           2
        .value_kind:     hidden_remainder_z
      - .offset:         152
        .size:           8
        .value_kind:     hidden_global_offset_x
      - .offset:         160
        .size:           8
        .value_kind:     hidden_global_offset_y
      - .offset:         168
        .size:           8
        .value_kind:     hidden_global_offset_z
      - .offset:         176
        .size:           2
        .value_kind:     hidden_grid_dims
      - .offset:         232
        .size:           4
        .value_kind:     hidden_dynamic_lds_size
    .group_segment_fixed_size: 0
    .kernarg_segment_align: 8
    .kernarg_segment_size: 368
    .language:       OpenCL C
    .language_version:
      - 2
      - 0
    .max_flat_workgroup_size: 1024
    .name:           _ZL39rocblas_trsm_block_forward_substitutionI19rocblas_complex_numIdES1_PKS1_PS1_Lb0ELb1ELb0EEv18rocblas_operation_llT0_T1_lllT2_lllib
    .private_segment_fixed_size: 0
    .sgpr_count:     48
    .sgpr_spill_count: 0
    .symbol:         _ZL39rocblas_trsm_block_forward_substitutionI19rocblas_complex_numIdES1_PKS1_PS1_Lb0ELb1ELb0EEv18rocblas_operation_llT0_T1_lllT2_lllib.kd
    .uniform_work_group_size: 1
    .uses_dynamic_stack: false
    .vgpr_count:     25
    .vgpr_spill_count: 0
    .wavefront_size: 64
  - .args:
      - .offset:         0
        .size:           4
        .value_kind:     by_value
      - .offset:         8
        .size:           8
        .value_kind:     by_value
      - .offset:         16
        .size:           8
        .value_kind:     by_value
      - .offset:         24
        .size:           16
        .value_kind:     by_value
      - .address_space:  global
        .offset:         40
        .size:           8
        .value_kind:     global_buffer
      - .offset:         48
        .size:           8
        .value_kind:     by_value
      - .offset:         56
        .size:           8
        .value_kind:     by_value
      - .offset:         64
        .size:           8
        .value_kind:     by_value
      - .address_space:  global
        .offset:         72
        .size:           8
        .value_kind:     global_buffer
      - .offset:         80
        .size:           8
        .value_kind:     by_value
      - .offset:         88
        .size:           8
        .value_kind:     by_value
      - .offset:         96
        .size:           8
        .value_kind:     by_value
      - .offset:         104
        .size:           4
        .value_kind:     by_value
      - .offset:         108
        .size:           1
        .value_kind:     by_value
      - .offset:         112
        .size:           4
        .value_kind:     hidden_block_count_x
      - .offset:         116
        .size:           4
        .value_kind:     hidden_block_count_y
      - .offset:         120
        .size:           4
        .value_kind:     hidden_block_count_z
      - .offset:         124
        .size:           2
        .value_kind:     hidden_group_size_x
      - .offset:         126
        .size:           2
        .value_kind:     hidden_group_size_y
      - .offset:         128
        .size:           2
        .value_kind:     hidden_group_size_z
      - .offset:         130
        .size:           2
        .value_kind:     hidden_remainder_x
      - .offset:         132
        .size:           2
        .value_kind:     hidden_remainder_y
      - .offset:         134
        .size:           2
        .value_kind:     hidden_remainder_z
      - .offset:         152
        .size:           8
        .value_kind:     hidden_global_offset_x
      - .offset:         160
        .size:           8
        .value_kind:     hidden_global_offset_y
      - .offset:         168
        .size:           8
        .value_kind:     hidden_global_offset_z
      - .offset:         176
        .size:           2
        .value_kind:     hidden_grid_dims
      - .offset:         232
        .size:           4
        .value_kind:     hidden_dynamic_lds_size
    .group_segment_fixed_size: 0
    .kernarg_segment_align: 8
    .kernarg_segment_size: 368
    .language:       OpenCL C
    .language_version:
      - 2
      - 0
    .max_flat_workgroup_size: 1024
    .name:           _ZL40rocblas_trsm_block_backward_substitutionI19rocblas_complex_numIdES1_PKS1_PS1_Lb0ELb1ELb0EEv18rocblas_operation_llT0_T1_lllT2_lllib
    .private_segment_fixed_size: 0
    .sgpr_count:     42
    .sgpr_spill_count: 0
    .symbol:         _ZL40rocblas_trsm_block_backward_substitutionI19rocblas_complex_numIdES1_PKS1_PS1_Lb0ELb1ELb0EEv18rocblas_operation_llT0_T1_lllT2_lllib.kd
    .uniform_work_group_size: 1
    .uses_dynamic_stack: false
    .vgpr_count:     25
    .vgpr_spill_count: 0
    .wavefront_size: 64
  - .args:
      - .offset:         0
        .size:           4
        .value_kind:     by_value
      - .offset:         8
        .size:           8
        .value_kind:     by_value
      - .offset:         16
        .size:           8
        .value_kind:     by_value
      - .offset:         24
        .size:           16
        .value_kind:     by_value
      - .address_space:  global
        .offset:         40
        .size:           8
        .value_kind:     global_buffer
      - .offset:         48
        .size:           8
        .value_kind:     by_value
      - .offset:         56
        .size:           8
        .value_kind:     by_value
      - .offset:         64
        .size:           8
        .value_kind:     by_value
      - .address_space:  global
        .offset:         72
        .size:           8
        .value_kind:     global_buffer
      - .offset:         80
        .size:           8
        .value_kind:     by_value
      - .offset:         88
        .size:           8
        .value_kind:     by_value
      - .offset:         96
        .size:           8
        .value_kind:     by_value
      - .offset:         104
        .size:           4
        .value_kind:     by_value
      - .offset:         108
        .size:           1
        .value_kind:     by_value
      - .offset:         112
        .size:           4
        .value_kind:     hidden_block_count_x
      - .offset:         116
        .size:           4
        .value_kind:     hidden_block_count_y
      - .offset:         120
        .size:           4
        .value_kind:     hidden_block_count_z
      - .offset:         124
        .size:           2
        .value_kind:     hidden_group_size_x
      - .offset:         126
        .size:           2
        .value_kind:     hidden_group_size_y
      - .offset:         128
        .size:           2
        .value_kind:     hidden_group_size_z
      - .offset:         130
        .size:           2
        .value_kind:     hidden_remainder_x
      - .offset:         132
        .size:           2
        .value_kind:     hidden_remainder_y
      - .offset:         134
        .size:           2
        .value_kind:     hidden_remainder_z
      - .offset:         152
        .size:           8
        .value_kind:     hidden_global_offset_x
      - .offset:         160
        .size:           8
        .value_kind:     hidden_global_offset_y
      - .offset:         168
        .size:           8
        .value_kind:     hidden_global_offset_z
      - .offset:         176
        .size:           2
        .value_kind:     hidden_grid_dims
      - .offset:         232
        .size:           4
        .value_kind:     hidden_dynamic_lds_size
    .group_segment_fixed_size: 0
    .kernarg_segment_align: 8
    .kernarg_segment_size: 368
    .language:       OpenCL C
    .language_version:
      - 2
      - 0
    .max_flat_workgroup_size: 1024
    .name:           _ZL39rocblas_trsm_block_forward_substitutionI19rocblas_complex_numIdES1_PKS1_PS1_Lb0ELb1ELb1EEv18rocblas_operation_llT0_T1_lllT2_lllib
    .private_segment_fixed_size: 0
    .sgpr_count:     48
    .sgpr_spill_count: 0
    .symbol:         _ZL39rocblas_trsm_block_forward_substitutionI19rocblas_complex_numIdES1_PKS1_PS1_Lb0ELb1ELb1EEv18rocblas_operation_llT0_T1_lllT2_lllib.kd
    .uniform_work_group_size: 1
    .uses_dynamic_stack: false
    .vgpr_count:     21
    .vgpr_spill_count: 0
    .wavefront_size: 64
  - .args:
      - .offset:         0
        .size:           4
        .value_kind:     by_value
      - .offset:         8
        .size:           8
        .value_kind:     by_value
      - .offset:         16
        .size:           8
        .value_kind:     by_value
      - .offset:         24
        .size:           16
        .value_kind:     by_value
      - .address_space:  global
        .offset:         40
        .size:           8
        .value_kind:     global_buffer
      - .offset:         48
        .size:           8
        .value_kind:     by_value
      - .offset:         56
        .size:           8
        .value_kind:     by_value
      - .offset:         64
        .size:           8
        .value_kind:     by_value
      - .address_space:  global
        .offset:         72
        .size:           8
        .value_kind:     global_buffer
      - .offset:         80
        .size:           8
        .value_kind:     by_value
      - .offset:         88
        .size:           8
        .value_kind:     by_value
      - .offset:         96
        .size:           8
        .value_kind:     by_value
      - .offset:         104
        .size:           4
        .value_kind:     by_value
      - .offset:         108
        .size:           1
        .value_kind:     by_value
      - .offset:         112
        .size:           4
        .value_kind:     hidden_block_count_x
      - .offset:         116
        .size:           4
        .value_kind:     hidden_block_count_y
      - .offset:         120
        .size:           4
        .value_kind:     hidden_block_count_z
      - .offset:         124
        .size:           2
        .value_kind:     hidden_group_size_x
      - .offset:         126
        .size:           2
        .value_kind:     hidden_group_size_y
      - .offset:         128
        .size:           2
        .value_kind:     hidden_group_size_z
      - .offset:         130
        .size:           2
        .value_kind:     hidden_remainder_x
      - .offset:         132
        .size:           2
        .value_kind:     hidden_remainder_y
      - .offset:         134
        .size:           2
        .value_kind:     hidden_remainder_z
      - .offset:         152
        .size:           8
        .value_kind:     hidden_global_offset_x
      - .offset:         160
        .size:           8
        .value_kind:     hidden_global_offset_y
      - .offset:         168
        .size:           8
        .value_kind:     hidden_global_offset_z
      - .offset:         176
        .size:           2
        .value_kind:     hidden_grid_dims
      - .offset:         232
        .size:           4
        .value_kind:     hidden_dynamic_lds_size
    .group_segment_fixed_size: 0
    .kernarg_segment_align: 8
    .kernarg_segment_size: 368
    .language:       OpenCL C
    .language_version:
      - 2
      - 0
    .max_flat_workgroup_size: 1024
    .name:           _ZL40rocblas_trsm_block_backward_substitutionI19rocblas_complex_numIdES1_PKS1_PS1_Lb0ELb1ELb1EEv18rocblas_operation_llT0_T1_lllT2_lllib
    .private_segment_fixed_size: 0
    .sgpr_count:     36
    .sgpr_spill_count: 0
    .symbol:         _ZL40rocblas_trsm_block_backward_substitutionI19rocblas_complex_numIdES1_PKS1_PS1_Lb0ELb1ELb1EEv18rocblas_operation_llT0_T1_lllT2_lllib.kd
    .uniform_work_group_size: 1
    .uses_dynamic_stack: false
    .vgpr_count:     21
    .vgpr_spill_count: 0
    .wavefront_size: 64
  - .args:
      - .offset:         0
        .size:           4
        .value_kind:     by_value
      - .offset:         8
        .size:           8
        .value_kind:     by_value
      - .offset:         16
        .size:           8
        .value_kind:     by_value
      - .offset:         24
        .size:           16
        .value_kind:     by_value
      - .address_space:  global
        .offset:         40
        .size:           8
        .value_kind:     global_buffer
      - .offset:         48
        .size:           8
        .value_kind:     by_value
      - .offset:         56
        .size:           8
        .value_kind:     by_value
      - .offset:         64
        .size:           8
        .value_kind:     by_value
      - .address_space:  global
        .offset:         72
        .size:           8
        .value_kind:     global_buffer
      - .offset:         80
        .size:           8
        .value_kind:     by_value
      - .offset:         88
        .size:           8
        .value_kind:     by_value
      - .offset:         96
        .size:           8
        .value_kind:     by_value
      - .offset:         104
        .size:           4
        .value_kind:     by_value
      - .offset:         108
        .size:           1
        .value_kind:     by_value
      - .offset:         112
        .size:           4
        .value_kind:     hidden_block_count_x
      - .offset:         116
        .size:           4
        .value_kind:     hidden_block_count_y
      - .offset:         120
        .size:           4
        .value_kind:     hidden_block_count_z
      - .offset:         124
        .size:           2
        .value_kind:     hidden_group_size_x
      - .offset:         126
        .size:           2
        .value_kind:     hidden_group_size_y
      - .offset:         128
        .size:           2
        .value_kind:     hidden_group_size_z
      - .offset:         130
        .size:           2
        .value_kind:     hidden_remainder_x
      - .offset:         132
        .size:           2
        .value_kind:     hidden_remainder_y
      - .offset:         134
        .size:           2
        .value_kind:     hidden_remainder_z
      - .offset:         152
        .size:           8
        .value_kind:     hidden_global_offset_x
      - .offset:         160
        .size:           8
        .value_kind:     hidden_global_offset_y
      - .offset:         168
        .size:           8
        .value_kind:     hidden_global_offset_z
      - .offset:         176
        .size:           2
        .value_kind:     hidden_grid_dims
      - .offset:         232
        .size:           4
        .value_kind:     hidden_dynamic_lds_size
    .group_segment_fixed_size: 0
    .kernarg_segment_align: 8
    .kernarg_segment_size: 368
    .language:       OpenCL C
    .language_version:
      - 2
      - 0
    .max_flat_workgroup_size: 1024
    .name:           _ZL39rocblas_trsm_block_forward_substitutionI19rocblas_complex_numIdES1_PKS1_PS1_Lb1ELb1ELb0EEv18rocblas_operation_llT0_T1_lllT2_lllib
    .private_segment_fixed_size: 0
    .sgpr_count:     36
    .sgpr_spill_count: 0
    .symbol:         _ZL39rocblas_trsm_block_forward_substitutionI19rocblas_complex_numIdES1_PKS1_PS1_Lb1ELb1ELb0EEv18rocblas_operation_llT0_T1_lllT2_lllib.kd
    .uniform_work_group_size: 1
    .uses_dynamic_stack: false
    .vgpr_count:     25
    .vgpr_spill_count: 0
    .wavefront_size: 64
  - .args:
      - .offset:         0
        .size:           4
        .value_kind:     by_value
      - .offset:         8
        .size:           8
        .value_kind:     by_value
      - .offset:         16
        .size:           8
        .value_kind:     by_value
      - .offset:         24
        .size:           16
        .value_kind:     by_value
      - .address_space:  global
        .offset:         40
        .size:           8
        .value_kind:     global_buffer
      - .offset:         48
        .size:           8
        .value_kind:     by_value
      - .offset:         56
        .size:           8
        .value_kind:     by_value
      - .offset:         64
        .size:           8
        .value_kind:     by_value
      - .address_space:  global
        .offset:         72
        .size:           8
        .value_kind:     global_buffer
      - .offset:         80
        .size:           8
        .value_kind:     by_value
      - .offset:         88
        .size:           8
        .value_kind:     by_value
      - .offset:         96
        .size:           8
        .value_kind:     by_value
      - .offset:         104
        .size:           4
        .value_kind:     by_value
      - .offset:         108
        .size:           1
        .value_kind:     by_value
      - .offset:         112
        .size:           4
        .value_kind:     hidden_block_count_x
      - .offset:         116
        .size:           4
        .value_kind:     hidden_block_count_y
      - .offset:         120
        .size:           4
        .value_kind:     hidden_block_count_z
      - .offset:         124
        .size:           2
        .value_kind:     hidden_group_size_x
      - .offset:         126
        .size:           2
        .value_kind:     hidden_group_size_y
      - .offset:         128
        .size:           2
        .value_kind:     hidden_group_size_z
      - .offset:         130
        .size:           2
        .value_kind:     hidden_remainder_x
      - .offset:         132
        .size:           2
        .value_kind:     hidden_remainder_y
      - .offset:         134
        .size:           2
        .value_kind:     hidden_remainder_z
      - .offset:         152
        .size:           8
        .value_kind:     hidden_global_offset_x
      - .offset:         160
        .size:           8
        .value_kind:     hidden_global_offset_y
      - .offset:         168
        .size:           8
        .value_kind:     hidden_global_offset_z
      - .offset:         176
        .size:           2
        .value_kind:     hidden_grid_dims
      - .offset:         232
        .size:           4
        .value_kind:     hidden_dynamic_lds_size
    .group_segment_fixed_size: 0
    .kernarg_segment_align: 8
    .kernarg_segment_size: 368
    .language:       OpenCL C
    .language_version:
      - 2
      - 0
    .max_flat_workgroup_size: 1024
    .name:           _ZL40rocblas_trsm_block_backward_substitutionI19rocblas_complex_numIdES1_PKS1_PS1_Lb1ELb1ELb0EEv18rocblas_operation_llT0_T1_lllT2_lllib
    .private_segment_fixed_size: 0
    .sgpr_count:     48
    .sgpr_spill_count: 0
    .symbol:         _ZL40rocblas_trsm_block_backward_substitutionI19rocblas_complex_numIdES1_PKS1_PS1_Lb1ELb1ELb0EEv18rocblas_operation_llT0_T1_lllT2_lllib.kd
    .uniform_work_group_size: 1
    .uses_dynamic_stack: false
    .vgpr_count:     25
    .vgpr_spill_count: 0
    .wavefront_size: 64
  - .args:
      - .offset:         0
        .size:           4
        .value_kind:     by_value
      - .offset:         8
        .size:           8
        .value_kind:     by_value
      - .offset:         16
        .size:           8
        .value_kind:     by_value
      - .offset:         24
        .size:           16
        .value_kind:     by_value
      - .address_space:  global
        .offset:         40
        .size:           8
        .value_kind:     global_buffer
      - .offset:         48
        .size:           8
        .value_kind:     by_value
      - .offset:         56
        .size:           8
        .value_kind:     by_value
      - .offset:         64
        .size:           8
        .value_kind:     by_value
      - .address_space:  global
        .offset:         72
        .size:           8
        .value_kind:     global_buffer
      - .offset:         80
        .size:           8
        .value_kind:     by_value
      - .offset:         88
        .size:           8
        .value_kind:     by_value
      - .offset:         96
        .size:           8
        .value_kind:     by_value
      - .offset:         104
        .size:           4
        .value_kind:     by_value
      - .offset:         108
        .size:           1
        .value_kind:     by_value
      - .offset:         112
        .size:           4
        .value_kind:     hidden_block_count_x
      - .offset:         116
        .size:           4
        .value_kind:     hidden_block_count_y
      - .offset:         120
        .size:           4
        .value_kind:     hidden_block_count_z
      - .offset:         124
        .size:           2
        .value_kind:     hidden_group_size_x
      - .offset:         126
        .size:           2
        .value_kind:     hidden_group_size_y
      - .offset:         128
        .size:           2
        .value_kind:     hidden_group_size_z
      - .offset:         130
        .size:           2
        .value_kind:     hidden_remainder_x
      - .offset:         132
        .size:           2
        .value_kind:     hidden_remainder_y
      - .offset:         134
        .size:           2
        .value_kind:     hidden_remainder_z
      - .offset:         152
        .size:           8
        .value_kind:     hidden_global_offset_x
      - .offset:         160
        .size:           8
        .value_kind:     hidden_global_offset_y
      - .offset:         168
        .size:           8
        .value_kind:     hidden_global_offset_z
      - .offset:         176
        .size:           2
        .value_kind:     hidden_grid_dims
      - .offset:         232
        .size:           4
        .value_kind:     hidden_dynamic_lds_size
    .group_segment_fixed_size: 0
    .kernarg_segment_align: 8
    .kernarg_segment_size: 368
    .language:       OpenCL C
    .language_version:
      - 2
      - 0
    .max_flat_workgroup_size: 1024
    .name:           _ZL39rocblas_trsm_block_forward_substitutionI19rocblas_complex_numIdES1_PKS1_PS1_Lb1ELb1ELb1EEv18rocblas_operation_llT0_T1_lllT2_lllib
    .private_segment_fixed_size: 0
    .sgpr_count:     36
    .sgpr_spill_count: 0
    .symbol:         _ZL39rocblas_trsm_block_forward_substitutionI19rocblas_complex_numIdES1_PKS1_PS1_Lb1ELb1ELb1EEv18rocblas_operation_llT0_T1_lllT2_lllib.kd
    .uniform_work_group_size: 1
    .uses_dynamic_stack: false
    .vgpr_count:     21
    .vgpr_spill_count: 0
    .wavefront_size: 64
  - .args:
      - .offset:         0
        .size:           4
        .value_kind:     by_value
      - .offset:         8
        .size:           8
        .value_kind:     by_value
      - .offset:         16
        .size:           8
        .value_kind:     by_value
      - .offset:         24
        .size:           16
        .value_kind:     by_value
      - .address_space:  global
        .offset:         40
        .size:           8
        .value_kind:     global_buffer
      - .offset:         48
        .size:           8
        .value_kind:     by_value
      - .offset:         56
        .size:           8
        .value_kind:     by_value
      - .offset:         64
        .size:           8
        .value_kind:     by_value
      - .address_space:  global
        .offset:         72
        .size:           8
        .value_kind:     global_buffer
      - .offset:         80
        .size:           8
        .value_kind:     by_value
      - .offset:         88
        .size:           8
        .value_kind:     by_value
      - .offset:         96
        .size:           8
        .value_kind:     by_value
      - .offset:         104
        .size:           4
        .value_kind:     by_value
      - .offset:         108
        .size:           1
        .value_kind:     by_value
      - .offset:         112
        .size:           4
        .value_kind:     hidden_block_count_x
      - .offset:         116
        .size:           4
        .value_kind:     hidden_block_count_y
      - .offset:         120
        .size:           4
        .value_kind:     hidden_block_count_z
      - .offset:         124
        .size:           2
        .value_kind:     hidden_group_size_x
      - .offset:         126
        .size:           2
        .value_kind:     hidden_group_size_y
      - .offset:         128
        .size:           2
        .value_kind:     hidden_group_size_z
      - .offset:         130
        .size:           2
        .value_kind:     hidden_remainder_x
      - .offset:         132
        .size:           2
        .value_kind:     hidden_remainder_y
      - .offset:         134
        .size:           2
        .value_kind:     hidden_remainder_z
      - .offset:         152
        .size:           8
        .value_kind:     hidden_global_offset_x
      - .offset:         160
        .size:           8
        .value_kind:     hidden_global_offset_y
      - .offset:         168
        .size:           8
        .value_kind:     hidden_global_offset_z
      - .offset:         176
        .size:           2
        .value_kind:     hidden_grid_dims
      - .offset:         232
        .size:           4
        .value_kind:     hidden_dynamic_lds_size
    .group_segment_fixed_size: 0
    .kernarg_segment_align: 8
    .kernarg_segment_size: 368
    .language:       OpenCL C
    .language_version:
      - 2
      - 0
    .max_flat_workgroup_size: 1024
    .name:           _ZL40rocblas_trsm_block_backward_substitutionI19rocblas_complex_numIdES1_PKS1_PS1_Lb1ELb1ELb1EEv18rocblas_operation_llT0_T1_lllT2_lllib
    .private_segment_fixed_size: 0
    .sgpr_count:     48
    .sgpr_spill_count: 0
    .symbol:         _ZL40rocblas_trsm_block_backward_substitutionI19rocblas_complex_numIdES1_PKS1_PS1_Lb1ELb1ELb1EEv18rocblas_operation_llT0_T1_lllT2_lllib.kd
    .uniform_work_group_size: 1
    .uses_dynamic_stack: false
    .vgpr_count:     21
    .vgpr_spill_count: 0
    .wavefront_size: 64
  - .args:
      - .offset:         0
        .size:           4
        .value_kind:     by_value
      - .offset:         8
        .size:           8
        .value_kind:     by_value
      - .offset:         16
        .size:           8
        .value_kind:     by_value
      - .offset:         24
        .size:           16
        .value_kind:     by_value
      - .address_space:  global
        .offset:         40
        .size:           8
        .value_kind:     global_buffer
      - .offset:         48
        .size:           8
        .value_kind:     by_value
      - .offset:         56
        .size:           8
        .value_kind:     by_value
      - .offset:         64
        .size:           8
        .value_kind:     by_value
      - .address_space:  global
        .offset:         72
        .size:           8
        .value_kind:     global_buffer
      - .offset:         80
        .size:           8
        .value_kind:     by_value
      - .offset:         88
        .size:           8
        .value_kind:     by_value
      - .offset:         96
        .size:           8
        .value_kind:     by_value
      - .offset:         104
        .size:           4
        .value_kind:     by_value
      - .offset:         108
        .size:           1
        .value_kind:     by_value
      - .offset:         112
        .size:           4
        .value_kind:     hidden_block_count_x
      - .offset:         116
        .size:           4
        .value_kind:     hidden_block_count_y
      - .offset:         120
        .size:           4
        .value_kind:     hidden_block_count_z
      - .offset:         124
        .size:           2
        .value_kind:     hidden_group_size_x
      - .offset:         126
        .size:           2
        .value_kind:     hidden_group_size_y
      - .offset:         128
        .size:           2
        .value_kind:     hidden_group_size_z
      - .offset:         130
        .size:           2
        .value_kind:     hidden_remainder_x
      - .offset:         132
        .size:           2
        .value_kind:     hidden_remainder_y
      - .offset:         134
        .size:           2
        .value_kind:     hidden_remainder_z
      - .offset:         152
        .size:           8
        .value_kind:     hidden_global_offset_x
      - .offset:         160
        .size:           8
        .value_kind:     hidden_global_offset_y
      - .offset:         168
        .size:           8
        .value_kind:     hidden_global_offset_z
      - .offset:         176
        .size:           2
        .value_kind:     hidden_grid_dims
      - .offset:         232
        .size:           4
        .value_kind:     hidden_dynamic_lds_size
    .group_segment_fixed_size: 0
    .kernarg_segment_align: 8
    .kernarg_segment_size: 368
    .language:       OpenCL C
    .language_version:
      - 2
      - 0
    .max_flat_workgroup_size: 1024
    .name:           _ZL39rocblas_trsm_block_forward_substitutionI19rocblas_complex_numIdES1_PKS1_PS1_Lb1ELb0ELb0EEv18rocblas_operation_llT0_T1_lllT2_lllib
    .private_segment_fixed_size: 0
    .sgpr_count:     36
    .sgpr_spill_count: 0
    .symbol:         _ZL39rocblas_trsm_block_forward_substitutionI19rocblas_complex_numIdES1_PKS1_PS1_Lb1ELb0ELb0EEv18rocblas_operation_llT0_T1_lllT2_lllib.kd
    .uniform_work_group_size: 1
    .uses_dynamic_stack: false
    .vgpr_count:     25
    .vgpr_spill_count: 0
    .wavefront_size: 64
  - .args:
      - .offset:         0
        .size:           4
        .value_kind:     by_value
      - .offset:         8
        .size:           8
        .value_kind:     by_value
      - .offset:         16
        .size:           8
        .value_kind:     by_value
      - .offset:         24
        .size:           16
        .value_kind:     by_value
      - .address_space:  global
        .offset:         40
        .size:           8
        .value_kind:     global_buffer
      - .offset:         48
        .size:           8
        .value_kind:     by_value
      - .offset:         56
        .size:           8
        .value_kind:     by_value
      - .offset:         64
        .size:           8
        .value_kind:     by_value
      - .address_space:  global
        .offset:         72
        .size:           8
        .value_kind:     global_buffer
      - .offset:         80
        .size:           8
        .value_kind:     by_value
      - .offset:         88
        .size:           8
        .value_kind:     by_value
      - .offset:         96
        .size:           8
        .value_kind:     by_value
      - .offset:         104
        .size:           4
        .value_kind:     by_value
      - .offset:         108
        .size:           1
        .value_kind:     by_value
      - .offset:         112
        .size:           4
        .value_kind:     hidden_block_count_x
      - .offset:         116
        .size:           4
        .value_kind:     hidden_block_count_y
      - .offset:         120
        .size:           4
        .value_kind:     hidden_block_count_z
      - .offset:         124
        .size:           2
        .value_kind:     hidden_group_size_x
      - .offset:         126
        .size:           2
        .value_kind:     hidden_group_size_y
      - .offset:         128
        .size:           2
        .value_kind:     hidden_group_size_z
      - .offset:         130
        .size:           2
        .value_kind:     hidden_remainder_x
      - .offset:         132
        .size:           2
        .value_kind:     hidden_remainder_y
      - .offset:         134
        .size:           2
        .value_kind:     hidden_remainder_z
      - .offset:         152
        .size:           8
        .value_kind:     hidden_global_offset_x
      - .offset:         160
        .size:           8
        .value_kind:     hidden_global_offset_y
      - .offset:         168
        .size:           8
        .value_kind:     hidden_global_offset_z
      - .offset:         176
        .size:           2
        .value_kind:     hidden_grid_dims
      - .offset:         232
        .size:           4
        .value_kind:     hidden_dynamic_lds_size
    .group_segment_fixed_size: 0
    .kernarg_segment_align: 8
    .kernarg_segment_size: 368
    .language:       OpenCL C
    .language_version:
      - 2
      - 0
    .max_flat_workgroup_size: 1024
    .name:           _ZL40rocblas_trsm_block_backward_substitutionI19rocblas_complex_numIdES1_PKS1_PS1_Lb1ELb0ELb0EEv18rocblas_operation_llT0_T1_lllT2_lllib
    .private_segment_fixed_size: 0
    .sgpr_count:     48
    .sgpr_spill_count: 0
    .symbol:         _ZL40rocblas_trsm_block_backward_substitutionI19rocblas_complex_numIdES1_PKS1_PS1_Lb1ELb0ELb0EEv18rocblas_operation_llT0_T1_lllT2_lllib.kd
    .uniform_work_group_size: 1
    .uses_dynamic_stack: false
    .vgpr_count:     25
    .vgpr_spill_count: 0
    .wavefront_size: 64
  - .args:
      - .offset:         0
        .size:           4
        .value_kind:     by_value
      - .offset:         8
        .size:           8
        .value_kind:     by_value
      - .offset:         16
        .size:           8
        .value_kind:     by_value
      - .offset:         24
        .size:           16
        .value_kind:     by_value
      - .address_space:  global
        .offset:         40
        .size:           8
        .value_kind:     global_buffer
      - .offset:         48
        .size:           8
        .value_kind:     by_value
      - .offset:         56
        .size:           8
        .value_kind:     by_value
      - .offset:         64
        .size:           8
        .value_kind:     by_value
      - .address_space:  global
        .offset:         72
        .size:           8
        .value_kind:     global_buffer
      - .offset:         80
        .size:           8
        .value_kind:     by_value
      - .offset:         88
        .size:           8
        .value_kind:     by_value
      - .offset:         96
        .size:           8
        .value_kind:     by_value
      - .offset:         104
        .size:           4
        .value_kind:     by_value
      - .offset:         108
        .size:           1
        .value_kind:     by_value
      - .offset:         112
        .size:           4
        .value_kind:     hidden_block_count_x
      - .offset:         116
        .size:           4
        .value_kind:     hidden_block_count_y
      - .offset:         120
        .size:           4
        .value_kind:     hidden_block_count_z
      - .offset:         124
        .size:           2
        .value_kind:     hidden_group_size_x
      - .offset:         126
        .size:           2
        .value_kind:     hidden_group_size_y
      - .offset:         128
        .size:           2
        .value_kind:     hidden_group_size_z
      - .offset:         130
        .size:           2
        .value_kind:     hidden_remainder_x
      - .offset:         132
        .size:           2
        .value_kind:     hidden_remainder_y
      - .offset:         134
        .size:           2
        .value_kind:     hidden_remainder_z
      - .offset:         152
        .size:           8
        .value_kind:     hidden_global_offset_x
      - .offset:         160
        .size:           8
        .value_kind:     hidden_global_offset_y
      - .offset:         168
        .size:           8
        .value_kind:     hidden_global_offset_z
      - .offset:         176
        .size:           2
        .value_kind:     hidden_grid_dims
      - .offset:         232
        .size:           4
        .value_kind:     hidden_dynamic_lds_size
    .group_segment_fixed_size: 0
    .kernarg_segment_align: 8
    .kernarg_segment_size: 368
    .language:       OpenCL C
    .language_version:
      - 2
      - 0
    .max_flat_workgroup_size: 1024
    .name:           _ZL39rocblas_trsm_block_forward_substitutionI19rocblas_complex_numIdES1_PKS1_PS1_Lb1ELb0ELb1EEv18rocblas_operation_llT0_T1_lllT2_lllib
    .private_segment_fixed_size: 0
    .sgpr_count:     36
    .sgpr_spill_count: 0
    .symbol:         _ZL39rocblas_trsm_block_forward_substitutionI19rocblas_complex_numIdES1_PKS1_PS1_Lb1ELb0ELb1EEv18rocblas_operation_llT0_T1_lllT2_lllib.kd
    .uniform_work_group_size: 1
    .uses_dynamic_stack: false
    .vgpr_count:     21
    .vgpr_spill_count: 0
    .wavefront_size: 64
  - .args:
      - .offset:         0
        .size:           4
        .value_kind:     by_value
      - .offset:         8
        .size:           8
        .value_kind:     by_value
      - .offset:         16
        .size:           8
        .value_kind:     by_value
      - .offset:         24
        .size:           16
        .value_kind:     by_value
      - .address_space:  global
        .offset:         40
        .size:           8
        .value_kind:     global_buffer
      - .offset:         48
        .size:           8
        .value_kind:     by_value
      - .offset:         56
        .size:           8
        .value_kind:     by_value
      - .offset:         64
        .size:           8
        .value_kind:     by_value
      - .address_space:  global
        .offset:         72
        .size:           8
        .value_kind:     global_buffer
      - .offset:         80
        .size:           8
        .value_kind:     by_value
      - .offset:         88
        .size:           8
        .value_kind:     by_value
      - .offset:         96
        .size:           8
        .value_kind:     by_value
      - .offset:         104
        .size:           4
        .value_kind:     by_value
      - .offset:         108
        .size:           1
        .value_kind:     by_value
      - .offset:         112
        .size:           4
        .value_kind:     hidden_block_count_x
      - .offset:         116
        .size:           4
        .value_kind:     hidden_block_count_y
      - .offset:         120
        .size:           4
        .value_kind:     hidden_block_count_z
      - .offset:         124
        .size:           2
        .value_kind:     hidden_group_size_x
      - .offset:         126
        .size:           2
        .value_kind:     hidden_group_size_y
      - .offset:         128
        .size:           2
        .value_kind:     hidden_group_size_z
      - .offset:         130
        .size:           2
        .value_kind:     hidden_remainder_x
      - .offset:         132
        .size:           2
        .value_kind:     hidden_remainder_y
      - .offset:         134
        .size:           2
        .value_kind:     hidden_remainder_z
      - .offset:         152
        .size:           8
        .value_kind:     hidden_global_offset_x
      - .offset:         160
        .size:           8
        .value_kind:     hidden_global_offset_y
      - .offset:         168
        .size:           8
        .value_kind:     hidden_global_offset_z
      - .offset:         176
        .size:           2
        .value_kind:     hidden_grid_dims
      - .offset:         232
        .size:           4
        .value_kind:     hidden_dynamic_lds_size
    .group_segment_fixed_size: 0
    .kernarg_segment_align: 8
    .kernarg_segment_size: 368
    .language:       OpenCL C
    .language_version:
      - 2
      - 0
    .max_flat_workgroup_size: 1024
    .name:           _ZL40rocblas_trsm_block_backward_substitutionI19rocblas_complex_numIdES1_PKS1_PS1_Lb1ELb0ELb1EEv18rocblas_operation_llT0_T1_lllT2_lllib
    .private_segment_fixed_size: 0
    .sgpr_count:     48
    .sgpr_spill_count: 0
    .symbol:         _ZL40rocblas_trsm_block_backward_substitutionI19rocblas_complex_numIdES1_PKS1_PS1_Lb1ELb0ELb1EEv18rocblas_operation_llT0_T1_lllT2_lllib.kd
    .uniform_work_group_size: 1
    .uses_dynamic_stack: false
    .vgpr_count:     21
    .vgpr_spill_count: 0
    .wavefront_size: 64
  - .args:
      - .address_space:  global
        .offset:         0
        .size:           8
        .value_kind:     global_buffer
      - .offset:         8
        .size:           8
        .value_kind:     by_value
      - .address_space:  global
        .offset:         16
        .size:           8
        .value_kind:     global_buffer
    .group_segment_fixed_size: 0
    .kernarg_segment_align: 8
    .kernarg_segment_size: 24
    .language:       OpenCL C
    .language_version:
      - 2
      - 0
    .max_flat_workgroup_size: 128
    .name:           _ZL26setup_batched_array_kernelILi128E19rocblas_complex_numIdEEvPT0_lPS3_
    .private_segment_fixed_size: 0
    .sgpr_count:     13
    .sgpr_spill_count: 0
    .symbol:         _ZL26setup_batched_array_kernelILi128E19rocblas_complex_numIdEEvPT0_lPS3_.kd
    .uniform_work_group_size: 1
    .uses_dynamic_stack: false
    .vgpr_count:     3
    .vgpr_spill_count: 0
    .wavefront_size: 64
  - .args:
      - .offset:         0
        .size:           4
        .value_kind:     by_value
      - .offset:         4
        .size:           4
        .value_kind:     by_value
      - .address_space:  global
        .offset:         8
        .size:           8
        .value_kind:     global_buffer
      - .offset:         16
        .size:           8
        .value_kind:     by_value
      - .offset:         24
        .size:           4
        .value_kind:     by_value
      - .offset:         32
        .size:           8
        .value_kind:     by_value
      - .address_space:  global
        .offset:         40
        .size:           8
        .value_kind:     global_buffer
      - .offset:         48
        .size:           8
        .value_kind:     by_value
      - .offset:         56
        .size:           8
        .value_kind:     by_value
      - .offset:         64
        .size:           4
        .value_kind:     by_value
    .group_segment_fixed_size: 16384
    .kernarg_segment_align: 8
    .kernarg_segment_size: 68
    .language:       OpenCL C
    .language_version:
      - 2
      - 0
    .max_flat_workgroup_size: 256
    .name:           _ZL25rocblas_trtri_trsm_kernelILi128ELi16ELi8E19rocblas_complex_numIdEPKS1_PS1_Ev13rocblas_fill_17rocblas_diagonal_T3_lilT4_lli
    .private_segment_fixed_size: 0
    .sgpr_count:     44
    .sgpr_spill_count: 0
    .symbol:         _ZL25rocblas_trtri_trsm_kernelILi128ELi16ELi8E19rocblas_complex_numIdEPKS1_PS1_Ev13rocblas_fill_17rocblas_diagonal_T3_lilT4_lli.kd
    .uniform_work_group_size: 1
    .uses_dynamic_stack: false
    .vgpr_count:     63
    .vgpr_spill_count: 0
    .wavefront_size: 64
  - .args:
      - .address_space:  global
        .offset:         0
        .size:           8
        .value_kind:     global_buffer
      - .offset:         8
        .size:           4
        .value_kind:     by_value
      - .offset:         12
        .size:           4
        .value_kind:     by_value
      - .offset:         16
        .size:           8
        .value_kind:     by_value
      - .offset:         24
        .size:           4
        .value_kind:     by_value
      - .offset:         32
        .size:           8
        .value_kind:     by_value
      - .address_space:  global
        .offset:         40
        .size:           8
        .value_kind:     global_buffer
      - .offset:         48
        .size:           8
        .value_kind:     by_value
      - .offset:         56
        .size:           8
        .value_kind:     by_value
      - .offset:         64
        .size:           4
        .value_kind:     by_value
      - .offset:         68
        .size:           4
        .value_kind:     by_value
      - .offset:         72
        .size:           4
        .value_kind:     hidden_block_count_x
      - .offset:         76
        .size:           4
        .value_kind:     hidden_block_count_y
      - .offset:         80
        .size:           4
        .value_kind:     hidden_block_count_z
      - .offset:         84
        .size:           2
        .value_kind:     hidden_group_size_x
      - .offset:         86
        .size:           2
        .value_kind:     hidden_group_size_y
      - .offset:         88
        .size:           2
        .value_kind:     hidden_group_size_z
      - .offset:         90
        .size:           2
        .value_kind:     hidden_remainder_x
      - .offset:         92
        .size:           2
        .value_kind:     hidden_remainder_y
      - .offset:         94
        .size:           2
        .value_kind:     hidden_remainder_z
      - .offset:         112
        .size:           8
        .value_kind:     hidden_global_offset_x
      - .offset:         120
        .size:           8
        .value_kind:     hidden_global_offset_y
      - .offset:         128
        .size:           8
        .value_kind:     hidden_global_offset_z
      - .offset:         136
        .size:           2
        .value_kind:     hidden_grid_dims
    .group_segment_fixed_size: 0
    .kernarg_segment_align: 8
    .kernarg_segment_size: 328
    .language:       OpenCL C
    .language_version:
      - 2
      - 0
    .max_flat_workgroup_size: 128
    .name:           _ZL18rocblas_trtri_fillILi128E19rocblas_complex_numIdEPS1_EvP15_rocblas_handle13rocblas_fill_ililT1_llii
    .private_segment_fixed_size: 0
    .sgpr_count:     43
    .sgpr_spill_count: 0
    .symbol:         _ZL18rocblas_trtri_fillILi128E19rocblas_complex_numIdEPS1_EvP15_rocblas_handle13rocblas_fill_ililT1_llii.kd
    .uniform_work_group_size: 1
    .uses_dynamic_stack: false
    .vgpr_count:     25
    .vgpr_spill_count: 0
    .wavefront_size: 64
  - .args:
      - .offset:         0
        .size:           4
        .value_kind:     by_value
      - .offset:         4
        .size:           4
        .value_kind:     by_value
      - .offset:         8
        .size:           4
        .value_kind:     by_value
      - .address_space:  global
        .offset:         16
        .size:           8
        .value_kind:     global_buffer
      - .offset:         24
        .size:           4
        .value_kind:     by_value
      - .offset:         32
        .size:           8
        .value_kind:     by_value
      - .address_space:  global
        .offset:         40
        .size:           8
        .value_kind:     global_buffer
      - .offset:         48
        .size:           4
        .value_kind:     by_value
      - .offset:         56
        .size:           8
        .value_kind:     by_value
      - .offset:         64
        .size:           8
        .value_kind:     by_value
      - .offset:         72
        .size:           8
        .value_kind:     by_value
      - .offset:         80
        .size:           4
        .value_kind:     by_value
      - .offset:         88
        .size:           4
        .value_kind:     hidden_block_count_x
      - .offset:         92
        .size:           4
        .value_kind:     hidden_block_count_y
      - .offset:         96
        .size:           4
        .value_kind:     hidden_block_count_z
      - .offset:         100
        .size:           2
        .value_kind:     hidden_group_size_x
      - .offset:         102
        .size:           2
        .value_kind:     hidden_group_size_y
      - .offset:         104
        .size:           2
        .value_kind:     hidden_group_size_z
      - .offset:         106
        .size:           2
        .value_kind:     hidden_remainder_x
      - .offset:         108
        .size:           2
        .value_kind:     hidden_remainder_y
      - .offset:         110
        .size:           2
        .value_kind:     hidden_remainder_z
      - .offset:         128
        .size:           8
        .value_kind:     hidden_global_offset_x
      - .offset:         136
        .size:           8
        .value_kind:     hidden_global_offset_y
      - .offset:         144
        .size:           8
        .value_kind:     hidden_global_offset_z
      - .offset:         152
        .size:           2
        .value_kind:     hidden_grid_dims
    .group_segment_fixed_size: 0
    .kernarg_segment_align: 8
    .kernarg_segment_size: 344
    .language:       OpenCL C
    .language_version:
      - 2
      - 0
    .max_flat_workgroup_size: 1024
    .name:           _ZL24rocblas_copy_matrix_trsmILi128ELi8E19rocblas_complex_numIdEPKS1_PS1_EviiiT2_ilT3_illli
    .private_segment_fixed_size: 0
    .sgpr_count:     27
    .sgpr_spill_count: 0
    .symbol:         _ZL24rocblas_copy_matrix_trsmILi128ELi8E19rocblas_complex_numIdEPKS1_PS1_EviiiT2_ilT3_illli.kd
    .uniform_work_group_size: 1
    .uses_dynamic_stack: false
    .vgpr_count:     12
    .vgpr_spill_count: 0
    .wavefront_size: 64
amdhsa.target:   amdgcn-amd-amdhsa--gfx906
amdhsa.version:
  - 1
  - 2
...

	.end_amdgpu_metadata
